;; amdgpu-corpus repo=pytorch/pytorch kind=compiled arch=gfx950 opt=O3
	.amdgcn_target "amdgcn-amd-amdhsa--gfx950"
	.amdhsa_code_object_version 6
	.section	.text._ZN7rocprim17ROCPRIM_304000_NS6detail28radix_sort_block_sort_kernelINS1_36wrapped_radix_sort_block_sort_configINS0_13kernel_configILj256ELj4ELj4294967295EEEhN2at4cuda3cub6detail10OpaqueTypeILi8EEEEELb1EPKhPhPKSB_PSB_NS0_19identity_decomposerEEEvT1_T2_T3_T4_jT5_jj,"axG",@progbits,_ZN7rocprim17ROCPRIM_304000_NS6detail28radix_sort_block_sort_kernelINS1_36wrapped_radix_sort_block_sort_configINS0_13kernel_configILj256ELj4ELj4294967295EEEhN2at4cuda3cub6detail10OpaqueTypeILi8EEEEELb1EPKhPhPKSB_PSB_NS0_19identity_decomposerEEEvT1_T2_T3_T4_jT5_jj,comdat
	.protected	_ZN7rocprim17ROCPRIM_304000_NS6detail28radix_sort_block_sort_kernelINS1_36wrapped_radix_sort_block_sort_configINS0_13kernel_configILj256ELj4ELj4294967295EEEhN2at4cuda3cub6detail10OpaqueTypeILi8EEEEELb1EPKhPhPKSB_PSB_NS0_19identity_decomposerEEEvT1_T2_T3_T4_jT5_jj ; -- Begin function _ZN7rocprim17ROCPRIM_304000_NS6detail28radix_sort_block_sort_kernelINS1_36wrapped_radix_sort_block_sort_configINS0_13kernel_configILj256ELj4ELj4294967295EEEhN2at4cuda3cub6detail10OpaqueTypeILi8EEEEELb1EPKhPhPKSB_PSB_NS0_19identity_decomposerEEEvT1_T2_T3_T4_jT5_jj
	.globl	_ZN7rocprim17ROCPRIM_304000_NS6detail28radix_sort_block_sort_kernelINS1_36wrapped_radix_sort_block_sort_configINS0_13kernel_configILj256ELj4ELj4294967295EEEhN2at4cuda3cub6detail10OpaqueTypeILi8EEEEELb1EPKhPhPKSB_PSB_NS0_19identity_decomposerEEEvT1_T2_T3_T4_jT5_jj
	.p2align	8
	.type	_ZN7rocprim17ROCPRIM_304000_NS6detail28radix_sort_block_sort_kernelINS1_36wrapped_radix_sort_block_sort_configINS0_13kernel_configILj256ELj4ELj4294967295EEEhN2at4cuda3cub6detail10OpaqueTypeILi8EEEEELb1EPKhPhPKSB_PSB_NS0_19identity_decomposerEEEvT1_T2_T3_T4_jT5_jj,@function
_ZN7rocprim17ROCPRIM_304000_NS6detail28radix_sort_block_sort_kernelINS1_36wrapped_radix_sort_block_sort_configINS0_13kernel_configILj256ELj4ELj4294967295EEEhN2at4cuda3cub6detail10OpaqueTypeILi8EEEEELb1EPKhPhPKSB_PSB_NS0_19identity_decomposerEEEvT1_T2_T3_T4_jT5_jj: ; @_ZN7rocprim17ROCPRIM_304000_NS6detail28radix_sort_block_sort_kernelINS1_36wrapped_radix_sort_block_sort_configINS0_13kernel_configILj256ELj4ELj4294967295EEEhN2at4cuda3cub6detail10OpaqueTypeILi8EEEEELb1EPKhPhPKSB_PSB_NS0_19identity_decomposerEEEvT1_T2_T3_T4_jT5_jj
; %bb.0:
	s_load_dword s4, s[0:1], 0x20
	s_load_dwordx8 s[36:43], s[0:1], 0x0
	s_lshl_b32 s28, s2, 10
	v_and_b32_e32 v8, 0x3ff, v0
	v_mbcnt_lo_u32_b32 v1, -1, 0
	s_waitcnt lgkmcnt(0)
	s_lshr_b32 s3, s4, 10
	s_cmp_lg_u32 s2, s3
	s_cselect_b64 s[30:31], -1, 0
	s_add_u32 s6, s36, s28
	s_addc_u32 s7, s37, 0
	v_mbcnt_hi_u32_b32 v2, -1, v1
	v_lshlrev_b32_e32 v1, 2, v8
	v_mov_b32_e32 v3, 0
	v_and_b32_e32 v12, 0x300, v1
	v_lshl_add_u64 v[4:5], s[6:7], 0, v[2:3]
	v_mov_b32_e32 v13, v3
	s_mov_b32 s29, 0
	s_cmp_eq_u32 s2, s3
	v_lshl_add_u64 v[10:11], v[4:5], 0, v[12:13]
	v_lshlrev_b32_e32 v6, 3, v2
	v_lshlrev_b32_e32 v4, 3, v12
	v_add_u32_e32 v16, v2, v12
	s_cbranch_scc1 .LBB0_2
; %bb.1:
	s_lshl_b64 s[2:3], s[28:29], 3
	s_add_u32 s2, s40, s2
	s_addc_u32 s3, s41, s3
	v_mov_b32_e32 v7, v3
	v_lshl_add_u64 v[18:19], s[2:3], 0, v[6:7]
	v_mov_b32_e32 v5, v3
	v_lshl_add_u64 v[18:19], v[18:19], 0, v[4:5]
	global_load_ubyte v15, v[10:11], off offset:192
	global_load_ubyte v13, v[10:11], off offset:128
	;; [unrolled: 1-line block ×3, first 2 shown]
	global_load_ubyte v14, v[10:11], off
	global_load_dwordx2 v[36:37], v[18:19], off
	global_load_dwordx2 v[38:39], v[18:19], off offset:512
	global_load_dwordx2 v[42:43], v[18:19], off offset:1024
	;; [unrolled: 1-line block ×3, first 2 shown]
	v_add_u32_e32 v22, v2, v12
	v_add_u32_e32 v9, 64, v22
	;; [unrolled: 1-line block ×4, first 2 shown]
	s_sub_i32 s33, s4, s28
	s_cbranch_execz .LBB0_3
	s_branch .LBB0_17
.LBB0_2:
                                        ; implicit-def: $vgpr14
                                        ; implicit-def: $vgpr17
                                        ; implicit-def: $vgpr13
                                        ; implicit-def: $vgpr15
                                        ; implicit-def: $vgpr36_vgpr37
                                        ; implicit-def: $vgpr38_vgpr39
                                        ; implicit-def: $vgpr42_vgpr43
                                        ; implicit-def: $vgpr44_vgpr45
                                        ; implicit-def: $vgpr22
                                        ; implicit-def: $vgpr9
                                        ; implicit-def: $vgpr20
                                        ; implicit-def: $vgpr21
	s_sub_i32 s33, s4, s28
.LBB0_3:
	v_cmp_gt_u32_e32 vcc, s33, v16
	s_waitcnt vmcnt(6)
	v_mov_b32_e32 v13, 0
	s_waitcnt vmcnt(4)
	v_mov_b32_e32 v14, 0
	v_mov_b32_e32 v15, 0
	s_and_saveexec_b64 s[2:3], vcc
	s_cbranch_execz .LBB0_5
; %bb.4:
	global_load_ubyte v14, v[10:11], off
	v_mov_b32_e32 v15, 0
.LBB0_5:
	s_or_b64 exec, exec, s[2:3]
	v_add_u32_e32 v9, 64, v16
	v_cmp_gt_u32_e64 s[2:3], s33, v9
	v_mov_b32_e32 v17, v13
	s_and_saveexec_b64 s[4:5], s[2:3]
	s_cbranch_execz .LBB0_7
; %bb.6:
	global_load_ubyte v17, v[10:11], off offset:64
.LBB0_7:
	s_or_b64 exec, exec, s[4:5]
	v_add_u32_e32 v20, 0x80, v16
	v_cmp_gt_u32_e64 s[4:5], s33, v20
	s_and_saveexec_b64 s[6:7], s[4:5]
	s_cbranch_execz .LBB0_9
; %bb.8:
	global_load_ubyte v13, v[10:11], off offset:128
.LBB0_9:
	s_or_b64 exec, exec, s[6:7]
	v_add_u32_e32 v21, 0xc0, v16
	v_cmp_gt_u32_e64 s[6:7], s33, v21
	s_and_saveexec_b64 s[8:9], s[6:7]
	s_cbranch_execz .LBB0_11
; %bb.10:
	global_load_ubyte v15, v[10:11], off offset:192
.LBB0_11:
	s_or_b64 exec, exec, s[8:9]
	s_lshl_b64 s[8:9], s[28:29], 3
	s_add_u32 s8, s40, s8
	s_addc_u32 s9, s41, s9
	v_mov_b32_e32 v7, 0
	v_lshl_add_u64 v[10:11], s[8:9], 0, v[6:7]
	v_mov_b32_e32 v5, v7
	v_lshl_add_u64 v[4:5], v[10:11], 0, v[4:5]
                                        ; implicit-def: $vgpr36_vgpr37
	s_and_saveexec_b64 s[8:9], vcc
	s_cbranch_execnz .LBB0_54
; %bb.12:
	s_or_b64 exec, exec, s[8:9]
                                        ; implicit-def: $vgpr38_vgpr39
	s_and_saveexec_b64 s[8:9], s[2:3]
	s_cbranch_execnz .LBB0_55
.LBB0_13:
	s_or_b64 exec, exec, s[8:9]
                                        ; implicit-def: $vgpr42_vgpr43
	s_and_saveexec_b64 s[2:3], s[4:5]
	s_cbranch_execnz .LBB0_56
.LBB0_14:
	s_or_b64 exec, exec, s[2:3]
                                        ; implicit-def: $vgpr44_vgpr45
	s_and_saveexec_b64 s[2:3], s[6:7]
	s_cbranch_execz .LBB0_16
.LBB0_15:
	global_load_dwordx2 v[44:45], v[4:5], off offset:1536
.LBB0_16:
	s_or_b64 exec, exec, s[2:3]
	v_mov_b32_e32 v22, v16
.LBB0_17:
	s_load_dwordx2 s[34:35], s[0:1], 0x28
	v_mov_b32_e32 v3, -1
	s_load_dword s0, s[0:1], 0x3c
	s_movk_i32 s2, 0xff
	s_waitcnt vmcnt(0)
	v_xor_b32_sdwa v4, v17, v3 dst_sel:BYTE_1 dst_unused:UNUSED_PAD src0_sel:DWORD src1_sel:DWORD
	v_xor_b32_sdwa v3, v15, v3 dst_sel:BYTE_1 dst_unused:UNUSED_PAD src0_sel:DWORD src1_sel:DWORD
	v_bitop3_b16 v4, v14, v4, s2 bitop3:0xce
	v_bitop3_b16 v3, v13, v3, s2 bitop3:0xce
	v_lshlrev_b32_e32 v3, 16, v3
	v_or_b32_sdwa v25, v4, v3 dst_sel:DWORD dst_unused:UNUSED_PAD src0_sel:WORD_0 src1_sel:DWORD
	s_waitcnt lgkmcnt(0)
	s_lshr_b32 s1, s0, 16
	v_bfe_u32 v3, v0, 10, 10
	v_bfe_u32 v0, v0, 20, 10
	s_and_b32 s0, s0, 0xffff
	v_mad_u32_u24 v0, v0, s1, v3
	v_mad_u64_u32 v[4:5], s[0:1], v0, s0, v[8:9]
	v_lshrrev_b32_e32 v0, 4, v4
	v_and_b32_e32 v24, 0xffffffc, v0
	v_and_b32_e32 v0, 15, v2
	v_cmp_eq_u32_e64 s[0:1], 0, v0
	v_cmp_lt_u32_e64 s[2:3], 1, v0
	v_cmp_lt_u32_e64 s[4:5], 3, v0
	;; [unrolled: 1-line block ×3, first 2 shown]
	v_and_b32_e32 v0, 16, v2
	v_cmp_eq_u32_e64 s[8:9], 0, v0
	v_and_b32_e32 v0, 0x3c0, v8
	v_min_u32_e32 v0, 0xc0, v0
	v_or_b32_e32 v0, 63, v0
	v_lshlrev_b32_e32 v23, 2, v1
	v_cmp_eq_u32_e64 s[12:13], v8, v0
	v_subrev_co_u32_e64 v0, s[18:19], 1, v2
	v_and_b32_e32 v1, 64, v2
	v_cmp_lt_i32_e32 vcc, v0, v1
	s_mov_b32 s26, 0
	v_and_b32_e32 v1, 3, v2
	v_cndmask_b32_e32 v0, v0, v2, vcc
	v_lshlrev_b32_e32 v26, 2, v0
	v_lshrrev_b32_e32 v0, 4, v8
	v_cmp_lt_u32_e64 s[10:11], 31, v2
	v_and_b32_e32 v27, 60, v0
	v_mul_i32_i24_e32 v0, -12, v8
	v_cmp_eq_u32_e64 s[22:23], 0, v1
	v_cmp_lt_u32_e64 s[24:25], 1, v1
	v_mul_lo_u32 v1, v22, 7
	v_mul_lo_u32 v2, v9, 7
	v_mul_lo_u32 v3, v20, 7
	v_mul_lo_u32 v4, v21, 7
	s_mov_b32 s27, s26
	s_mov_b32 s40, s26
	;; [unrolled: 1-line block ×3, first 2 shown]
	s_add_i32 s36, s35, s34
	v_cmp_gt_u32_e64 s[14:15], 4, v8
	v_cmp_lt_u32_e64 s[16:17], 63, v8
	v_cmp_eq_u32_e64 s[20:21], 0, v8
	v_add_u32_e32 v28, -4, v27
	v_mov_b64_e32 v[14:15], s[26:27]
	v_mov_b64_e32 v[16:17], s[40:41]
	v_mov_b32_e32 v19, 0
	v_add_u32_e32 v29, v23, v0
	s_mov_b32 s37, 0xc0c0004
	v_add_u32_e32 v30, v22, v1
	v_add_u32_e32 v31, v9, v2
	;; [unrolled: 1-line block ×4, first 2 shown]
	s_branch .LBB0_19
.LBB0_18:                               ;   in Loop: Header=BB0_19 Depth=1
	s_andn2_b64 vcc, exec, s[26:27]
	s_mov_b32 s35, s40
	s_cbranch_vccz .LBB0_35
.LBB0_19:                               ; =>This Inner Loop Header: Depth=1
	s_min_u32 s26, s35, 8
	s_lshl_b32 s40, -1, s26
	v_lshrrev_b32_sdwa v0, s34, v25 dst_sel:DWORD dst_unused:UNUSED_PAD src0_sel:DWORD src1_sel:BYTE_0
	v_bitop3_b32 v2, v0, s40, v0 bitop3:0x30
	v_and_b32_e32 v18, 1, v2
	v_lshl_add_u64 v[0:1], v[18:19], 0, -1
	v_cmp_ne_u32_e32 vcc, 0, v18
	v_lshlrev_b32_e32 v3, 4, v2
	v_mov_b64_e32 v[12:13], v[36:37]
	v_xor_b32_e32 v1, vcc_hi, v1
	v_xor_b32_e32 v0, vcc_lo, v0
	v_and_b32_e32 v18, exec_hi, v1
	v_and_b32_e32 v34, exec_lo, v0
	v_lshlrev_b32_e32 v1, 30, v2
	v_mov_b32_e32 v0, v19
	v_cmp_gt_i64_e32 vcc, 0, v[0:1]
	v_not_b32_e32 v0, v1
	v_ashrrev_i32_e32 v0, 31, v0
	v_xor_b32_e32 v1, vcc_hi, v0
	v_xor_b32_e32 v0, vcc_lo, v0
	v_and_b32_e32 v18, v18, v1
	v_and_b32_e32 v34, v34, v0
	v_lshlrev_b32_e32 v1, 29, v2
	v_mov_b32_e32 v0, v19
	v_cmp_gt_i64_e32 vcc, 0, v[0:1]
	v_not_b32_e32 v0, v1
	v_ashrrev_i32_e32 v0, 31, v0
	v_xor_b32_e32 v1, vcc_hi, v0
	v_xor_b32_e32 v0, vcc_lo, v0
	v_and_b32_e32 v18, v18, v1
	v_and_b32_e32 v34, v34, v0
	;; [unrolled: 9-line block ×7, first 2 shown]
	v_mbcnt_lo_u32_b32 v2, v0, 0
	v_mbcnt_hi_u32_b32 v34, v1, v2
	v_cmp_eq_u32_e32 vcc, 0, v34
	v_cmp_ne_u64_e64 s[26:27], 0, v[0:1]
	v_mov_b64_e32 v[10:11], v[38:39]
	v_mov_b64_e32 v[6:7], v[42:43]
	;; [unrolled: 1-line block ×3, first 2 shown]
	s_and_b64 s[44:45], s[26:27], vcc
	v_add_u32_e32 v35, v24, v3
	ds_write2_b64 v23, v[14:15], v[16:17] offset0:2 offset1:3
	s_waitcnt lgkmcnt(0)
	s_barrier
	; wave barrier
	s_and_saveexec_b64 s[26:27], s[44:45]
; %bb.20:                               ;   in Loop: Header=BB0_19 Depth=1
	v_bcnt_u32_b32 v0, v0, 0
	v_bcnt_u32_b32 v0, v1, v0
	ds_write_b32 v35, v0 offset:16
; %bb.21:                               ;   in Loop: Header=BB0_19 Depth=1
	s_or_b64 exec, exec, s[26:27]
	s_not_b32 s40, s40
	v_lshrrev_b32_sdwa v0, s34, v25 dst_sel:DWORD dst_unused:UNUSED_PAD src0_sel:DWORD src1_sel:BYTE_1
	v_and_b32_e32 v2, s40, v0
	v_lshlrev_b32_e32 v0, 4, v2
	v_and_b32_e32 v18, 1, v2
	v_add_u32_e32 v37, v24, v0
	v_lshl_add_u64 v[0:1], v[18:19], 0, -1
	v_cmp_ne_u32_e32 vcc, 0, v18
	; wave barrier
	s_nop 1
	v_xor_b32_e32 v1, vcc_hi, v1
	v_xor_b32_e32 v0, vcc_lo, v0
	v_and_b32_e32 v3, exec_hi, v1
	v_and_b32_e32 v18, exec_lo, v0
	v_lshlrev_b32_e32 v1, 30, v2
	v_mov_b32_e32 v0, v19
	v_cmp_gt_i64_e32 vcc, 0, v[0:1]
	v_not_b32_e32 v0, v1
	v_ashrrev_i32_e32 v0, 31, v0
	v_xor_b32_e32 v1, vcc_hi, v0
	v_xor_b32_e32 v0, vcc_lo, v0
	v_and_b32_e32 v3, v3, v1
	v_and_b32_e32 v18, v18, v0
	v_lshlrev_b32_e32 v1, 29, v2
	v_mov_b32_e32 v0, v19
	v_cmp_gt_i64_e32 vcc, 0, v[0:1]
	v_not_b32_e32 v0, v1
	v_ashrrev_i32_e32 v0, 31, v0
	v_xor_b32_e32 v1, vcc_hi, v0
	v_xor_b32_e32 v0, vcc_lo, v0
	v_and_b32_e32 v3, v3, v1
	v_and_b32_e32 v18, v18, v0
	;; [unrolled: 9-line block ×6, first 2 shown]
	v_lshlrev_b32_e32 v1, 24, v2
	v_mov_b32_e32 v0, v19
	v_cmp_gt_i64_e32 vcc, 0, v[0:1]
	v_not_b32_e32 v0, v1
	v_ashrrev_i32_e32 v0, 31, v0
	v_xor_b32_e32 v1, vcc_hi, v0
	v_xor_b32_e32 v0, vcc_lo, v0
	ds_read_b32 v36, v37 offset:16
	v_and_b32_e32 v0, v18, v0
	v_and_b32_e32 v1, v3, v1
	v_mbcnt_lo_u32_b32 v2, v0, 0
	v_mbcnt_hi_u32_b32 v38, v1, v2
	v_cmp_eq_u32_e32 vcc, 0, v38
	v_cmp_ne_u64_e64 s[26:27], 0, v[0:1]
	s_and_b64 s[44:45], s[26:27], vcc
	; wave barrier
	s_and_saveexec_b64 s[26:27], s[44:45]
	s_cbranch_execz .LBB0_23
; %bb.22:                               ;   in Loop: Header=BB0_19 Depth=1
	v_bcnt_u32_b32 v0, v0, 0
	v_bcnt_u32_b32 v0, v1, v0
	s_waitcnt lgkmcnt(0)
	v_add_u32_e32 v0, v36, v0
	ds_write_b32 v37, v0 offset:16
.LBB0_23:                               ;   in Loop: Header=BB0_19 Depth=1
	s_or_b64 exec, exec, s[26:27]
	v_lshrrev_b32_sdwa v0, s34, v25 dst_sel:DWORD dst_unused:UNUSED_PAD src0_sel:DWORD src1_sel:BYTE_2
	v_and_b32_e32 v2, s40, v0
	v_lshlrev_b32_e32 v0, 4, v2
	v_and_b32_e32 v18, 1, v2
	v_add_u32_e32 v40, v24, v0
	v_lshl_add_u64 v[0:1], v[18:19], 0, -1
	v_cmp_ne_u32_e32 vcc, 0, v18
	; wave barrier
	s_nop 1
	v_xor_b32_e32 v1, vcc_hi, v1
	v_xor_b32_e32 v0, vcc_lo, v0
	v_and_b32_e32 v3, exec_hi, v1
	v_and_b32_e32 v18, exec_lo, v0
	v_lshlrev_b32_e32 v1, 30, v2
	v_mov_b32_e32 v0, v19
	v_cmp_gt_i64_e32 vcc, 0, v[0:1]
	v_not_b32_e32 v0, v1
	v_ashrrev_i32_e32 v0, 31, v0
	v_xor_b32_e32 v1, vcc_hi, v0
	v_xor_b32_e32 v0, vcc_lo, v0
	v_and_b32_e32 v3, v3, v1
	v_and_b32_e32 v18, v18, v0
	v_lshlrev_b32_e32 v1, 29, v2
	v_mov_b32_e32 v0, v19
	v_cmp_gt_i64_e32 vcc, 0, v[0:1]
	v_not_b32_e32 v0, v1
	v_ashrrev_i32_e32 v0, 31, v0
	v_xor_b32_e32 v1, vcc_hi, v0
	v_xor_b32_e32 v0, vcc_lo, v0
	v_and_b32_e32 v3, v3, v1
	v_and_b32_e32 v18, v18, v0
	;; [unrolled: 9-line block ×6, first 2 shown]
	v_lshlrev_b32_e32 v1, 24, v2
	v_mov_b32_e32 v0, v19
	v_cmp_gt_i64_e32 vcc, 0, v[0:1]
	v_not_b32_e32 v0, v1
	v_ashrrev_i32_e32 v0, 31, v0
	v_xor_b32_e32 v1, vcc_hi, v0
	v_xor_b32_e32 v0, vcc_lo, v0
	ds_read_b32 v39, v40 offset:16
	v_and_b32_e32 v0, v18, v0
	v_and_b32_e32 v1, v3, v1
	v_mbcnt_lo_u32_b32 v2, v0, 0
	v_mbcnt_hi_u32_b32 v42, v1, v2
	v_cmp_eq_u32_e32 vcc, 0, v42
	v_cmp_ne_u64_e64 s[26:27], 0, v[0:1]
	s_and_b64 s[44:45], s[26:27], vcc
	; wave barrier
	s_and_saveexec_b64 s[26:27], s[44:45]
	s_cbranch_execz .LBB0_25
; %bb.24:                               ;   in Loop: Header=BB0_19 Depth=1
	v_bcnt_u32_b32 v0, v0, 0
	v_bcnt_u32_b32 v0, v1, v0
	s_waitcnt lgkmcnt(0)
	v_add_u32_e32 v0, v39, v0
	ds_write_b32 v40, v0 offset:16
.LBB0_25:                               ;   in Loop: Header=BB0_19 Depth=1
	s_or_b64 exec, exec, s[26:27]
	v_lshrrev_b32_e32 v41, 24, v25
	v_lshrrev_b32_e32 v0, s34, v41
	v_and_b32_e32 v2, s40, v0
	v_lshlrev_b32_e32 v0, 4, v2
	v_and_b32_e32 v18, 1, v2
	v_add_u32_e32 v44, v24, v0
	v_lshl_add_u64 v[0:1], v[18:19], 0, -1
	v_cmp_ne_u32_e32 vcc, 0, v18
	; wave barrier
	s_nop 1
	v_xor_b32_e32 v1, vcc_hi, v1
	v_xor_b32_e32 v0, vcc_lo, v0
	v_and_b32_e32 v3, exec_hi, v1
	v_and_b32_e32 v18, exec_lo, v0
	v_lshlrev_b32_e32 v1, 30, v2
	v_mov_b32_e32 v0, v19
	v_cmp_gt_i64_e32 vcc, 0, v[0:1]
	v_not_b32_e32 v0, v1
	v_ashrrev_i32_e32 v0, 31, v0
	v_xor_b32_e32 v1, vcc_hi, v0
	v_xor_b32_e32 v0, vcc_lo, v0
	v_and_b32_e32 v3, v3, v1
	v_and_b32_e32 v18, v18, v0
	v_lshlrev_b32_e32 v1, 29, v2
	v_mov_b32_e32 v0, v19
	v_cmp_gt_i64_e32 vcc, 0, v[0:1]
	v_not_b32_e32 v0, v1
	v_ashrrev_i32_e32 v0, 31, v0
	v_xor_b32_e32 v1, vcc_hi, v0
	v_xor_b32_e32 v0, vcc_lo, v0
	v_and_b32_e32 v3, v3, v1
	v_and_b32_e32 v18, v18, v0
	;; [unrolled: 9-line block ×6, first 2 shown]
	v_lshlrev_b32_e32 v1, 24, v2
	v_mov_b32_e32 v0, v19
	v_cmp_gt_i64_e32 vcc, 0, v[0:1]
	v_not_b32_e32 v0, v1
	v_ashrrev_i32_e32 v0, 31, v0
	v_xor_b32_e32 v1, vcc_hi, v0
	v_xor_b32_e32 v0, vcc_lo, v0
	ds_read_b32 v43, v44 offset:16
	v_and_b32_e32 v0, v18, v0
	v_and_b32_e32 v1, v3, v1
	v_mbcnt_lo_u32_b32 v2, v0, 0
	v_mbcnt_hi_u32_b32 v45, v1, v2
	v_cmp_eq_u32_e32 vcc, 0, v45
	v_cmp_ne_u64_e64 s[26:27], 0, v[0:1]
	s_and_b64 s[40:41], s[26:27], vcc
	; wave barrier
	s_and_saveexec_b64 s[26:27], s[40:41]
	s_cbranch_execz .LBB0_27
; %bb.26:                               ;   in Loop: Header=BB0_19 Depth=1
	v_bcnt_u32_b32 v0, v0, 0
	v_bcnt_u32_b32 v0, v1, v0
	s_waitcnt lgkmcnt(0)
	v_add_u32_e32 v0, v43, v0
	ds_write_b32 v44, v0 offset:16
.LBB0_27:                               ;   in Loop: Header=BB0_19 Depth=1
	s_or_b64 exec, exec, s[26:27]
	; wave barrier
	s_waitcnt lgkmcnt(0)
	s_barrier
	ds_read2_b64 v[0:3], v23 offset0:2 offset1:3
	s_waitcnt lgkmcnt(0)
	v_add_u32_e32 v18, v1, v0
	v_add3_u32 v3, v18, v2, v3
	s_nop 1
	v_mov_b32_dpp v18, v3 row_shr:1 row_mask:0xf bank_mask:0xf
	v_cndmask_b32_e64 v18, v18, 0, s[0:1]
	v_add_u32_e32 v3, v18, v3
	s_nop 1
	v_mov_b32_dpp v18, v3 row_shr:2 row_mask:0xf bank_mask:0xf
	v_cndmask_b32_e64 v18, 0, v18, s[2:3]
	v_add_u32_e32 v3, v3, v18
	s_nop 1
	v_mov_b32_dpp v18, v3 row_shr:4 row_mask:0xf bank_mask:0xf
	v_cndmask_b32_e64 v18, 0, v18, s[4:5]
	v_add_u32_e32 v3, v3, v18
	s_nop 1
	v_mov_b32_dpp v18, v3 row_shr:8 row_mask:0xf bank_mask:0xf
	v_cndmask_b32_e64 v18, 0, v18, s[6:7]
	v_add_u32_e32 v3, v3, v18
	s_nop 1
	v_mov_b32_dpp v18, v3 row_bcast:15 row_mask:0xf bank_mask:0xf
	v_cndmask_b32_e64 v18, v18, 0, s[8:9]
	v_add_u32_e32 v3, v3, v18
	s_nop 1
	v_mov_b32_dpp v18, v3 row_bcast:31 row_mask:0xf bank_mask:0xf
	v_cndmask_b32_e64 v18, 0, v18, s[10:11]
	v_add_u32_e32 v3, v3, v18
	s_and_saveexec_b64 s[26:27], s[12:13]
; %bb.28:                               ;   in Loop: Header=BB0_19 Depth=1
	ds_write_b32 v27, v3
; %bb.29:                               ;   in Loop: Header=BB0_19 Depth=1
	s_or_b64 exec, exec, s[26:27]
	s_waitcnt lgkmcnt(0)
	s_barrier
	s_and_saveexec_b64 s[26:27], s[14:15]
	s_cbranch_execz .LBB0_31
; %bb.30:                               ;   in Loop: Header=BB0_19 Depth=1
	ds_read_b32 v18, v29
	s_waitcnt lgkmcnt(0)
	s_nop 0
	v_mov_b32_dpp v46, v18 row_shr:1 row_mask:0xf bank_mask:0xf
	v_cndmask_b32_e64 v46, v46, 0, s[22:23]
	v_add_u32_e32 v18, v46, v18
	s_nop 1
	v_mov_b32_dpp v46, v18 row_shr:2 row_mask:0xf bank_mask:0xf
	v_cndmask_b32_e64 v46, 0, v46, s[24:25]
	v_add_u32_e32 v18, v18, v46
	ds_write_b32 v29, v18
.LBB0_31:                               ;   in Loop: Header=BB0_19 Depth=1
	s_or_b64 exec, exec, s[26:27]
	v_mov_b32_e32 v18, 0
	s_waitcnt lgkmcnt(0)
	s_barrier
	s_and_saveexec_b64 s[26:27], s[16:17]
; %bb.32:                               ;   in Loop: Header=BB0_19 Depth=1
	ds_read_b32 v18, v28
; %bb.33:                               ;   in Loop: Header=BB0_19 Depth=1
	s_or_b64 exec, exec, s[26:27]
	s_waitcnt lgkmcnt(0)
	v_add_u32_e32 v3, v18, v3
	ds_bpermute_b32 v47, v26, v3
	s_add_i32 s34, s34, 8
	v_mov_b32_e32 v3, v25
	v_lshrrev_b32_e32 v46, 8, v25
	s_cmp_ge_u32 s34, s36
	s_waitcnt lgkmcnt(0)
	v_cndmask_b32_e64 v18, v47, v18, s[18:19]
	v_cndmask_b32_e64 v48, v18, 0, s[20:21]
	v_add_u32_e32 v49, v48, v0
	v_add_u32_e32 v0, v49, v1
	;; [unrolled: 1-line block ×3, first 2 shown]
	ds_write2_b64 v23, v[48:49], v[0:1] offset0:2 offset1:3
	s_waitcnt lgkmcnt(0)
	s_barrier
	ds_read_b32 v0, v35 offset:16
	ds_read_b32 v2, v37 offset:16
	;; [unrolled: 1-line block ×4, first 2 shown]
	v_lshrrev_b32_e32 v35, 16, v25
	s_waitcnt lgkmcnt(3)
	v_add_u32_e32 v1, v0, v34
	s_waitcnt lgkmcnt(2)
	v_add3_u32 v18, v38, v36, v2
	s_waitcnt lgkmcnt(1)
	v_add3_u32 v2, v42, v39, v37
	;; [unrolled: 2-line block ×3, first 2 shown]
	v_mul_lo_u32 v34, v1, 7
	s_mov_b64 s[26:27], -1
	v_readfirstlane_b32 s40, v0
                                        ; implicit-def: $vgpr36_vgpr37
                                        ; implicit-def: $vgpr38_vgpr39
                                        ; implicit-def: $vgpr42_vgpr43
                                        ; implicit-def: $vgpr44_vgpr45
	s_cbranch_scc1 .LBB0_18
; %bb.34:                               ;   in Loop: Header=BB0_19 Depth=1
	s_barrier
	ds_write_b8 v1, v25
	ds_write_b8 v18, v46
	;; [unrolled: 1-line block ×4, first 2 shown]
	s_waitcnt lgkmcnt(0)
	s_barrier
	ds_read_u8 v25, v9
	ds_read_u8 v36, v20
	;; [unrolled: 1-line block ×4, first 2 shown]
	s_waitcnt lgkmcnt(0)
	s_barrier
	v_perm_b32 v25, v37, v25, s37
	v_perm_b32 v36, v36, v38, s37
	v_lshl_or_b32 v25, v36, 16, v25
	v_add_u32_e32 v36, v1, v34
	ds_write_b64 v36, v[12:13]
	v_mad_u64_u32 v[36:37], s[26:27], v18, 7, v[18:19]
	ds_write_b64 v36, v[10:11]
	v_mad_u64_u32 v[36:37], s[26:27], v2, 7, v[2:3]
	;; [unrolled: 2-line block ×3, first 2 shown]
	ds_write_b64 v36, v[4:5]
	s_waitcnt lgkmcnt(0)
	s_barrier
	ds_read_b64 v[36:37], v30
	ds_read_b64 v[38:39], v31
	ds_read_b64 v[42:43], v32
	ds_read_b64 v[44:45], v33
	s_add_i32 s40, s35, -8
	s_mov_b64 s[26:27], 0
	s_waitcnt lgkmcnt(0)
	s_barrier
	s_branch .LBB0_18
.LBB0_35:
	s_barrier
	ds_write_b8 v1, v3
	ds_write_b8 v18, v46
	;; [unrolled: 1-line block ×4, first 2 shown]
	s_waitcnt lgkmcnt(0)
	s_barrier
	ds_read_u8 v9, v8
	ds_read_u8 v14, v8 offset:256
	ds_read_u8 v15, v8 offset:512
	ds_read_u8 v19, v8 offset:768
	v_add_u32_e32 v1, v1, v34
	s_waitcnt lgkmcnt(0)
	s_barrier
	ds_write_b64 v1, v[12:13]
	v_mad_u64_u32 v[12:13], s[0:1], v18, 7, v[18:19]
	v_mad_u64_u32 v[2:3], s[0:1], v2, 7, v[2:3]
	;; [unrolled: 1-line block ×3, first 2 shown]
	ds_write_b64 v12, v[10:11]
	ds_write_b64 v2, v[6:7]
	;; [unrolled: 1-line block ×3, first 2 shown]
	v_mad_u32_u24 v0, v8, 7, v8
	s_waitcnt lgkmcnt(0)
	s_barrier
	ds_read2st64_b64 v[4:7], v0 offset1:4
	ds_read2st64_b64 v[0:3], v0 offset0:8 offset1:12
	s_add_u32 s0, s38, s28
	v_xor_b32_e32 v17, -1, v9
	s_addc_u32 s1, s39, 0
	v_mov_b32_e32 v9, 0
	v_xor_b32_e32 v16, -1, v14
	v_xor_b32_e32 v15, -1, v15
	;; [unrolled: 1-line block ×3, first 2 shown]
	v_lshl_add_u64 v[12:13], s[0:1], 0, v[8:9]
	s_andn2_b64 vcc, exec, s[30:31]
	v_lshlrev_b32_e32 v10, 3, v8
	s_cbranch_vccnz .LBB0_37
; %bb.36:
	s_lshl_b64 s[0:1], s[28:29], 3
	s_add_u32 s0, s42, s0
	s_addc_u32 s1, s43, s1
	v_mov_b32_e32 v11, v9
	v_lshl_add_u64 v[18:19], s[0:1], 0, v[10:11]
	v_add_co_u32_e32 v18, vcc, 0x1000, v18
	global_store_byte v[12:13], v17, off
	global_store_byte v[12:13], v16, off offset:256
	global_store_byte v[12:13], v15, off offset:512
	;; [unrolled: 1-line block ×3, first 2 shown]
	s_waitcnt lgkmcnt(1)
	global_store_dwordx2 v10, v[4:5], s[0:1]
	global_store_dwordx2 v10, v[6:7], s[0:1] offset:2048
	v_addc_co_u32_e32 v19, vcc, 0, v19, vcc
	s_mov_b64 s[4:5], -1
	s_waitcnt lgkmcnt(0)
	global_store_dwordx2 v[18:19], v[0:1], off
	s_cbranch_execz .LBB0_38
	s_branch .LBB0_51
.LBB0_37:
	s_mov_b64 s[4:5], 0
.LBB0_38:
	v_cmp_gt_u32_e32 vcc, s33, v8
	s_and_saveexec_b64 s[0:1], vcc
	s_cbranch_execz .LBB0_40
; %bb.39:
	global_store_byte v[12:13], v17, off
.LBB0_40:
	s_or_b64 exec, exec, s[0:1]
	v_add_u32_e32 v9, 0x100, v8
	v_cmp_gt_u32_e64 s[0:1], s33, v9
	s_and_saveexec_b64 s[2:3], s[0:1]
	s_cbranch_execz .LBB0_42
; %bb.41:
	global_store_byte v[12:13], v16, off offset:256
.LBB0_42:
	s_or_b64 exec, exec, s[2:3]
	v_add_u32_e32 v9, 0x200, v8
	v_cmp_gt_u32_e64 s[2:3], s33, v9
	s_and_saveexec_b64 s[4:5], s[2:3]
	s_cbranch_execz .LBB0_44
; %bb.43:
	global_store_byte v[12:13], v15, off offset:512
.LBB0_44:
	;; [unrolled: 8-line block ×3, first 2 shown]
	s_or_b64 exec, exec, s[6:7]
	s_lshl_b64 s[6:7], s[28:29], 3
	s_add_u32 s6, s42, s6
	s_addc_u32 s7, s43, s7
	v_mov_b32_e32 v11, 0
	v_lshl_add_u64 v[8:9], s[6:7], 0, v[10:11]
	s_and_saveexec_b64 s[6:7], vcc
	s_cbranch_execnz .LBB0_57
; %bb.47:
	s_or_b64 exec, exec, s[6:7]
	s_and_saveexec_b64 s[6:7], s[0:1]
	s_cbranch_execnz .LBB0_58
.LBB0_48:
	s_or_b64 exec, exec, s[6:7]
	s_and_saveexec_b64 s[0:1], s[2:3]
	s_cbranch_execz .LBB0_50
.LBB0_49:
	s_waitcnt lgkmcnt(1)
	v_add_co_u32_e32 v4, vcc, 0x1000, v8
	s_nop 1
	v_addc_co_u32_e32 v5, vcc, 0, v9, vcc
	s_waitcnt lgkmcnt(0)
	global_store_dwordx2 v[4:5], v[0:1], off
.LBB0_50:
	s_or_b64 exec, exec, s[0:1]
.LBB0_51:
	s_and_saveexec_b64 s[0:1], s[4:5]
	s_cbranch_execnz .LBB0_53
; %bb.52:
	s_endpgm
.LBB0_53:
	s_lshl_b64 s[0:1], s[28:29], 3
	s_add_u32 s0, s42, s0
	s_addc_u32 s1, s43, s1
	v_mov_b32_e32 v11, 0
	s_waitcnt lgkmcnt(0)
	v_lshl_add_u64 v[0:1], s[0:1], 0, v[10:11]
	v_add_co_u32_e32 v0, vcc, 0x1000, v0
	s_nop 1
	v_addc_co_u32_e32 v1, vcc, 0, v1, vcc
	global_store_dwordx2 v[0:1], v[2:3], off offset:2048
	s_endpgm
.LBB0_54:
	global_load_dwordx2 v[36:37], v[4:5], off
	s_or_b64 exec, exec, s[8:9]
                                        ; implicit-def: $vgpr38_vgpr39
	s_and_saveexec_b64 s[8:9], s[2:3]
	s_cbranch_execz .LBB0_13
.LBB0_55:
	global_load_dwordx2 v[38:39], v[4:5], off offset:512
	s_or_b64 exec, exec, s[8:9]
                                        ; implicit-def: $vgpr42_vgpr43
	s_and_saveexec_b64 s[2:3], s[4:5]
	s_cbranch_execz .LBB0_14
.LBB0_56:
	global_load_dwordx2 v[42:43], v[4:5], off offset:1024
	s_or_b64 exec, exec, s[2:3]
                                        ; implicit-def: $vgpr44_vgpr45
	s_and_saveexec_b64 s[2:3], s[6:7]
	s_cbranch_execnz .LBB0_15
	s_branch .LBB0_16
.LBB0_57:
	s_waitcnt lgkmcnt(1)
	global_store_dwordx2 v[8:9], v[4:5], off
	s_or_b64 exec, exec, s[6:7]
	s_and_saveexec_b64 s[6:7], s[0:1]
	s_cbranch_execz .LBB0_48
.LBB0_58:
	s_waitcnt lgkmcnt(1)
	global_store_dwordx2 v[8:9], v[6:7], off offset:2048
	s_or_b64 exec, exec, s[6:7]
	s_and_saveexec_b64 s[0:1], s[2:3]
	s_cbranch_execnz .LBB0_49
	s_branch .LBB0_50
	.section	.rodata,"a",@progbits
	.p2align	6, 0x0
	.amdhsa_kernel _ZN7rocprim17ROCPRIM_304000_NS6detail28radix_sort_block_sort_kernelINS1_36wrapped_radix_sort_block_sort_configINS0_13kernel_configILj256ELj4ELj4294967295EEEhN2at4cuda3cub6detail10OpaqueTypeILi8EEEEELb1EPKhPhPKSB_PSB_NS0_19identity_decomposerEEEvT1_T2_T3_T4_jT5_jj
		.amdhsa_group_segment_fixed_size 8192
		.amdhsa_private_segment_fixed_size 0
		.amdhsa_kernarg_size 304
		.amdhsa_user_sgpr_count 2
		.amdhsa_user_sgpr_dispatch_ptr 0
		.amdhsa_user_sgpr_queue_ptr 0
		.amdhsa_user_sgpr_kernarg_segment_ptr 1
		.amdhsa_user_sgpr_dispatch_id 0
		.amdhsa_user_sgpr_kernarg_preload_length 0
		.amdhsa_user_sgpr_kernarg_preload_offset 0
		.amdhsa_user_sgpr_private_segment_size 0
		.amdhsa_uses_dynamic_stack 0
		.amdhsa_enable_private_segment 0
		.amdhsa_system_sgpr_workgroup_id_x 1
		.amdhsa_system_sgpr_workgroup_id_y 0
		.amdhsa_system_sgpr_workgroup_id_z 0
		.amdhsa_system_sgpr_workgroup_info 0
		.amdhsa_system_vgpr_workitem_id 2
		.amdhsa_next_free_vgpr 50
		.amdhsa_next_free_sgpr 46
		.amdhsa_accum_offset 52
		.amdhsa_reserve_vcc 1
		.amdhsa_float_round_mode_32 0
		.amdhsa_float_round_mode_16_64 0
		.amdhsa_float_denorm_mode_32 3
		.amdhsa_float_denorm_mode_16_64 3
		.amdhsa_dx10_clamp 1
		.amdhsa_ieee_mode 1
		.amdhsa_fp16_overflow 0
		.amdhsa_tg_split 0
		.amdhsa_exception_fp_ieee_invalid_op 0
		.amdhsa_exception_fp_denorm_src 0
		.amdhsa_exception_fp_ieee_div_zero 0
		.amdhsa_exception_fp_ieee_overflow 0
		.amdhsa_exception_fp_ieee_underflow 0
		.amdhsa_exception_fp_ieee_inexact 0
		.amdhsa_exception_int_div_zero 0
	.end_amdhsa_kernel
	.section	.text._ZN7rocprim17ROCPRIM_304000_NS6detail28radix_sort_block_sort_kernelINS1_36wrapped_radix_sort_block_sort_configINS0_13kernel_configILj256ELj4ELj4294967295EEEhN2at4cuda3cub6detail10OpaqueTypeILi8EEEEELb1EPKhPhPKSB_PSB_NS0_19identity_decomposerEEEvT1_T2_T3_T4_jT5_jj,"axG",@progbits,_ZN7rocprim17ROCPRIM_304000_NS6detail28radix_sort_block_sort_kernelINS1_36wrapped_radix_sort_block_sort_configINS0_13kernel_configILj256ELj4ELj4294967295EEEhN2at4cuda3cub6detail10OpaqueTypeILi8EEEEELb1EPKhPhPKSB_PSB_NS0_19identity_decomposerEEEvT1_T2_T3_T4_jT5_jj,comdat
.Lfunc_end0:
	.size	_ZN7rocprim17ROCPRIM_304000_NS6detail28radix_sort_block_sort_kernelINS1_36wrapped_radix_sort_block_sort_configINS0_13kernel_configILj256ELj4ELj4294967295EEEhN2at4cuda3cub6detail10OpaqueTypeILi8EEEEELb1EPKhPhPKSB_PSB_NS0_19identity_decomposerEEEvT1_T2_T3_T4_jT5_jj, .Lfunc_end0-_ZN7rocprim17ROCPRIM_304000_NS6detail28radix_sort_block_sort_kernelINS1_36wrapped_radix_sort_block_sort_configINS0_13kernel_configILj256ELj4ELj4294967295EEEhN2at4cuda3cub6detail10OpaqueTypeILi8EEEEELb1EPKhPhPKSB_PSB_NS0_19identity_decomposerEEEvT1_T2_T3_T4_jT5_jj
                                        ; -- End function
	.set _ZN7rocprim17ROCPRIM_304000_NS6detail28radix_sort_block_sort_kernelINS1_36wrapped_radix_sort_block_sort_configINS0_13kernel_configILj256ELj4ELj4294967295EEEhN2at4cuda3cub6detail10OpaqueTypeILi8EEEEELb1EPKhPhPKSB_PSB_NS0_19identity_decomposerEEEvT1_T2_T3_T4_jT5_jj.num_vgpr, 50
	.set _ZN7rocprim17ROCPRIM_304000_NS6detail28radix_sort_block_sort_kernelINS1_36wrapped_radix_sort_block_sort_configINS0_13kernel_configILj256ELj4ELj4294967295EEEhN2at4cuda3cub6detail10OpaqueTypeILi8EEEEELb1EPKhPhPKSB_PSB_NS0_19identity_decomposerEEEvT1_T2_T3_T4_jT5_jj.num_agpr, 0
	.set _ZN7rocprim17ROCPRIM_304000_NS6detail28radix_sort_block_sort_kernelINS1_36wrapped_radix_sort_block_sort_configINS0_13kernel_configILj256ELj4ELj4294967295EEEhN2at4cuda3cub6detail10OpaqueTypeILi8EEEEELb1EPKhPhPKSB_PSB_NS0_19identity_decomposerEEEvT1_T2_T3_T4_jT5_jj.numbered_sgpr, 46
	.set _ZN7rocprim17ROCPRIM_304000_NS6detail28radix_sort_block_sort_kernelINS1_36wrapped_radix_sort_block_sort_configINS0_13kernel_configILj256ELj4ELj4294967295EEEhN2at4cuda3cub6detail10OpaqueTypeILi8EEEEELb1EPKhPhPKSB_PSB_NS0_19identity_decomposerEEEvT1_T2_T3_T4_jT5_jj.num_named_barrier, 0
	.set _ZN7rocprim17ROCPRIM_304000_NS6detail28radix_sort_block_sort_kernelINS1_36wrapped_radix_sort_block_sort_configINS0_13kernel_configILj256ELj4ELj4294967295EEEhN2at4cuda3cub6detail10OpaqueTypeILi8EEEEELb1EPKhPhPKSB_PSB_NS0_19identity_decomposerEEEvT1_T2_T3_T4_jT5_jj.private_seg_size, 0
	.set _ZN7rocprim17ROCPRIM_304000_NS6detail28radix_sort_block_sort_kernelINS1_36wrapped_radix_sort_block_sort_configINS0_13kernel_configILj256ELj4ELj4294967295EEEhN2at4cuda3cub6detail10OpaqueTypeILi8EEEEELb1EPKhPhPKSB_PSB_NS0_19identity_decomposerEEEvT1_T2_T3_T4_jT5_jj.uses_vcc, 1
	.set _ZN7rocprim17ROCPRIM_304000_NS6detail28radix_sort_block_sort_kernelINS1_36wrapped_radix_sort_block_sort_configINS0_13kernel_configILj256ELj4ELj4294967295EEEhN2at4cuda3cub6detail10OpaqueTypeILi8EEEEELb1EPKhPhPKSB_PSB_NS0_19identity_decomposerEEEvT1_T2_T3_T4_jT5_jj.uses_flat_scratch, 0
	.set _ZN7rocprim17ROCPRIM_304000_NS6detail28radix_sort_block_sort_kernelINS1_36wrapped_radix_sort_block_sort_configINS0_13kernel_configILj256ELj4ELj4294967295EEEhN2at4cuda3cub6detail10OpaqueTypeILi8EEEEELb1EPKhPhPKSB_PSB_NS0_19identity_decomposerEEEvT1_T2_T3_T4_jT5_jj.has_dyn_sized_stack, 0
	.set _ZN7rocprim17ROCPRIM_304000_NS6detail28radix_sort_block_sort_kernelINS1_36wrapped_radix_sort_block_sort_configINS0_13kernel_configILj256ELj4ELj4294967295EEEhN2at4cuda3cub6detail10OpaqueTypeILi8EEEEELb1EPKhPhPKSB_PSB_NS0_19identity_decomposerEEEvT1_T2_T3_T4_jT5_jj.has_recursion, 0
	.set _ZN7rocprim17ROCPRIM_304000_NS6detail28radix_sort_block_sort_kernelINS1_36wrapped_radix_sort_block_sort_configINS0_13kernel_configILj256ELj4ELj4294967295EEEhN2at4cuda3cub6detail10OpaqueTypeILi8EEEEELb1EPKhPhPKSB_PSB_NS0_19identity_decomposerEEEvT1_T2_T3_T4_jT5_jj.has_indirect_call, 0
	.section	.AMDGPU.csdata,"",@progbits
; Kernel info:
; codeLenInByte = 3988
; TotalNumSgprs: 52
; NumVgprs: 50
; NumAgprs: 0
; TotalNumVgprs: 50
; ScratchSize: 0
; MemoryBound: 0
; FloatMode: 240
; IeeeMode: 1
; LDSByteSize: 8192 bytes/workgroup (compile time only)
; SGPRBlocks: 6
; VGPRBlocks: 6
; NumSGPRsForWavesPerEU: 52
; NumVGPRsForWavesPerEU: 50
; AccumOffset: 52
; Occupancy: 8
; WaveLimiterHint : 1
; COMPUTE_PGM_RSRC2:SCRATCH_EN: 0
; COMPUTE_PGM_RSRC2:USER_SGPR: 2
; COMPUTE_PGM_RSRC2:TRAP_HANDLER: 0
; COMPUTE_PGM_RSRC2:TGID_X_EN: 1
; COMPUTE_PGM_RSRC2:TGID_Y_EN: 0
; COMPUTE_PGM_RSRC2:TGID_Z_EN: 0
; COMPUTE_PGM_RSRC2:TIDIG_COMP_CNT: 2
; COMPUTE_PGM_RSRC3_GFX90A:ACCUM_OFFSET: 12
; COMPUTE_PGM_RSRC3_GFX90A:TG_SPLIT: 0
	.section	.text._ZN7rocprim17ROCPRIM_304000_NS6detail39device_merge_sort_compile_time_verifierINS1_36wrapped_merge_sort_block_sort_configINS1_28merge_sort_block_sort_configILj256ELj4ELNS0_20block_sort_algorithmE0EEEhN2at4cuda3cub6detail10OpaqueTypeILi8EEEEENS1_37wrapped_merge_sort_block_merge_configINS0_14default_configEhSC_EEEEvv,"axG",@progbits,_ZN7rocprim17ROCPRIM_304000_NS6detail39device_merge_sort_compile_time_verifierINS1_36wrapped_merge_sort_block_sort_configINS1_28merge_sort_block_sort_configILj256ELj4ELNS0_20block_sort_algorithmE0EEEhN2at4cuda3cub6detail10OpaqueTypeILi8EEEEENS1_37wrapped_merge_sort_block_merge_configINS0_14default_configEhSC_EEEEvv,comdat
	.protected	_ZN7rocprim17ROCPRIM_304000_NS6detail39device_merge_sort_compile_time_verifierINS1_36wrapped_merge_sort_block_sort_configINS1_28merge_sort_block_sort_configILj256ELj4ELNS0_20block_sort_algorithmE0EEEhN2at4cuda3cub6detail10OpaqueTypeILi8EEEEENS1_37wrapped_merge_sort_block_merge_configINS0_14default_configEhSC_EEEEvv ; -- Begin function _ZN7rocprim17ROCPRIM_304000_NS6detail39device_merge_sort_compile_time_verifierINS1_36wrapped_merge_sort_block_sort_configINS1_28merge_sort_block_sort_configILj256ELj4ELNS0_20block_sort_algorithmE0EEEhN2at4cuda3cub6detail10OpaqueTypeILi8EEEEENS1_37wrapped_merge_sort_block_merge_configINS0_14default_configEhSC_EEEEvv
	.globl	_ZN7rocprim17ROCPRIM_304000_NS6detail39device_merge_sort_compile_time_verifierINS1_36wrapped_merge_sort_block_sort_configINS1_28merge_sort_block_sort_configILj256ELj4ELNS0_20block_sort_algorithmE0EEEhN2at4cuda3cub6detail10OpaqueTypeILi8EEEEENS1_37wrapped_merge_sort_block_merge_configINS0_14default_configEhSC_EEEEvv
	.p2align	8
	.type	_ZN7rocprim17ROCPRIM_304000_NS6detail39device_merge_sort_compile_time_verifierINS1_36wrapped_merge_sort_block_sort_configINS1_28merge_sort_block_sort_configILj256ELj4ELNS0_20block_sort_algorithmE0EEEhN2at4cuda3cub6detail10OpaqueTypeILi8EEEEENS1_37wrapped_merge_sort_block_merge_configINS0_14default_configEhSC_EEEEvv,@function
_ZN7rocprim17ROCPRIM_304000_NS6detail39device_merge_sort_compile_time_verifierINS1_36wrapped_merge_sort_block_sort_configINS1_28merge_sort_block_sort_configILj256ELj4ELNS0_20block_sort_algorithmE0EEEhN2at4cuda3cub6detail10OpaqueTypeILi8EEEEENS1_37wrapped_merge_sort_block_merge_configINS0_14default_configEhSC_EEEEvv: ; @_ZN7rocprim17ROCPRIM_304000_NS6detail39device_merge_sort_compile_time_verifierINS1_36wrapped_merge_sort_block_sort_configINS1_28merge_sort_block_sort_configILj256ELj4ELNS0_20block_sort_algorithmE0EEEhN2at4cuda3cub6detail10OpaqueTypeILi8EEEEENS1_37wrapped_merge_sort_block_merge_configINS0_14default_configEhSC_EEEEvv
; %bb.0:
	s_endpgm
	.section	.rodata,"a",@progbits
	.p2align	6, 0x0
	.amdhsa_kernel _ZN7rocprim17ROCPRIM_304000_NS6detail39device_merge_sort_compile_time_verifierINS1_36wrapped_merge_sort_block_sort_configINS1_28merge_sort_block_sort_configILj256ELj4ELNS0_20block_sort_algorithmE0EEEhN2at4cuda3cub6detail10OpaqueTypeILi8EEEEENS1_37wrapped_merge_sort_block_merge_configINS0_14default_configEhSC_EEEEvv
		.amdhsa_group_segment_fixed_size 0
		.amdhsa_private_segment_fixed_size 0
		.amdhsa_kernarg_size 0
		.amdhsa_user_sgpr_count 0
		.amdhsa_user_sgpr_dispatch_ptr 0
		.amdhsa_user_sgpr_queue_ptr 0
		.amdhsa_user_sgpr_kernarg_segment_ptr 0
		.amdhsa_user_sgpr_dispatch_id 0
		.amdhsa_user_sgpr_kernarg_preload_length 0
		.amdhsa_user_sgpr_kernarg_preload_offset 0
		.amdhsa_user_sgpr_private_segment_size 0
		.amdhsa_uses_dynamic_stack 0
		.amdhsa_enable_private_segment 0
		.amdhsa_system_sgpr_workgroup_id_x 1
		.amdhsa_system_sgpr_workgroup_id_y 0
		.amdhsa_system_sgpr_workgroup_id_z 0
		.amdhsa_system_sgpr_workgroup_info 0
		.amdhsa_system_vgpr_workitem_id 0
		.amdhsa_next_free_vgpr 1
		.amdhsa_next_free_sgpr 0
		.amdhsa_accum_offset 4
		.amdhsa_reserve_vcc 0
		.amdhsa_float_round_mode_32 0
		.amdhsa_float_round_mode_16_64 0
		.amdhsa_float_denorm_mode_32 3
		.amdhsa_float_denorm_mode_16_64 3
		.amdhsa_dx10_clamp 1
		.amdhsa_ieee_mode 1
		.amdhsa_fp16_overflow 0
		.amdhsa_tg_split 0
		.amdhsa_exception_fp_ieee_invalid_op 0
		.amdhsa_exception_fp_denorm_src 0
		.amdhsa_exception_fp_ieee_div_zero 0
		.amdhsa_exception_fp_ieee_overflow 0
		.amdhsa_exception_fp_ieee_underflow 0
		.amdhsa_exception_fp_ieee_inexact 0
		.amdhsa_exception_int_div_zero 0
	.end_amdhsa_kernel
	.section	.text._ZN7rocprim17ROCPRIM_304000_NS6detail39device_merge_sort_compile_time_verifierINS1_36wrapped_merge_sort_block_sort_configINS1_28merge_sort_block_sort_configILj256ELj4ELNS0_20block_sort_algorithmE0EEEhN2at4cuda3cub6detail10OpaqueTypeILi8EEEEENS1_37wrapped_merge_sort_block_merge_configINS0_14default_configEhSC_EEEEvv,"axG",@progbits,_ZN7rocprim17ROCPRIM_304000_NS6detail39device_merge_sort_compile_time_verifierINS1_36wrapped_merge_sort_block_sort_configINS1_28merge_sort_block_sort_configILj256ELj4ELNS0_20block_sort_algorithmE0EEEhN2at4cuda3cub6detail10OpaqueTypeILi8EEEEENS1_37wrapped_merge_sort_block_merge_configINS0_14default_configEhSC_EEEEvv,comdat
.Lfunc_end1:
	.size	_ZN7rocprim17ROCPRIM_304000_NS6detail39device_merge_sort_compile_time_verifierINS1_36wrapped_merge_sort_block_sort_configINS1_28merge_sort_block_sort_configILj256ELj4ELNS0_20block_sort_algorithmE0EEEhN2at4cuda3cub6detail10OpaqueTypeILi8EEEEENS1_37wrapped_merge_sort_block_merge_configINS0_14default_configEhSC_EEEEvv, .Lfunc_end1-_ZN7rocprim17ROCPRIM_304000_NS6detail39device_merge_sort_compile_time_verifierINS1_36wrapped_merge_sort_block_sort_configINS1_28merge_sort_block_sort_configILj256ELj4ELNS0_20block_sort_algorithmE0EEEhN2at4cuda3cub6detail10OpaqueTypeILi8EEEEENS1_37wrapped_merge_sort_block_merge_configINS0_14default_configEhSC_EEEEvv
                                        ; -- End function
	.set _ZN7rocprim17ROCPRIM_304000_NS6detail39device_merge_sort_compile_time_verifierINS1_36wrapped_merge_sort_block_sort_configINS1_28merge_sort_block_sort_configILj256ELj4ELNS0_20block_sort_algorithmE0EEEhN2at4cuda3cub6detail10OpaqueTypeILi8EEEEENS1_37wrapped_merge_sort_block_merge_configINS0_14default_configEhSC_EEEEvv.num_vgpr, 0
	.set _ZN7rocprim17ROCPRIM_304000_NS6detail39device_merge_sort_compile_time_verifierINS1_36wrapped_merge_sort_block_sort_configINS1_28merge_sort_block_sort_configILj256ELj4ELNS0_20block_sort_algorithmE0EEEhN2at4cuda3cub6detail10OpaqueTypeILi8EEEEENS1_37wrapped_merge_sort_block_merge_configINS0_14default_configEhSC_EEEEvv.num_agpr, 0
	.set _ZN7rocprim17ROCPRIM_304000_NS6detail39device_merge_sort_compile_time_verifierINS1_36wrapped_merge_sort_block_sort_configINS1_28merge_sort_block_sort_configILj256ELj4ELNS0_20block_sort_algorithmE0EEEhN2at4cuda3cub6detail10OpaqueTypeILi8EEEEENS1_37wrapped_merge_sort_block_merge_configINS0_14default_configEhSC_EEEEvv.numbered_sgpr, 0
	.set _ZN7rocprim17ROCPRIM_304000_NS6detail39device_merge_sort_compile_time_verifierINS1_36wrapped_merge_sort_block_sort_configINS1_28merge_sort_block_sort_configILj256ELj4ELNS0_20block_sort_algorithmE0EEEhN2at4cuda3cub6detail10OpaqueTypeILi8EEEEENS1_37wrapped_merge_sort_block_merge_configINS0_14default_configEhSC_EEEEvv.num_named_barrier, 0
	.set _ZN7rocprim17ROCPRIM_304000_NS6detail39device_merge_sort_compile_time_verifierINS1_36wrapped_merge_sort_block_sort_configINS1_28merge_sort_block_sort_configILj256ELj4ELNS0_20block_sort_algorithmE0EEEhN2at4cuda3cub6detail10OpaqueTypeILi8EEEEENS1_37wrapped_merge_sort_block_merge_configINS0_14default_configEhSC_EEEEvv.private_seg_size, 0
	.set _ZN7rocprim17ROCPRIM_304000_NS6detail39device_merge_sort_compile_time_verifierINS1_36wrapped_merge_sort_block_sort_configINS1_28merge_sort_block_sort_configILj256ELj4ELNS0_20block_sort_algorithmE0EEEhN2at4cuda3cub6detail10OpaqueTypeILi8EEEEENS1_37wrapped_merge_sort_block_merge_configINS0_14default_configEhSC_EEEEvv.uses_vcc, 0
	.set _ZN7rocprim17ROCPRIM_304000_NS6detail39device_merge_sort_compile_time_verifierINS1_36wrapped_merge_sort_block_sort_configINS1_28merge_sort_block_sort_configILj256ELj4ELNS0_20block_sort_algorithmE0EEEhN2at4cuda3cub6detail10OpaqueTypeILi8EEEEENS1_37wrapped_merge_sort_block_merge_configINS0_14default_configEhSC_EEEEvv.uses_flat_scratch, 0
	.set _ZN7rocprim17ROCPRIM_304000_NS6detail39device_merge_sort_compile_time_verifierINS1_36wrapped_merge_sort_block_sort_configINS1_28merge_sort_block_sort_configILj256ELj4ELNS0_20block_sort_algorithmE0EEEhN2at4cuda3cub6detail10OpaqueTypeILi8EEEEENS1_37wrapped_merge_sort_block_merge_configINS0_14default_configEhSC_EEEEvv.has_dyn_sized_stack, 0
	.set _ZN7rocprim17ROCPRIM_304000_NS6detail39device_merge_sort_compile_time_verifierINS1_36wrapped_merge_sort_block_sort_configINS1_28merge_sort_block_sort_configILj256ELj4ELNS0_20block_sort_algorithmE0EEEhN2at4cuda3cub6detail10OpaqueTypeILi8EEEEENS1_37wrapped_merge_sort_block_merge_configINS0_14default_configEhSC_EEEEvv.has_recursion, 0
	.set _ZN7rocprim17ROCPRIM_304000_NS6detail39device_merge_sort_compile_time_verifierINS1_36wrapped_merge_sort_block_sort_configINS1_28merge_sort_block_sort_configILj256ELj4ELNS0_20block_sort_algorithmE0EEEhN2at4cuda3cub6detail10OpaqueTypeILi8EEEEENS1_37wrapped_merge_sort_block_merge_configINS0_14default_configEhSC_EEEEvv.has_indirect_call, 0
	.section	.AMDGPU.csdata,"",@progbits
; Kernel info:
; codeLenInByte = 4
; TotalNumSgprs: 6
; NumVgprs: 0
; NumAgprs: 0
; TotalNumVgprs: 0
; ScratchSize: 0
; MemoryBound: 0
; FloatMode: 240
; IeeeMode: 1
; LDSByteSize: 0 bytes/workgroup (compile time only)
; SGPRBlocks: 0
; VGPRBlocks: 0
; NumSGPRsForWavesPerEU: 6
; NumVGPRsForWavesPerEU: 1
; AccumOffset: 4
; Occupancy: 8
; WaveLimiterHint : 0
; COMPUTE_PGM_RSRC2:SCRATCH_EN: 0
; COMPUTE_PGM_RSRC2:USER_SGPR: 0
; COMPUTE_PGM_RSRC2:TRAP_HANDLER: 0
; COMPUTE_PGM_RSRC2:TGID_X_EN: 1
; COMPUTE_PGM_RSRC2:TGID_Y_EN: 0
; COMPUTE_PGM_RSRC2:TGID_Z_EN: 0
; COMPUTE_PGM_RSRC2:TIDIG_COMP_CNT: 0
; COMPUTE_PGM_RSRC3_GFX90A:ACCUM_OFFSET: 0
; COMPUTE_PGM_RSRC3_GFX90A:TG_SPLIT: 0
	.section	.text._ZN7rocprim17ROCPRIM_304000_NS6detail45device_block_merge_mergepath_partition_kernelINS1_37wrapped_merge_sort_block_merge_configINS0_14default_configEhN2at4cuda3cub6detail10OpaqueTypeILi8EEEEEPhjNS1_19radix_merge_compareILb1ELb0EhNS0_19identity_decomposerEEEEEvT0_T1_jPSH_T2_SH_,"axG",@progbits,_ZN7rocprim17ROCPRIM_304000_NS6detail45device_block_merge_mergepath_partition_kernelINS1_37wrapped_merge_sort_block_merge_configINS0_14default_configEhN2at4cuda3cub6detail10OpaqueTypeILi8EEEEEPhjNS1_19radix_merge_compareILb1ELb0EhNS0_19identity_decomposerEEEEEvT0_T1_jPSH_T2_SH_,comdat
	.protected	_ZN7rocprim17ROCPRIM_304000_NS6detail45device_block_merge_mergepath_partition_kernelINS1_37wrapped_merge_sort_block_merge_configINS0_14default_configEhN2at4cuda3cub6detail10OpaqueTypeILi8EEEEEPhjNS1_19radix_merge_compareILb1ELb0EhNS0_19identity_decomposerEEEEEvT0_T1_jPSH_T2_SH_ ; -- Begin function _ZN7rocprim17ROCPRIM_304000_NS6detail45device_block_merge_mergepath_partition_kernelINS1_37wrapped_merge_sort_block_merge_configINS0_14default_configEhN2at4cuda3cub6detail10OpaqueTypeILi8EEEEEPhjNS1_19radix_merge_compareILb1ELb0EhNS0_19identity_decomposerEEEEEvT0_T1_jPSH_T2_SH_
	.globl	_ZN7rocprim17ROCPRIM_304000_NS6detail45device_block_merge_mergepath_partition_kernelINS1_37wrapped_merge_sort_block_merge_configINS0_14default_configEhN2at4cuda3cub6detail10OpaqueTypeILi8EEEEEPhjNS1_19radix_merge_compareILb1ELb0EhNS0_19identity_decomposerEEEEEvT0_T1_jPSH_T2_SH_
	.p2align	8
	.type	_ZN7rocprim17ROCPRIM_304000_NS6detail45device_block_merge_mergepath_partition_kernelINS1_37wrapped_merge_sort_block_merge_configINS0_14default_configEhN2at4cuda3cub6detail10OpaqueTypeILi8EEEEEPhjNS1_19radix_merge_compareILb1ELb0EhNS0_19identity_decomposerEEEEEvT0_T1_jPSH_T2_SH_,@function
_ZN7rocprim17ROCPRIM_304000_NS6detail45device_block_merge_mergepath_partition_kernelINS1_37wrapped_merge_sort_block_merge_configINS0_14default_configEhN2at4cuda3cub6detail10OpaqueTypeILi8EEEEEPhjNS1_19radix_merge_compareILb1ELb0EhNS0_19identity_decomposerEEEEEvT0_T1_jPSH_T2_SH_: ; @_ZN7rocprim17ROCPRIM_304000_NS6detail45device_block_merge_mergepath_partition_kernelINS1_37wrapped_merge_sort_block_merge_configINS0_14default_configEhN2at4cuda3cub6detail10OpaqueTypeILi8EEEEEPhjNS1_19radix_merge_compareILb1ELb0EhNS0_19identity_decomposerEEEEEvT0_T1_jPSH_T2_SH_
; %bb.0:
	s_load_dwordx2 s[4:5], s[0:1], 0x8
	v_lshl_or_b32 v0, s2, 7, v0
	s_waitcnt lgkmcnt(0)
	v_cmp_gt_u32_e32 vcc, s5, v0
	s_and_saveexec_b64 s[2:3], vcc
	s_cbranch_execz .LBB2_6
; %bb.1:
	s_load_dword s2, s[0:1], 0x1c
	s_waitcnt lgkmcnt(0)
	s_lshr_b32 s3, s2, 9
	s_and_b32 s3, s3, 0x7ffffe
	s_add_i32 s5, s3, -1
	s_sub_i32 s3, 0, s3
	v_and_b32_e32 v1, s3, v0
	v_and_b32_e32 v2, s5, v0
	v_lshlrev_b32_e32 v1, 10, v1
	v_lshlrev_b32_e32 v3, 10, v2
	v_min_u32_e32 v2, s4, v1
	v_add_u32_e32 v1, s2, v1
	v_min_u32_e32 v4, s4, v1
	v_add_u32_e32 v1, s2, v4
	v_min_u32_e32 v1, s4, v1
	v_sub_u32_e32 v5, v1, v2
	v_min_u32_e32 v10, v5, v3
	v_sub_u32_e32 v3, v4, v2
	v_sub_u32_e32 v1, v1, v4
	v_sub_u32_e64 v1, v10, v1 clamp
	v_min_u32_e32 v11, v10, v3
	v_cmp_lt_u32_e32 vcc, v1, v11
	s_and_saveexec_b64 s[2:3], vcc
	s_cbranch_execz .LBB2_5
; %bb.2:
	s_load_dwordx2 s[4:5], s[0:1], 0x0
	v_mov_b32_e32 v5, 0
	v_mov_b32_e32 v3, v5
	s_waitcnt lgkmcnt(0)
	v_lshl_add_u64 v[6:7], s[4:5], 0, v[2:3]
	v_lshl_add_u64 v[8:9], s[4:5], 0, v[4:5]
	s_mov_b64 s[4:5], 0
.LBB2_3:                                ; =>This Inner Loop Header: Depth=1
	v_add_u32_e32 v3, v11, v1
	v_lshrrev_b32_e32 v4, 1, v3
	v_mov_b32_e32 v13, v5
	v_xad_u32 v12, v4, -1, v10
	v_lshl_add_u64 v[14:15], v[6:7], 0, v[4:5]
	v_lshl_add_u64 v[12:13], v[8:9], 0, v[12:13]
	global_load_ubyte v3, v[14:15], off
	global_load_ubyte v16, v[12:13], off
	v_add_u32_e32 v12, 1, v4
	s_waitcnt vmcnt(0)
	v_cmp_gt_u16_e32 vcc, v16, v3
	s_nop 1
	v_cndmask_b32_e32 v11, v11, v4, vcc
	v_cndmask_b32_e32 v1, v12, v1, vcc
	v_cmp_ge_u32_e32 vcc, v1, v11
	s_or_b64 s[4:5], vcc, s[4:5]
	s_andn2_b64 exec, exec, s[4:5]
	s_cbranch_execnz .LBB2_3
; %bb.4:
	s_or_b64 exec, exec, s[4:5]
.LBB2_5:
	s_or_b64 exec, exec, s[2:3]
	s_load_dwordx2 s[0:1], s[0:1], 0x10
	v_add_u32_e32 v2, v1, v2
	v_mov_b32_e32 v1, 0
	s_waitcnt lgkmcnt(0)
	v_lshl_add_u64 v[0:1], v[0:1], 2, s[0:1]
	global_store_dword v[0:1], v2, off
.LBB2_6:
	s_endpgm
	.section	.rodata,"a",@progbits
	.p2align	6, 0x0
	.amdhsa_kernel _ZN7rocprim17ROCPRIM_304000_NS6detail45device_block_merge_mergepath_partition_kernelINS1_37wrapped_merge_sort_block_merge_configINS0_14default_configEhN2at4cuda3cub6detail10OpaqueTypeILi8EEEEEPhjNS1_19radix_merge_compareILb1ELb0EhNS0_19identity_decomposerEEEEEvT0_T1_jPSH_T2_SH_
		.amdhsa_group_segment_fixed_size 0
		.amdhsa_private_segment_fixed_size 0
		.amdhsa_kernarg_size 32
		.amdhsa_user_sgpr_count 2
		.amdhsa_user_sgpr_dispatch_ptr 0
		.amdhsa_user_sgpr_queue_ptr 0
		.amdhsa_user_sgpr_kernarg_segment_ptr 1
		.amdhsa_user_sgpr_dispatch_id 0
		.amdhsa_user_sgpr_kernarg_preload_length 0
		.amdhsa_user_sgpr_kernarg_preload_offset 0
		.amdhsa_user_sgpr_private_segment_size 0
		.amdhsa_uses_dynamic_stack 0
		.amdhsa_enable_private_segment 0
		.amdhsa_system_sgpr_workgroup_id_x 1
		.amdhsa_system_sgpr_workgroup_id_y 0
		.amdhsa_system_sgpr_workgroup_id_z 0
		.amdhsa_system_sgpr_workgroup_info 0
		.amdhsa_system_vgpr_workitem_id 0
		.amdhsa_next_free_vgpr 17
		.amdhsa_next_free_sgpr 6
		.amdhsa_accum_offset 20
		.amdhsa_reserve_vcc 1
		.amdhsa_float_round_mode_32 0
		.amdhsa_float_round_mode_16_64 0
		.amdhsa_float_denorm_mode_32 3
		.amdhsa_float_denorm_mode_16_64 3
		.amdhsa_dx10_clamp 1
		.amdhsa_ieee_mode 1
		.amdhsa_fp16_overflow 0
		.amdhsa_tg_split 0
		.amdhsa_exception_fp_ieee_invalid_op 0
		.amdhsa_exception_fp_denorm_src 0
		.amdhsa_exception_fp_ieee_div_zero 0
		.amdhsa_exception_fp_ieee_overflow 0
		.amdhsa_exception_fp_ieee_underflow 0
		.amdhsa_exception_fp_ieee_inexact 0
		.amdhsa_exception_int_div_zero 0
	.end_amdhsa_kernel
	.section	.text._ZN7rocprim17ROCPRIM_304000_NS6detail45device_block_merge_mergepath_partition_kernelINS1_37wrapped_merge_sort_block_merge_configINS0_14default_configEhN2at4cuda3cub6detail10OpaqueTypeILi8EEEEEPhjNS1_19radix_merge_compareILb1ELb0EhNS0_19identity_decomposerEEEEEvT0_T1_jPSH_T2_SH_,"axG",@progbits,_ZN7rocprim17ROCPRIM_304000_NS6detail45device_block_merge_mergepath_partition_kernelINS1_37wrapped_merge_sort_block_merge_configINS0_14default_configEhN2at4cuda3cub6detail10OpaqueTypeILi8EEEEEPhjNS1_19radix_merge_compareILb1ELb0EhNS0_19identity_decomposerEEEEEvT0_T1_jPSH_T2_SH_,comdat
.Lfunc_end2:
	.size	_ZN7rocprim17ROCPRIM_304000_NS6detail45device_block_merge_mergepath_partition_kernelINS1_37wrapped_merge_sort_block_merge_configINS0_14default_configEhN2at4cuda3cub6detail10OpaqueTypeILi8EEEEEPhjNS1_19radix_merge_compareILb1ELb0EhNS0_19identity_decomposerEEEEEvT0_T1_jPSH_T2_SH_, .Lfunc_end2-_ZN7rocprim17ROCPRIM_304000_NS6detail45device_block_merge_mergepath_partition_kernelINS1_37wrapped_merge_sort_block_merge_configINS0_14default_configEhN2at4cuda3cub6detail10OpaqueTypeILi8EEEEEPhjNS1_19radix_merge_compareILb1ELb0EhNS0_19identity_decomposerEEEEEvT0_T1_jPSH_T2_SH_
                                        ; -- End function
	.set _ZN7rocprim17ROCPRIM_304000_NS6detail45device_block_merge_mergepath_partition_kernelINS1_37wrapped_merge_sort_block_merge_configINS0_14default_configEhN2at4cuda3cub6detail10OpaqueTypeILi8EEEEEPhjNS1_19radix_merge_compareILb1ELb0EhNS0_19identity_decomposerEEEEEvT0_T1_jPSH_T2_SH_.num_vgpr, 17
	.set _ZN7rocprim17ROCPRIM_304000_NS6detail45device_block_merge_mergepath_partition_kernelINS1_37wrapped_merge_sort_block_merge_configINS0_14default_configEhN2at4cuda3cub6detail10OpaqueTypeILi8EEEEEPhjNS1_19radix_merge_compareILb1ELb0EhNS0_19identity_decomposerEEEEEvT0_T1_jPSH_T2_SH_.num_agpr, 0
	.set _ZN7rocprim17ROCPRIM_304000_NS6detail45device_block_merge_mergepath_partition_kernelINS1_37wrapped_merge_sort_block_merge_configINS0_14default_configEhN2at4cuda3cub6detail10OpaqueTypeILi8EEEEEPhjNS1_19radix_merge_compareILb1ELb0EhNS0_19identity_decomposerEEEEEvT0_T1_jPSH_T2_SH_.numbered_sgpr, 6
	.set _ZN7rocprim17ROCPRIM_304000_NS6detail45device_block_merge_mergepath_partition_kernelINS1_37wrapped_merge_sort_block_merge_configINS0_14default_configEhN2at4cuda3cub6detail10OpaqueTypeILi8EEEEEPhjNS1_19radix_merge_compareILb1ELb0EhNS0_19identity_decomposerEEEEEvT0_T1_jPSH_T2_SH_.num_named_barrier, 0
	.set _ZN7rocprim17ROCPRIM_304000_NS6detail45device_block_merge_mergepath_partition_kernelINS1_37wrapped_merge_sort_block_merge_configINS0_14default_configEhN2at4cuda3cub6detail10OpaqueTypeILi8EEEEEPhjNS1_19radix_merge_compareILb1ELb0EhNS0_19identity_decomposerEEEEEvT0_T1_jPSH_T2_SH_.private_seg_size, 0
	.set _ZN7rocprim17ROCPRIM_304000_NS6detail45device_block_merge_mergepath_partition_kernelINS1_37wrapped_merge_sort_block_merge_configINS0_14default_configEhN2at4cuda3cub6detail10OpaqueTypeILi8EEEEEPhjNS1_19radix_merge_compareILb1ELb0EhNS0_19identity_decomposerEEEEEvT0_T1_jPSH_T2_SH_.uses_vcc, 1
	.set _ZN7rocprim17ROCPRIM_304000_NS6detail45device_block_merge_mergepath_partition_kernelINS1_37wrapped_merge_sort_block_merge_configINS0_14default_configEhN2at4cuda3cub6detail10OpaqueTypeILi8EEEEEPhjNS1_19radix_merge_compareILb1ELb0EhNS0_19identity_decomposerEEEEEvT0_T1_jPSH_T2_SH_.uses_flat_scratch, 0
	.set _ZN7rocprim17ROCPRIM_304000_NS6detail45device_block_merge_mergepath_partition_kernelINS1_37wrapped_merge_sort_block_merge_configINS0_14default_configEhN2at4cuda3cub6detail10OpaqueTypeILi8EEEEEPhjNS1_19radix_merge_compareILb1ELb0EhNS0_19identity_decomposerEEEEEvT0_T1_jPSH_T2_SH_.has_dyn_sized_stack, 0
	.set _ZN7rocprim17ROCPRIM_304000_NS6detail45device_block_merge_mergepath_partition_kernelINS1_37wrapped_merge_sort_block_merge_configINS0_14default_configEhN2at4cuda3cub6detail10OpaqueTypeILi8EEEEEPhjNS1_19radix_merge_compareILb1ELb0EhNS0_19identity_decomposerEEEEEvT0_T1_jPSH_T2_SH_.has_recursion, 0
	.set _ZN7rocprim17ROCPRIM_304000_NS6detail45device_block_merge_mergepath_partition_kernelINS1_37wrapped_merge_sort_block_merge_configINS0_14default_configEhN2at4cuda3cub6detail10OpaqueTypeILi8EEEEEPhjNS1_19radix_merge_compareILb1ELb0EhNS0_19identity_decomposerEEEEEvT0_T1_jPSH_T2_SH_.has_indirect_call, 0
	.section	.AMDGPU.csdata,"",@progbits
; Kernel info:
; codeLenInByte = 320
; TotalNumSgprs: 12
; NumVgprs: 17
; NumAgprs: 0
; TotalNumVgprs: 17
; ScratchSize: 0
; MemoryBound: 0
; FloatMode: 240
; IeeeMode: 1
; LDSByteSize: 0 bytes/workgroup (compile time only)
; SGPRBlocks: 1
; VGPRBlocks: 2
; NumSGPRsForWavesPerEU: 12
; NumVGPRsForWavesPerEU: 17
; AccumOffset: 20
; Occupancy: 8
; WaveLimiterHint : 0
; COMPUTE_PGM_RSRC2:SCRATCH_EN: 0
; COMPUTE_PGM_RSRC2:USER_SGPR: 2
; COMPUTE_PGM_RSRC2:TRAP_HANDLER: 0
; COMPUTE_PGM_RSRC2:TGID_X_EN: 1
; COMPUTE_PGM_RSRC2:TGID_Y_EN: 0
; COMPUTE_PGM_RSRC2:TGID_Z_EN: 0
; COMPUTE_PGM_RSRC2:TIDIG_COMP_CNT: 0
; COMPUTE_PGM_RSRC3_GFX90A:ACCUM_OFFSET: 4
; COMPUTE_PGM_RSRC3_GFX90A:TG_SPLIT: 0
	.section	.text._ZN7rocprim17ROCPRIM_304000_NS6detail35device_block_merge_mergepath_kernelINS1_37wrapped_merge_sort_block_merge_configINS0_14default_configEhN2at4cuda3cub6detail10OpaqueTypeILi8EEEEEPhSC_PSA_SD_jNS1_19radix_merge_compareILb1ELb0EhNS0_19identity_decomposerEEEEEvT0_T1_T2_T3_T4_SL_jT5_PKSL_NS1_7vsmem_tE,"axG",@progbits,_ZN7rocprim17ROCPRIM_304000_NS6detail35device_block_merge_mergepath_kernelINS1_37wrapped_merge_sort_block_merge_configINS0_14default_configEhN2at4cuda3cub6detail10OpaqueTypeILi8EEEEEPhSC_PSA_SD_jNS1_19radix_merge_compareILb1ELb0EhNS0_19identity_decomposerEEEEEvT0_T1_T2_T3_T4_SL_jT5_PKSL_NS1_7vsmem_tE,comdat
	.protected	_ZN7rocprim17ROCPRIM_304000_NS6detail35device_block_merge_mergepath_kernelINS1_37wrapped_merge_sort_block_merge_configINS0_14default_configEhN2at4cuda3cub6detail10OpaqueTypeILi8EEEEEPhSC_PSA_SD_jNS1_19radix_merge_compareILb1ELb0EhNS0_19identity_decomposerEEEEEvT0_T1_T2_T3_T4_SL_jT5_PKSL_NS1_7vsmem_tE ; -- Begin function _ZN7rocprim17ROCPRIM_304000_NS6detail35device_block_merge_mergepath_kernelINS1_37wrapped_merge_sort_block_merge_configINS0_14default_configEhN2at4cuda3cub6detail10OpaqueTypeILi8EEEEEPhSC_PSA_SD_jNS1_19radix_merge_compareILb1ELb0EhNS0_19identity_decomposerEEEEEvT0_T1_T2_T3_T4_SL_jT5_PKSL_NS1_7vsmem_tE
	.globl	_ZN7rocprim17ROCPRIM_304000_NS6detail35device_block_merge_mergepath_kernelINS1_37wrapped_merge_sort_block_merge_configINS0_14default_configEhN2at4cuda3cub6detail10OpaqueTypeILi8EEEEEPhSC_PSA_SD_jNS1_19radix_merge_compareILb1ELb0EhNS0_19identity_decomposerEEEEEvT0_T1_T2_T3_T4_SL_jT5_PKSL_NS1_7vsmem_tE
	.p2align	8
	.type	_ZN7rocprim17ROCPRIM_304000_NS6detail35device_block_merge_mergepath_kernelINS1_37wrapped_merge_sort_block_merge_configINS0_14default_configEhN2at4cuda3cub6detail10OpaqueTypeILi8EEEEEPhSC_PSA_SD_jNS1_19radix_merge_compareILb1ELb0EhNS0_19identity_decomposerEEEEEvT0_T1_T2_T3_T4_SL_jT5_PKSL_NS1_7vsmem_tE,@function
_ZN7rocprim17ROCPRIM_304000_NS6detail35device_block_merge_mergepath_kernelINS1_37wrapped_merge_sort_block_merge_configINS0_14default_configEhN2at4cuda3cub6detail10OpaqueTypeILi8EEEEEPhSC_PSA_SD_jNS1_19radix_merge_compareILb1ELb0EhNS0_19identity_decomposerEEEEEvT0_T1_T2_T3_T4_SL_jT5_PKSL_NS1_7vsmem_tE: ; @_ZN7rocprim17ROCPRIM_304000_NS6detail35device_block_merge_mergepath_kernelINS1_37wrapped_merge_sort_block_merge_configINS0_14default_configEhN2at4cuda3cub6detail10OpaqueTypeILi8EEEEEPhSC_PSA_SD_jNS1_19radix_merge_compareILb1ELb0EhNS0_19identity_decomposerEEEEEvT0_T1_T2_T3_T4_SL_jT5_PKSL_NS1_7vsmem_tE
; %bb.0:
	s_load_dwordx2 s[24:25], s[0:1], 0x40
	s_load_dwordx4 s[12:15], s[0:1], 0x20
	s_add_u32 s22, s0, 64
	s_addc_u32 s23, s1, 0
	s_waitcnt lgkmcnt(0)
	s_mul_i32 s4, s25, s4
	s_add_i32 s3, s4, s3
	s_mul_i32 s3, s3, s24
	s_add_i32 s20, s3, s2
	s_cmp_ge_u32 s20, s14
	s_cbranch_scc1 .LBB3_51
; %bb.1:
	s_load_dwordx8 s[4:11], s[0:1], 0x0
	s_load_dwordx2 s[16:17], s[0:1], 0x30
	s_lshr_b32 s27, s12, 10
	s_cmp_lg_u32 s20, s27
	s_mov_b32 s21, 0
	s_cselect_b64 s[14:15], -1, 0
	s_lshl_b64 s[0:1], s[20:21], 2
	s_waitcnt lgkmcnt(0)
	s_add_u32 s0, s16, s0
	s_addc_u32 s1, s17, s1
	s_load_dwordx2 s[16:17], s[0:1], 0x0
	s_lshr_b32 s0, s13, 9
	s_and_b32 s0, s0, 0x7ffffe
	s_sub_i32 s0, 0, s0
	s_and_b32 s1, s20, s0
	s_lshl_b32 s3, s1, 10
	s_lshl_b32 s25, s20, 10
	;; [unrolled: 1-line block ×3, first 2 shown]
	s_sub_i32 s18, s25, s3
	s_add_i32 s1, s1, s13
	s_add_i32 s19, s1, s18
	s_waitcnt lgkmcnt(0)
	s_sub_i32 s18, s19, s16
	s_sub_i32 s19, s19, s17
	;; [unrolled: 1-line block ×3, first 2 shown]
	s_min_u32 s18, s12, s18
	s_addk_i32 s19, 0x400
	s_or_b32 s0, s20, s0
	s_min_u32 s3, s12, s1
	s_add_i32 s1, s1, s13
	s_cmp_eq_u32 s0, -1
	s_cselect_b32 s0, s1, s19
	s_cselect_b32 s1, s3, s17
	s_min_u32 s0, s0, s12
	s_sub_i32 s13, s1, s16
	s_sub_i32 s26, s0, s18
	s_add_u32 s0, s4, s16
	s_addc_u32 s1, s5, 0
	s_add_u32 s4, s4, s18
	s_addc_u32 s5, s5, 0
	s_cmp_lt_u32 s2, s24
	v_mov_b32_e32 v1, 0
	s_cselect_b32 s2, 12, 18
	global_load_dword v2, v1, s[22:23] offset:14
	s_add_u32 s2, s22, s2
	s_addc_u32 s3, s23, 0
	global_load_ushort v3, v1, s[2:3]
	s_mov_b32 s17, s21
	s_mov_b32 s19, s21
	s_cmp_eq_u32 s20, s27
	s_waitcnt vmcnt(1)
	v_lshrrev_b32_e32 v4, 16, v2
	v_and_b32_e32 v2, 0xffff, v2
	v_mul_lo_u32 v2, v2, v4
	s_waitcnt vmcnt(0)
	v_mul_lo_u32 v2, v2, v3
	v_add_u32_e32 v2, v2, v0
	s_cbranch_scc1 .LBB3_3
; %bb.2:
	v_subrev_co_u32_e32 v6, vcc, s13, v0
	v_mov_b32_e32 v7, v1
	v_lshl_add_u64 v[4:5], s[0:1], 0, v[0:1]
	v_lshl_add_u64 v[6:7], s[4:5], 0, v[6:7]
	v_cndmask_b32_e32 v5, v7, v5, vcc
	v_cndmask_b32_e32 v4, v6, v4, vcc
	v_mov_b32_e32 v3, v1
	v_subrev_co_u32_e32 v8, vcc, s13, v2
	v_mov_b32_e32 v9, v1
	v_lshl_add_u64 v[6:7], s[0:1], 0, v[2:3]
	v_lshl_add_u64 v[8:9], s[4:5], 0, v[8:9]
	v_cndmask_b32_e32 v7, v9, v7, vcc
	v_cndmask_b32_e32 v6, v8, v6, vcc
	global_load_ubyte v1, v[4:5], off
	global_load_ubyte v3, v[6:7], off
	s_mov_b32 s20, 0xc0c0004
	s_add_i32 s21, s26, s13
	v_mov_b32_e32 v8, s21
	s_waitcnt vmcnt(0)
	v_perm_b32 v6, v1, v3, s20
	s_cbranch_execz .LBB3_4
	s_branch .LBB3_9
.LBB3_3:
                                        ; implicit-def: $vgpr6
                                        ; implicit-def: $vgpr8
.LBB3_4:
	s_add_i32 s20, s26, s13
	v_cmp_gt_u32_e32 vcc, s20, v0
	v_mov_b32_e32 v6, 0
	s_and_saveexec_b64 s[2:3], vcc
	s_cbranch_execz .LBB3_6
; %bb.5:
	v_mov_b32_e32 v1, 0
	v_subrev_co_u32_e32 v6, vcc, s13, v0
	v_mov_b32_e32 v7, v1
	v_lshl_add_u64 v[4:5], s[0:1], 0, v[0:1]
	v_lshl_add_u64 v[6:7], s[4:5], 0, v[6:7]
	v_cndmask_b32_e32 v5, v7, v5, vcc
	v_cndmask_b32_e32 v4, v6, v4, vcc
	global_load_ubyte v6, v[4:5], off
.LBB3_6:
	s_or_b64 exec, exec, s[2:3]
	v_cmp_gt_u32_e32 vcc, s20, v2
	s_and_saveexec_b64 s[2:3], vcc
	s_cbranch_execz .LBB3_8
; %bb.7:
	v_mov_b32_e32 v3, 0
	v_lshl_add_u64 v[4:5], s[0:1], 0, v[2:3]
	v_subrev_co_u32_e32 v2, vcc, s13, v2
	v_lshl_add_u64 v[2:3], s[4:5], 0, v[2:3]
	s_nop 0
	v_cndmask_b32_e32 v3, v3, v5, vcc
	v_cndmask_b32_e32 v2, v2, v4, vcc
	global_load_ubyte v1, v[2:3], off
	s_waitcnt vmcnt(0)
	v_lshlrev_b16_e32 v1, 8, v1
	v_or_b32_e32 v1, v6, v1
	v_and_b32_e32 v6, 0xffff, v1
.LBB3_8:
	s_or_b64 exec, exec, s[2:3]
	v_mov_b32_e32 v8, s20
.LBB3_9:
	v_lshlrev_b32_e32 v7, 1, v0
	s_waitcnt vmcnt(0)
	v_lshrrev_b16_e32 v1, 8, v6
	v_min_u32_e32 v2, v8, v7
	ds_write_b8 v0, v1 offset:512
	v_sub_u32_e64 v1, v2, s26 clamp
	v_min_u32_e32 v3, s13, v2
	v_cmp_lt_u32_e32 vcc, v1, v3
	ds_write_b8 v0, v6
	s_waitcnt lgkmcnt(0)
	s_barrier
	s_and_saveexec_b64 s[0:1], vcc
	s_cbranch_execz .LBB3_13
; %bb.10:
	v_add_u32_e32 v4, s13, v2
	s_mov_b64 s[2:3], 0
.LBB3_11:                               ; =>This Inner Loop Header: Depth=1
	v_add_u32_e32 v5, v3, v1
	v_lshrrev_b32_e32 v5, 1, v5
	v_xad_u32 v9, v5, -1, v4
	ds_read_u8 v10, v5
	ds_read_u8 v9, v9
	v_add_u32_e32 v11, 1, v5
	s_waitcnt lgkmcnt(0)
	v_cmp_gt_u16_e32 vcc, v9, v10
	s_nop 1
	v_cndmask_b32_e32 v3, v3, v5, vcc
	v_cndmask_b32_e32 v1, v11, v1, vcc
	v_cmp_ge_u32_e32 vcc, v1, v3
	s_or_b64 s[2:3], vcc, s[2:3]
	s_andn2_b64 exec, exec, s[2:3]
	s_cbranch_execnz .LBB3_11
; %bb.12:
	s_or_b64 exec, exec, s[2:3]
.LBB3_13:
	s_or_b64 exec, exec, s[0:1]
	v_sub_u32_e32 v2, v2, v1
	v_add_u32_e32 v2, s13, v2
	v_cmp_ge_u32_e32 vcc, s13, v1
	v_cmp_le_u32_e64 s[0:1], v2, v8
	s_or_b64 s[0:1], vcc, s[0:1]
	v_mov_b32_e32 v9, 0
	v_mov_b32_e32 v10, 0
	s_and_saveexec_b64 s[4:5], s[0:1]
	s_cbranch_execz .LBB3_19
; %bb.14:
	v_cmp_gt_u32_e32 vcc, s13, v1
                                        ; implicit-def: $vgpr3
	s_and_saveexec_b64 s[0:1], vcc
; %bb.15:
	ds_read_u8 v3, v1
; %bb.16:
	s_or_b64 exec, exec, s[0:1]
	v_cmp_ge_u32_e64 s[0:1], v2, v8
	v_cmp_lt_u32_e64 s[2:3], v2, v8
                                        ; implicit-def: $vgpr4
	s_and_saveexec_b64 s[20:21], s[2:3]
; %bb.17:
	ds_read_u8 v4, v2
; %bb.18:
	s_or_b64 exec, exec, s[20:21]
	s_waitcnt lgkmcnt(0)
	v_cmp_le_u16_sdwa s[2:3], v4, v3 src0_sel:BYTE_0 src1_sel:BYTE_0
	s_and_b64 s[2:3], vcc, s[2:3]
	s_or_b64 vcc, s[0:1], s[2:3]
	v_mov_b32_e32 v5, s13
	v_cndmask_b32_e32 v10, v2, v1, vcc
	v_cndmask_b32_e32 v5, v8, v5, vcc
	v_add_u32_e32 v6, 1, v10
	v_add_u32_e32 v5, -1, v5
	v_min_u32_e32 v5, v6, v5
	ds_read_u8 v5, v5
	v_cndmask_b32_e32 v11, v4, v3, vcc
	v_cndmask_b32_e32 v1, v1, v6, vcc
	;; [unrolled: 1-line block ×3, first 2 shown]
	v_cmp_gt_u32_e64 s[0:1], s13, v1
	s_waitcnt lgkmcnt(0)
	v_cndmask_b32_e32 v4, v5, v4, vcc
	v_cndmask_b32_e32 v3, v3, v5, vcc
	v_cmp_le_u16_sdwa s[2:3], v4, v3 src0_sel:BYTE_0 src1_sel:BYTE_0
	v_cmp_ge_u32_e32 vcc, v2, v8
	s_and_b64 s[0:1], s[0:1], s[2:3]
	s_or_b64 vcc, vcc, s[0:1]
	s_movk_i32 s20, 0xff
	v_cndmask_b32_e32 v9, v2, v1, vcc
	v_cndmask_b32_sdwa v1, v4, v3, vcc dst_sel:BYTE_1 dst_unused:UNUSED_PAD src0_sel:DWORD src1_sel:DWORD
	s_nop 0
	v_bitop3_b16 v1, v11, v1, s20 bitop3:0xec
	v_and_b32_e32 v6, 0xffff, v1
.LBB3_19:
	s_or_b64 exec, exec, s[4:5]
	s_lshl_b64 s[0:1], s[16:17], 3
	s_add_u32 s16, s8, s0
	s_addc_u32 s17, s9, s1
	s_lshl_b64 s[0:1], s[18:19], 3
	s_add_u32 s8, s8, s0
	v_cndmask_b32_e64 v2, 0, 1, s[14:15]
	v_mov_b32_e32 v1, 0
	s_addc_u32 s9, s9, s1
	v_cmp_gt_u32_e64 s[4:5], s13, v0
	v_cmp_ne_u32_e64 s[0:1], 1, v2
	s_andn2_b64 vcc, exec, s[14:15]
	v_cmp_le_u32_e64 s[2:3], s13, v0
	s_barrier
	s_cbranch_vccnz .LBB3_21
; %bb.20:
	v_subrev_u32_e32 v4, s13, v0
	v_lshlrev_b32_e32 v2, 3, v0
	v_mov_b32_e32 v3, v1
	v_lshlrev_b32_e32 v4, 3, v4
	v_mov_b32_e32 v5, v1
	v_lshl_add_u64 v[2:3], s[16:17], 0, v[2:3]
	v_lshl_add_u64 v[4:5], s[8:9], 0, v[4:5]
	v_cndmask_b32_e64 v3, v5, v3, s[4:5]
	v_cndmask_b32_e64 v2, v4, v2, s[4:5]
	global_load_dwordx2 v[12:13], v[2:3], off
	v_or_b32_e32 v11, 0x200, v0
	v_mov_b32_e32 v2, s9
	v_mov_b32_e32 v3, s17
	;; [unrolled: 1-line block ×4, first 2 shown]
	v_subrev_u32_e32 v4, s13, v11
	v_cmp_gt_u32_e32 vcc, s13, v11
	v_mad_u32_u24 v5, v0, 7, v0
	s_nop 0
	v_cndmask_b32_e32 v3, v2, v3, vcc
	v_min_u32_e32 v4, v11, v4
	v_cndmask_b32_e32 v2, v14, v15, vcc
	s_mov_b64 s[4:5], -1
	s_waitcnt vmcnt(0)
	ds_write_b64 v5, v[12:13]
	s_cbranch_execz .LBB3_22
	s_branch .LBB3_31
.LBB3_21:
	s_mov_b64 s[4:5], 0
                                        ; implicit-def: $vgpr11
                                        ; implicit-def: $vgpr2_vgpr3
                                        ; implicit-def: $vgpr4
.LBB3_22:
	s_and_saveexec_b64 s[4:5], s[2:3]
	s_xor_b64 s[2:3], exec, s[4:5]
	s_cbranch_execz .LBB3_26
; %bb.23:
	v_subrev_u32_e32 v2, s13, v0
	v_cmp_gt_u32_e32 vcc, s26, v2
	s_and_saveexec_b64 s[4:5], vcc
	s_cbranch_execz .LBB3_25
; %bb.24:
	v_lshlrev_b32_e32 v2, 3, v2
	global_load_dwordx2 v[2:3], v2, s[8:9]
	v_mad_u32_u24 v4, v0, 7, v0
	s_waitcnt vmcnt(0)
	ds_write_b64 v4, v[2:3]
.LBB3_25:
	s_or_b64 exec, exec, s[4:5]
.LBB3_26:
	s_andn2_saveexec_b64 s[2:3], s[2:3]
	s_cbranch_execz .LBB3_28
; %bb.27:
	v_lshlrev_b32_e32 v2, 3, v0
	global_load_dwordx2 v[2:3], v2, s[16:17]
	v_mad_u32_u24 v4, v0, 7, v0
	s_waitcnt vmcnt(0)
	ds_write_b64 v4, v[2:3]
.LBB3_28:
	s_or_b64 exec, exec, s[2:3]
	v_or_b32_e32 v11, 0x200, v0
	v_cmp_le_u32_e32 vcc, s13, v11
	s_mov_b64 s[4:5], -1
	v_mov_b64_e32 v[2:3], s[16:17]
	v_mov_b32_e32 v4, v11
	s_and_saveexec_b64 s[2:3], vcc
; %bb.29:
	v_subrev_u32_e32 v4, s13, v11
	v_cmp_gt_u32_e32 vcc, s26, v4
	v_mov_b64_e32 v[2:3], s[8:9]
	s_orn2_b64 s[4:5], vcc, exec
; %bb.30:
	s_or_b64 exec, exec, s[2:3]
.LBB3_31:
	s_and_saveexec_b64 s[2:3], s[4:5]
	s_cbranch_execz .LBB3_33
; %bb.32:
	v_mov_b32_e32 v5, 0
	v_lshl_add_u64 v[2:3], v[4:5], 3, v[2:3]
	global_load_dwordx2 v[2:3], v[2:3], off
	v_lshlrev_b32_e32 v4, 3, v11
	s_waitcnt vmcnt(0)
	ds_write_b64 v4, v[2:3]
.LBB3_33:
	s_or_b64 exec, exec, s[2:3]
	s_and_b64 vcc, exec, s[0:1]
	v_add_u32_e32 v2, s25, v7
	s_waitcnt lgkmcnt(0)
	s_barrier
	s_cbranch_vccnz .LBB3_35
; %bb.34:
	v_lshlrev_b32_e32 v3, 3, v10
	ds_read_b64 v[4:5], v3
	v_mov_b32_e32 v3, 0
	v_lshl_add_u64 v[12:13], v[2:3], 3, s[10:11]
	s_mov_b64 s[0:1], -1
	s_waitcnt lgkmcnt(0)
	global_store_dwordx2 v[12:13], v[4:5], off
	s_cbranch_execz .LBB3_36
	s_branch .LBB3_41
.LBB3_35:
	s_mov_b64 s[0:1], 0
.LBB3_36:
	v_cmp_lt_u32_e32 vcc, v7, v8
	s_and_saveexec_b64 s[2:3], vcc
	s_cbranch_execz .LBB3_38
; %bb.37:
	v_lshlrev_b32_e32 v3, 3, v10
	ds_read_b64 v[4:5], v3
	v_mov_b32_e32 v3, 0
	v_lshl_add_u64 v[10:11], v[2:3], 3, s[10:11]
	s_waitcnt lgkmcnt(0)
	global_store_dwordx2 v[10:11], v[4:5], off
.LBB3_38:
	s_or_b64 exec, exec, s[2:3]
	v_or_b32_e32 v3, 1, v7
	v_cmp_lt_u32_e32 vcc, v3, v8
	s_and_saveexec_b64 s[2:3], vcc
; %bb.39:
	v_mov_b32_e32 v3, 0
	s_or_b64 s[0:1], s[0:1], exec
; %bb.40:
	s_or_b64 exec, exec, s[2:3]
.LBB3_41:
	s_and_saveexec_b64 s[2:3], s[0:1]
	s_cbranch_execz .LBB3_43
; %bb.42:
	v_lshlrev_b32_e32 v4, 3, v9
	ds_read_b64 v[4:5], v4
	v_lshl_add_u64 v[2:3], v[2:3], 3, s[10:11]
	s_waitcnt lgkmcnt(0)
	global_store_dwordx2 v[2:3], v[4:5], off offset:8
.LBB3_43:
	s_or_b64 exec, exec, s[2:3]
	v_lshrrev_b32_e32 v2, 4, v0
	v_and_b32_e32 v2, 28, v2
	v_add_u32_e32 v2, v2, v7
	s_barrier
	s_barrier
	ds_write_b16 v2, v6
	v_lshrrev_b32_e32 v2, 5, v0
	v_or_b32_e32 v4, 0x200, v0
	s_add_u32 s0, s6, s25
	v_and_b32_e32 v5, 12, v2
	v_lshrrev_b32_e32 v2, 5, v4
	s_addc_u32 s1, s7, 0
	v_and_b32_e32 v6, 28, v2
	v_lshl_add_u64 v[2:3], s[0:1], 0, v[0:1]
	s_and_b64 vcc, exec, s[14:15]
	v_add_u32_e32 v6, v6, v0
	s_waitcnt lgkmcnt(0)
	s_cbranch_vccz .LBB3_45
; %bb.44:
	v_add_u32_e32 v1, v5, v0
	s_barrier
	ds_read_u8 v7, v1
	ds_read_u8 v1, v6 offset:512
	s_mov_b64 s[0:1], -1
	s_waitcnt lgkmcnt(1)
	global_store_byte v[2:3], v7, off
	s_cbranch_execz .LBB3_46
	s_branch .LBB3_49
.LBB3_45:
	s_mov_b64 s[0:1], 0
                                        ; implicit-def: $vgpr1
.LBB3_46:
	s_barrier
	s_waitcnt lgkmcnt(0)
	ds_read_u8 v1, v6 offset:512
	s_sub_i32 s2, s12, s25
	v_cmp_gt_u32_e32 vcc, s2, v0
	s_and_saveexec_b64 s[0:1], vcc
	s_cbranch_execz .LBB3_48
; %bb.47:
	v_add_u32_e32 v0, v5, v0
	ds_read_u8 v0, v0
	s_waitcnt lgkmcnt(0)
	global_store_byte v[2:3], v0, off
.LBB3_48:
	s_or_b64 exec, exec, s[0:1]
	v_cmp_gt_u32_e64 s[0:1], s2, v4
.LBB3_49:
	s_and_saveexec_b64 s[2:3], s[0:1]
	s_cbranch_execz .LBB3_51
; %bb.50:
	s_waitcnt lgkmcnt(0)
	global_store_byte v[2:3], v1, off offset:512
.LBB3_51:
	s_endpgm
	.section	.rodata,"a",@progbits
	.p2align	6, 0x0
	.amdhsa_kernel _ZN7rocprim17ROCPRIM_304000_NS6detail35device_block_merge_mergepath_kernelINS1_37wrapped_merge_sort_block_merge_configINS0_14default_configEhN2at4cuda3cub6detail10OpaqueTypeILi8EEEEEPhSC_PSA_SD_jNS1_19radix_merge_compareILb1ELb0EhNS0_19identity_decomposerEEEEEvT0_T1_T2_T3_T4_SL_jT5_PKSL_NS1_7vsmem_tE
		.amdhsa_group_segment_fixed_size 8208
		.amdhsa_private_segment_fixed_size 0
		.amdhsa_kernarg_size 320
		.amdhsa_user_sgpr_count 2
		.amdhsa_user_sgpr_dispatch_ptr 0
		.amdhsa_user_sgpr_queue_ptr 0
		.amdhsa_user_sgpr_kernarg_segment_ptr 1
		.amdhsa_user_sgpr_dispatch_id 0
		.amdhsa_user_sgpr_kernarg_preload_length 0
		.amdhsa_user_sgpr_kernarg_preload_offset 0
		.amdhsa_user_sgpr_private_segment_size 0
		.amdhsa_uses_dynamic_stack 0
		.amdhsa_enable_private_segment 0
		.amdhsa_system_sgpr_workgroup_id_x 1
		.amdhsa_system_sgpr_workgroup_id_y 1
		.amdhsa_system_sgpr_workgroup_id_z 1
		.amdhsa_system_sgpr_workgroup_info 0
		.amdhsa_system_vgpr_workitem_id 0
		.amdhsa_next_free_vgpr 16
		.amdhsa_next_free_sgpr 28
		.amdhsa_accum_offset 16
		.amdhsa_reserve_vcc 1
		.amdhsa_float_round_mode_32 0
		.amdhsa_float_round_mode_16_64 0
		.amdhsa_float_denorm_mode_32 3
		.amdhsa_float_denorm_mode_16_64 3
		.amdhsa_dx10_clamp 1
		.amdhsa_ieee_mode 1
		.amdhsa_fp16_overflow 0
		.amdhsa_tg_split 0
		.amdhsa_exception_fp_ieee_invalid_op 0
		.amdhsa_exception_fp_denorm_src 0
		.amdhsa_exception_fp_ieee_div_zero 0
		.amdhsa_exception_fp_ieee_overflow 0
		.amdhsa_exception_fp_ieee_underflow 0
		.amdhsa_exception_fp_ieee_inexact 0
		.amdhsa_exception_int_div_zero 0
	.end_amdhsa_kernel
	.section	.text._ZN7rocprim17ROCPRIM_304000_NS6detail35device_block_merge_mergepath_kernelINS1_37wrapped_merge_sort_block_merge_configINS0_14default_configEhN2at4cuda3cub6detail10OpaqueTypeILi8EEEEEPhSC_PSA_SD_jNS1_19radix_merge_compareILb1ELb0EhNS0_19identity_decomposerEEEEEvT0_T1_T2_T3_T4_SL_jT5_PKSL_NS1_7vsmem_tE,"axG",@progbits,_ZN7rocprim17ROCPRIM_304000_NS6detail35device_block_merge_mergepath_kernelINS1_37wrapped_merge_sort_block_merge_configINS0_14default_configEhN2at4cuda3cub6detail10OpaqueTypeILi8EEEEEPhSC_PSA_SD_jNS1_19radix_merge_compareILb1ELb0EhNS0_19identity_decomposerEEEEEvT0_T1_T2_T3_T4_SL_jT5_PKSL_NS1_7vsmem_tE,comdat
.Lfunc_end3:
	.size	_ZN7rocprim17ROCPRIM_304000_NS6detail35device_block_merge_mergepath_kernelINS1_37wrapped_merge_sort_block_merge_configINS0_14default_configEhN2at4cuda3cub6detail10OpaqueTypeILi8EEEEEPhSC_PSA_SD_jNS1_19radix_merge_compareILb1ELb0EhNS0_19identity_decomposerEEEEEvT0_T1_T2_T3_T4_SL_jT5_PKSL_NS1_7vsmem_tE, .Lfunc_end3-_ZN7rocprim17ROCPRIM_304000_NS6detail35device_block_merge_mergepath_kernelINS1_37wrapped_merge_sort_block_merge_configINS0_14default_configEhN2at4cuda3cub6detail10OpaqueTypeILi8EEEEEPhSC_PSA_SD_jNS1_19radix_merge_compareILb1ELb0EhNS0_19identity_decomposerEEEEEvT0_T1_T2_T3_T4_SL_jT5_PKSL_NS1_7vsmem_tE
                                        ; -- End function
	.set _ZN7rocprim17ROCPRIM_304000_NS6detail35device_block_merge_mergepath_kernelINS1_37wrapped_merge_sort_block_merge_configINS0_14default_configEhN2at4cuda3cub6detail10OpaqueTypeILi8EEEEEPhSC_PSA_SD_jNS1_19radix_merge_compareILb1ELb0EhNS0_19identity_decomposerEEEEEvT0_T1_T2_T3_T4_SL_jT5_PKSL_NS1_7vsmem_tE.num_vgpr, 16
	.set _ZN7rocprim17ROCPRIM_304000_NS6detail35device_block_merge_mergepath_kernelINS1_37wrapped_merge_sort_block_merge_configINS0_14default_configEhN2at4cuda3cub6detail10OpaqueTypeILi8EEEEEPhSC_PSA_SD_jNS1_19radix_merge_compareILb1ELb0EhNS0_19identity_decomposerEEEEEvT0_T1_T2_T3_T4_SL_jT5_PKSL_NS1_7vsmem_tE.num_agpr, 0
	.set _ZN7rocprim17ROCPRIM_304000_NS6detail35device_block_merge_mergepath_kernelINS1_37wrapped_merge_sort_block_merge_configINS0_14default_configEhN2at4cuda3cub6detail10OpaqueTypeILi8EEEEEPhSC_PSA_SD_jNS1_19radix_merge_compareILb1ELb0EhNS0_19identity_decomposerEEEEEvT0_T1_T2_T3_T4_SL_jT5_PKSL_NS1_7vsmem_tE.numbered_sgpr, 28
	.set _ZN7rocprim17ROCPRIM_304000_NS6detail35device_block_merge_mergepath_kernelINS1_37wrapped_merge_sort_block_merge_configINS0_14default_configEhN2at4cuda3cub6detail10OpaqueTypeILi8EEEEEPhSC_PSA_SD_jNS1_19radix_merge_compareILb1ELb0EhNS0_19identity_decomposerEEEEEvT0_T1_T2_T3_T4_SL_jT5_PKSL_NS1_7vsmem_tE.num_named_barrier, 0
	.set _ZN7rocprim17ROCPRIM_304000_NS6detail35device_block_merge_mergepath_kernelINS1_37wrapped_merge_sort_block_merge_configINS0_14default_configEhN2at4cuda3cub6detail10OpaqueTypeILi8EEEEEPhSC_PSA_SD_jNS1_19radix_merge_compareILb1ELb0EhNS0_19identity_decomposerEEEEEvT0_T1_T2_T3_T4_SL_jT5_PKSL_NS1_7vsmem_tE.private_seg_size, 0
	.set _ZN7rocprim17ROCPRIM_304000_NS6detail35device_block_merge_mergepath_kernelINS1_37wrapped_merge_sort_block_merge_configINS0_14default_configEhN2at4cuda3cub6detail10OpaqueTypeILi8EEEEEPhSC_PSA_SD_jNS1_19radix_merge_compareILb1ELb0EhNS0_19identity_decomposerEEEEEvT0_T1_T2_T3_T4_SL_jT5_PKSL_NS1_7vsmem_tE.uses_vcc, 1
	.set _ZN7rocprim17ROCPRIM_304000_NS6detail35device_block_merge_mergepath_kernelINS1_37wrapped_merge_sort_block_merge_configINS0_14default_configEhN2at4cuda3cub6detail10OpaqueTypeILi8EEEEEPhSC_PSA_SD_jNS1_19radix_merge_compareILb1ELb0EhNS0_19identity_decomposerEEEEEvT0_T1_T2_T3_T4_SL_jT5_PKSL_NS1_7vsmem_tE.uses_flat_scratch, 0
	.set _ZN7rocprim17ROCPRIM_304000_NS6detail35device_block_merge_mergepath_kernelINS1_37wrapped_merge_sort_block_merge_configINS0_14default_configEhN2at4cuda3cub6detail10OpaqueTypeILi8EEEEEPhSC_PSA_SD_jNS1_19radix_merge_compareILb1ELb0EhNS0_19identity_decomposerEEEEEvT0_T1_T2_T3_T4_SL_jT5_PKSL_NS1_7vsmem_tE.has_dyn_sized_stack, 0
	.set _ZN7rocprim17ROCPRIM_304000_NS6detail35device_block_merge_mergepath_kernelINS1_37wrapped_merge_sort_block_merge_configINS0_14default_configEhN2at4cuda3cub6detail10OpaqueTypeILi8EEEEEPhSC_PSA_SD_jNS1_19radix_merge_compareILb1ELb0EhNS0_19identity_decomposerEEEEEvT0_T1_T2_T3_T4_SL_jT5_PKSL_NS1_7vsmem_tE.has_recursion, 0
	.set _ZN7rocprim17ROCPRIM_304000_NS6detail35device_block_merge_mergepath_kernelINS1_37wrapped_merge_sort_block_merge_configINS0_14default_configEhN2at4cuda3cub6detail10OpaqueTypeILi8EEEEEPhSC_PSA_SD_jNS1_19radix_merge_compareILb1ELb0EhNS0_19identity_decomposerEEEEEvT0_T1_T2_T3_T4_SL_jT5_PKSL_NS1_7vsmem_tE.has_indirect_call, 0
	.section	.AMDGPU.csdata,"",@progbits
; Kernel info:
; codeLenInByte = 1820
; TotalNumSgprs: 34
; NumVgprs: 16
; NumAgprs: 0
; TotalNumVgprs: 16
; ScratchSize: 0
; MemoryBound: 0
; FloatMode: 240
; IeeeMode: 1
; LDSByteSize: 8208 bytes/workgroup (compile time only)
; SGPRBlocks: 4
; VGPRBlocks: 1
; NumSGPRsForWavesPerEU: 34
; NumVGPRsForWavesPerEU: 16
; AccumOffset: 16
; Occupancy: 8
; WaveLimiterHint : 1
; COMPUTE_PGM_RSRC2:SCRATCH_EN: 0
; COMPUTE_PGM_RSRC2:USER_SGPR: 2
; COMPUTE_PGM_RSRC2:TRAP_HANDLER: 0
; COMPUTE_PGM_RSRC2:TGID_X_EN: 1
; COMPUTE_PGM_RSRC2:TGID_Y_EN: 1
; COMPUTE_PGM_RSRC2:TGID_Z_EN: 1
; COMPUTE_PGM_RSRC2:TIDIG_COMP_CNT: 0
; COMPUTE_PGM_RSRC3_GFX90A:ACCUM_OFFSET: 3
; COMPUTE_PGM_RSRC3_GFX90A:TG_SPLIT: 0
	.section	.text._ZN7rocprim17ROCPRIM_304000_NS6detail33device_block_merge_oddeven_kernelINS1_37wrapped_merge_sort_block_merge_configINS0_14default_configEhN2at4cuda3cub6detail10OpaqueTypeILi8EEEEEPhSC_PSA_SD_jNS1_19radix_merge_compareILb1ELb0EhNS0_19identity_decomposerEEEEEvT0_T1_T2_T3_T4_SL_T5_,"axG",@progbits,_ZN7rocprim17ROCPRIM_304000_NS6detail33device_block_merge_oddeven_kernelINS1_37wrapped_merge_sort_block_merge_configINS0_14default_configEhN2at4cuda3cub6detail10OpaqueTypeILi8EEEEEPhSC_PSA_SD_jNS1_19radix_merge_compareILb1ELb0EhNS0_19identity_decomposerEEEEEvT0_T1_T2_T3_T4_SL_T5_,comdat
	.protected	_ZN7rocprim17ROCPRIM_304000_NS6detail33device_block_merge_oddeven_kernelINS1_37wrapped_merge_sort_block_merge_configINS0_14default_configEhN2at4cuda3cub6detail10OpaqueTypeILi8EEEEEPhSC_PSA_SD_jNS1_19radix_merge_compareILb1ELb0EhNS0_19identity_decomposerEEEEEvT0_T1_T2_T3_T4_SL_T5_ ; -- Begin function _ZN7rocprim17ROCPRIM_304000_NS6detail33device_block_merge_oddeven_kernelINS1_37wrapped_merge_sort_block_merge_configINS0_14default_configEhN2at4cuda3cub6detail10OpaqueTypeILi8EEEEEPhSC_PSA_SD_jNS1_19radix_merge_compareILb1ELb0EhNS0_19identity_decomposerEEEEEvT0_T1_T2_T3_T4_SL_T5_
	.globl	_ZN7rocprim17ROCPRIM_304000_NS6detail33device_block_merge_oddeven_kernelINS1_37wrapped_merge_sort_block_merge_configINS0_14default_configEhN2at4cuda3cub6detail10OpaqueTypeILi8EEEEEPhSC_PSA_SD_jNS1_19radix_merge_compareILb1ELb0EhNS0_19identity_decomposerEEEEEvT0_T1_T2_T3_T4_SL_T5_
	.p2align	8
	.type	_ZN7rocprim17ROCPRIM_304000_NS6detail33device_block_merge_oddeven_kernelINS1_37wrapped_merge_sort_block_merge_configINS0_14default_configEhN2at4cuda3cub6detail10OpaqueTypeILi8EEEEEPhSC_PSA_SD_jNS1_19radix_merge_compareILb1ELb0EhNS0_19identity_decomposerEEEEEvT0_T1_T2_T3_T4_SL_T5_,@function
_ZN7rocprim17ROCPRIM_304000_NS6detail33device_block_merge_oddeven_kernelINS1_37wrapped_merge_sort_block_merge_configINS0_14default_configEhN2at4cuda3cub6detail10OpaqueTypeILi8EEEEEPhSC_PSA_SD_jNS1_19radix_merge_compareILb1ELb0EhNS0_19identity_decomposerEEEEEvT0_T1_T2_T3_T4_SL_T5_: ; @_ZN7rocprim17ROCPRIM_304000_NS6detail33device_block_merge_oddeven_kernelINS1_37wrapped_merge_sort_block_merge_configINS0_14default_configEhN2at4cuda3cub6detail10OpaqueTypeILi8EEEEEPhSC_PSA_SD_jNS1_19radix_merge_compareILb1ELb0EhNS0_19identity_decomposerEEEEEvT0_T1_T2_T3_T4_SL_T5_
; %bb.0:
	s_load_dwordx2 s[16:17], s[0:1], 0x20
	s_waitcnt lgkmcnt(0)
	s_lshr_b32 s3, s16, 8
	s_cmp_eq_u32 s2, s3
	s_cselect_b64 s[6:7], -1, 0
	s_cmp_lg_u32 s2, s3
	s_cselect_b64 s[8:9], -1, 0
	s_lshl_b32 s18, s2, 8
	s_sub_i32 s3, s16, s18
	v_cmp_gt_u32_e64 s[4:5], s3, v0
	s_or_b64 s[8:9], s[8:9], s[4:5]
	s_and_saveexec_b64 s[10:11], s[8:9]
	s_cbranch_execz .LBB4_24
; %bb.1:
	s_load_dwordx8 s[8:15], s[0:1], 0x0
	s_mov_b32 s19, 0
	v_lshlrev_b32_e32 v1, 3, v0
	s_waitcnt lgkmcnt(0)
	s_add_u32 s0, s8, s18
	s_addc_u32 s1, s9, 0
	s_lshl_b64 s[20:21], s[18:19], 3
	s_add_u32 s12, s12, s20
	s_addc_u32 s13, s13, s21
	global_load_dwordx2 v[2:3], v1, s[12:13]
	global_load_ubyte v4, v0, s[0:1]
	s_lshr_b32 s0, s17, 8
	s_sub_i32 s1, 0, s0
	s_and_b32 s1, s2, s1
	s_and_b32 s0, s1, s0
	s_lshl_b32 s19, s1, 8
	s_sub_i32 s12, 0, s17
	s_cmp_eq_u32 s0, 0
	s_cselect_b64 s[0:1], -1, 0
	s_and_b64 s[2:3], s[0:1], exec
	s_cselect_b32 s12, s17, s12
	s_add_i32 s12, s12, s19
	s_mov_b64 s[2:3], -1
	s_cmp_gt_u32 s16, s12
	v_add_u32_e32 v0, s18, v0
	s_cbranch_scc1 .LBB4_9
; %bb.2:
	s_and_b64 vcc, exec, s[6:7]
	s_cbranch_vccz .LBB4_6
; %bb.3:
	v_cmp_gt_u32_e32 vcc, s16, v0
	s_and_saveexec_b64 s[2:3], vcc
	s_cbranch_execz .LBB4_5
; %bb.4:
	v_mov_b32_e32 v1, 0
	v_lshl_add_u64 v[6:7], v[0:1], 3, s[14:15]
	s_waitcnt vmcnt(0)
	global_store_byte v0, v4, s[10:11]
	global_store_dwordx2 v[6:7], v[2:3], off
.LBB4_5:
	s_or_b64 exec, exec, s[2:3]
	s_mov_b64 s[2:3], 0
.LBB4_6:
	s_andn2_b64 vcc, exec, s[2:3]
	s_cbranch_vccnz .LBB4_8
; %bb.7:
	v_mov_b32_e32 v1, 0
	v_lshl_add_u64 v[6:7], v[0:1], 3, s[14:15]
	s_waitcnt vmcnt(0)
	global_store_byte v0, v4, s[10:11]
	global_store_dwordx2 v[6:7], v[2:3], off
.LBB4_8:
	s_mov_b64 s[2:3], 0
.LBB4_9:
	s_andn2_b64 vcc, exec, s[2:3]
	s_cbranch_vccnz .LBB4_24
; %bb.10:
	s_min_u32 s13, s12, s16
	s_add_i32 s2, s13, s17
	s_min_u32 s16, s2, s16
	s_min_u32 s2, s19, s13
	s_add_i32 s19, s19, s13
	v_subrev_u32_e32 v0, s19, v0
	v_add_u32_e32 v0, s2, v0
	s_andn2_b64 vcc, exec, s[6:7]
	s_mov_b64 s[2:3], -1
	s_cbranch_vccnz .LBB4_18
; %bb.11:
	s_and_saveexec_b64 s[2:3], s[4:5]
	s_cbranch_execz .LBB4_17
; %bb.12:
	s_cmp_ge_u32 s12, s16
	v_mov_b32_e32 v1, s13
	s_cbranch_scc1 .LBB4_16
; %bb.13:
	s_mov_b64 s[4:5], 0
	v_mov_b32_e32 v5, s16
	v_mov_b32_e32 v1, s13
.LBB4_14:                               ; =>This Inner Loop Header: Depth=1
	v_add_u32_e32 v6, v1, v5
	v_lshrrev_b32_e32 v6, 1, v6
	global_load_ubyte v7, v6, s[8:9]
	v_add_u32_e32 v8, 1, v6
	s_waitcnt vmcnt(0)
	v_cmp_gt_u16_sdwa s[6:7], v7, v4 src0_sel:DWORD src1_sel:BYTE_0
	s_nop 1
	v_cndmask_b32_e64 v9, 0, 1, s[6:7]
	v_cmp_le_u16_sdwa s[6:7], v4, v7 src0_sel:BYTE_0 src1_sel:DWORD
	s_nop 1
	v_cndmask_b32_e64 v7, 0, 1, s[6:7]
	v_cndmask_b32_e64 v7, v7, v9, s[0:1]
	v_and_b32_e32 v7, 1, v7
	v_cmp_eq_u32_e32 vcc, 1, v7
	s_nop 1
	v_cndmask_b32_e32 v5, v6, v5, vcc
	v_cndmask_b32_e32 v1, v1, v8, vcc
	v_cmp_ge_u32_e32 vcc, v1, v5
	s_or_b64 s[4:5], vcc, s[4:5]
	s_andn2_b64 exec, exec, s[4:5]
	s_cbranch_execnz .LBB4_14
; %bb.15:
	s_or_b64 exec, exec, s[4:5]
.LBB4_16:
	v_add_u32_e32 v6, v1, v0
	v_mov_b32_e32 v7, 0
	s_waitcnt vmcnt(0)
	global_store_byte v6, v4, s[10:11]
	v_lshl_add_u64 v[6:7], v[6:7], 3, s[14:15]
	global_store_dwordx2 v[6:7], v[2:3], off
.LBB4_17:
	s_or_b64 exec, exec, s[2:3]
	s_mov_b64 s[2:3], 0
.LBB4_18:
	s_andn2_b64 vcc, exec, s[2:3]
	s_cbranch_vccnz .LBB4_24
; %bb.19:
	s_cmp_ge_u32 s12, s16
	v_mov_b32_e32 v1, s13
	s_cbranch_scc1 .LBB4_23
; %bb.20:
	s_mov_b64 s[2:3], 0
	v_mov_b32_e32 v5, s16
	v_mov_b32_e32 v1, s13
.LBB4_21:                               ; =>This Inner Loop Header: Depth=1
	v_add_u32_e32 v6, v1, v5
	v_lshrrev_b32_e32 v6, 1, v6
	global_load_ubyte v7, v6, s[8:9]
	v_add_u32_e32 v8, 1, v6
	s_waitcnt vmcnt(0)
	v_cmp_gt_u16_sdwa s[4:5], v7, v4 src0_sel:DWORD src1_sel:BYTE_0
	s_nop 1
	v_cndmask_b32_e64 v9, 0, 1, s[4:5]
	v_cmp_le_u16_sdwa s[4:5], v4, v7 src0_sel:BYTE_0 src1_sel:DWORD
	s_nop 1
	v_cndmask_b32_e64 v7, 0, 1, s[4:5]
	v_cndmask_b32_e64 v7, v7, v9, s[0:1]
	v_and_b32_e32 v7, 1, v7
	v_cmp_eq_u32_e32 vcc, 1, v7
	s_nop 1
	v_cndmask_b32_e32 v5, v6, v5, vcc
	v_cndmask_b32_e32 v1, v1, v8, vcc
	v_cmp_ge_u32_e32 vcc, v1, v5
	s_or_b64 s[2:3], vcc, s[2:3]
	s_andn2_b64 exec, exec, s[2:3]
	s_cbranch_execnz .LBB4_21
; %bb.22:
	s_or_b64 exec, exec, s[2:3]
.LBB4_23:
	v_add_u32_e32 v0, v1, v0
	v_mov_b32_e32 v1, 0
	s_waitcnt vmcnt(0)
	global_store_byte v0, v4, s[10:11]
	v_lshl_add_u64 v[0:1], v[0:1], 3, s[14:15]
	global_store_dwordx2 v[0:1], v[2:3], off
.LBB4_24:
	s_endpgm
	.section	.rodata,"a",@progbits
	.p2align	6, 0x0
	.amdhsa_kernel _ZN7rocprim17ROCPRIM_304000_NS6detail33device_block_merge_oddeven_kernelINS1_37wrapped_merge_sort_block_merge_configINS0_14default_configEhN2at4cuda3cub6detail10OpaqueTypeILi8EEEEEPhSC_PSA_SD_jNS1_19radix_merge_compareILb1ELb0EhNS0_19identity_decomposerEEEEEvT0_T1_T2_T3_T4_SL_T5_
		.amdhsa_group_segment_fixed_size 0
		.amdhsa_private_segment_fixed_size 0
		.amdhsa_kernarg_size 44
		.amdhsa_user_sgpr_count 2
		.amdhsa_user_sgpr_dispatch_ptr 0
		.amdhsa_user_sgpr_queue_ptr 0
		.amdhsa_user_sgpr_kernarg_segment_ptr 1
		.amdhsa_user_sgpr_dispatch_id 0
		.amdhsa_user_sgpr_kernarg_preload_length 0
		.amdhsa_user_sgpr_kernarg_preload_offset 0
		.amdhsa_user_sgpr_private_segment_size 0
		.amdhsa_uses_dynamic_stack 0
		.amdhsa_enable_private_segment 0
		.amdhsa_system_sgpr_workgroup_id_x 1
		.amdhsa_system_sgpr_workgroup_id_y 0
		.amdhsa_system_sgpr_workgroup_id_z 0
		.amdhsa_system_sgpr_workgroup_info 0
		.amdhsa_system_vgpr_workitem_id 0
		.amdhsa_next_free_vgpr 10
		.amdhsa_next_free_sgpr 22
		.amdhsa_accum_offset 12
		.amdhsa_reserve_vcc 1
		.amdhsa_float_round_mode_32 0
		.amdhsa_float_round_mode_16_64 0
		.amdhsa_float_denorm_mode_32 3
		.amdhsa_float_denorm_mode_16_64 3
		.amdhsa_dx10_clamp 1
		.amdhsa_ieee_mode 1
		.amdhsa_fp16_overflow 0
		.amdhsa_tg_split 0
		.amdhsa_exception_fp_ieee_invalid_op 0
		.amdhsa_exception_fp_denorm_src 0
		.amdhsa_exception_fp_ieee_div_zero 0
		.amdhsa_exception_fp_ieee_overflow 0
		.amdhsa_exception_fp_ieee_underflow 0
		.amdhsa_exception_fp_ieee_inexact 0
		.amdhsa_exception_int_div_zero 0
	.end_amdhsa_kernel
	.section	.text._ZN7rocprim17ROCPRIM_304000_NS6detail33device_block_merge_oddeven_kernelINS1_37wrapped_merge_sort_block_merge_configINS0_14default_configEhN2at4cuda3cub6detail10OpaqueTypeILi8EEEEEPhSC_PSA_SD_jNS1_19radix_merge_compareILb1ELb0EhNS0_19identity_decomposerEEEEEvT0_T1_T2_T3_T4_SL_T5_,"axG",@progbits,_ZN7rocprim17ROCPRIM_304000_NS6detail33device_block_merge_oddeven_kernelINS1_37wrapped_merge_sort_block_merge_configINS0_14default_configEhN2at4cuda3cub6detail10OpaqueTypeILi8EEEEEPhSC_PSA_SD_jNS1_19radix_merge_compareILb1ELb0EhNS0_19identity_decomposerEEEEEvT0_T1_T2_T3_T4_SL_T5_,comdat
.Lfunc_end4:
	.size	_ZN7rocprim17ROCPRIM_304000_NS6detail33device_block_merge_oddeven_kernelINS1_37wrapped_merge_sort_block_merge_configINS0_14default_configEhN2at4cuda3cub6detail10OpaqueTypeILi8EEEEEPhSC_PSA_SD_jNS1_19radix_merge_compareILb1ELb0EhNS0_19identity_decomposerEEEEEvT0_T1_T2_T3_T4_SL_T5_, .Lfunc_end4-_ZN7rocprim17ROCPRIM_304000_NS6detail33device_block_merge_oddeven_kernelINS1_37wrapped_merge_sort_block_merge_configINS0_14default_configEhN2at4cuda3cub6detail10OpaqueTypeILi8EEEEEPhSC_PSA_SD_jNS1_19radix_merge_compareILb1ELb0EhNS0_19identity_decomposerEEEEEvT0_T1_T2_T3_T4_SL_T5_
                                        ; -- End function
	.set _ZN7rocprim17ROCPRIM_304000_NS6detail33device_block_merge_oddeven_kernelINS1_37wrapped_merge_sort_block_merge_configINS0_14default_configEhN2at4cuda3cub6detail10OpaqueTypeILi8EEEEEPhSC_PSA_SD_jNS1_19radix_merge_compareILb1ELb0EhNS0_19identity_decomposerEEEEEvT0_T1_T2_T3_T4_SL_T5_.num_vgpr, 10
	.set _ZN7rocprim17ROCPRIM_304000_NS6detail33device_block_merge_oddeven_kernelINS1_37wrapped_merge_sort_block_merge_configINS0_14default_configEhN2at4cuda3cub6detail10OpaqueTypeILi8EEEEEPhSC_PSA_SD_jNS1_19radix_merge_compareILb1ELb0EhNS0_19identity_decomposerEEEEEvT0_T1_T2_T3_T4_SL_T5_.num_agpr, 0
	.set _ZN7rocprim17ROCPRIM_304000_NS6detail33device_block_merge_oddeven_kernelINS1_37wrapped_merge_sort_block_merge_configINS0_14default_configEhN2at4cuda3cub6detail10OpaqueTypeILi8EEEEEPhSC_PSA_SD_jNS1_19radix_merge_compareILb1ELb0EhNS0_19identity_decomposerEEEEEvT0_T1_T2_T3_T4_SL_T5_.numbered_sgpr, 22
	.set _ZN7rocprim17ROCPRIM_304000_NS6detail33device_block_merge_oddeven_kernelINS1_37wrapped_merge_sort_block_merge_configINS0_14default_configEhN2at4cuda3cub6detail10OpaqueTypeILi8EEEEEPhSC_PSA_SD_jNS1_19radix_merge_compareILb1ELb0EhNS0_19identity_decomposerEEEEEvT0_T1_T2_T3_T4_SL_T5_.num_named_barrier, 0
	.set _ZN7rocprim17ROCPRIM_304000_NS6detail33device_block_merge_oddeven_kernelINS1_37wrapped_merge_sort_block_merge_configINS0_14default_configEhN2at4cuda3cub6detail10OpaqueTypeILi8EEEEEPhSC_PSA_SD_jNS1_19radix_merge_compareILb1ELb0EhNS0_19identity_decomposerEEEEEvT0_T1_T2_T3_T4_SL_T5_.private_seg_size, 0
	.set _ZN7rocprim17ROCPRIM_304000_NS6detail33device_block_merge_oddeven_kernelINS1_37wrapped_merge_sort_block_merge_configINS0_14default_configEhN2at4cuda3cub6detail10OpaqueTypeILi8EEEEEPhSC_PSA_SD_jNS1_19radix_merge_compareILb1ELb0EhNS0_19identity_decomposerEEEEEvT0_T1_T2_T3_T4_SL_T5_.uses_vcc, 1
	.set _ZN7rocprim17ROCPRIM_304000_NS6detail33device_block_merge_oddeven_kernelINS1_37wrapped_merge_sort_block_merge_configINS0_14default_configEhN2at4cuda3cub6detail10OpaqueTypeILi8EEEEEPhSC_PSA_SD_jNS1_19radix_merge_compareILb1ELb0EhNS0_19identity_decomposerEEEEEvT0_T1_T2_T3_T4_SL_T5_.uses_flat_scratch, 0
	.set _ZN7rocprim17ROCPRIM_304000_NS6detail33device_block_merge_oddeven_kernelINS1_37wrapped_merge_sort_block_merge_configINS0_14default_configEhN2at4cuda3cub6detail10OpaqueTypeILi8EEEEEPhSC_PSA_SD_jNS1_19radix_merge_compareILb1ELb0EhNS0_19identity_decomposerEEEEEvT0_T1_T2_T3_T4_SL_T5_.has_dyn_sized_stack, 0
	.set _ZN7rocprim17ROCPRIM_304000_NS6detail33device_block_merge_oddeven_kernelINS1_37wrapped_merge_sort_block_merge_configINS0_14default_configEhN2at4cuda3cub6detail10OpaqueTypeILi8EEEEEPhSC_PSA_SD_jNS1_19radix_merge_compareILb1ELb0EhNS0_19identity_decomposerEEEEEvT0_T1_T2_T3_T4_SL_T5_.has_recursion, 0
	.set _ZN7rocprim17ROCPRIM_304000_NS6detail33device_block_merge_oddeven_kernelINS1_37wrapped_merge_sort_block_merge_configINS0_14default_configEhN2at4cuda3cub6detail10OpaqueTypeILi8EEEEEPhSC_PSA_SD_jNS1_19radix_merge_compareILb1ELb0EhNS0_19identity_decomposerEEEEEvT0_T1_T2_T3_T4_SL_T5_.has_indirect_call, 0
	.section	.AMDGPU.csdata,"",@progbits
; Kernel info:
; codeLenInByte = 700
; TotalNumSgprs: 28
; NumVgprs: 10
; NumAgprs: 0
; TotalNumVgprs: 10
; ScratchSize: 0
; MemoryBound: 0
; FloatMode: 240
; IeeeMode: 1
; LDSByteSize: 0 bytes/workgroup (compile time only)
; SGPRBlocks: 3
; VGPRBlocks: 1
; NumSGPRsForWavesPerEU: 28
; NumVGPRsForWavesPerEU: 10
; AccumOffset: 12
; Occupancy: 8
; WaveLimiterHint : 0
; COMPUTE_PGM_RSRC2:SCRATCH_EN: 0
; COMPUTE_PGM_RSRC2:USER_SGPR: 2
; COMPUTE_PGM_RSRC2:TRAP_HANDLER: 0
; COMPUTE_PGM_RSRC2:TGID_X_EN: 1
; COMPUTE_PGM_RSRC2:TGID_Y_EN: 0
; COMPUTE_PGM_RSRC2:TGID_Z_EN: 0
; COMPUTE_PGM_RSRC2:TIDIG_COMP_CNT: 0
; COMPUTE_PGM_RSRC3_GFX90A:ACCUM_OFFSET: 2
; COMPUTE_PGM_RSRC3_GFX90A:TG_SPLIT: 0
	.section	.text._ZN7rocprim17ROCPRIM_304000_NS6detail16transform_kernelINS1_24wrapped_transform_configINS0_14default_configEhEEhPhS6_NS0_8identityIhEEEEvT1_mT2_T3_,"axG",@progbits,_ZN7rocprim17ROCPRIM_304000_NS6detail16transform_kernelINS1_24wrapped_transform_configINS0_14default_configEhEEhPhS6_NS0_8identityIhEEEEvT1_mT2_T3_,comdat
	.protected	_ZN7rocprim17ROCPRIM_304000_NS6detail16transform_kernelINS1_24wrapped_transform_configINS0_14default_configEhEEhPhS6_NS0_8identityIhEEEEvT1_mT2_T3_ ; -- Begin function _ZN7rocprim17ROCPRIM_304000_NS6detail16transform_kernelINS1_24wrapped_transform_configINS0_14default_configEhEEhPhS6_NS0_8identityIhEEEEvT1_mT2_T3_
	.globl	_ZN7rocprim17ROCPRIM_304000_NS6detail16transform_kernelINS1_24wrapped_transform_configINS0_14default_configEhEEhPhS6_NS0_8identityIhEEEEvT1_mT2_T3_
	.p2align	8
	.type	_ZN7rocprim17ROCPRIM_304000_NS6detail16transform_kernelINS1_24wrapped_transform_configINS0_14default_configEhEEhPhS6_NS0_8identityIhEEEEvT1_mT2_T3_,@function
_ZN7rocprim17ROCPRIM_304000_NS6detail16transform_kernelINS1_24wrapped_transform_configINS0_14default_configEhEEhPhS6_NS0_8identityIhEEEEvT1_mT2_T3_: ; @_ZN7rocprim17ROCPRIM_304000_NS6detail16transform_kernelINS1_24wrapped_transform_configINS0_14default_configEhEEhPhS6_NS0_8identityIhEEEEvT1_mT2_T3_
; %bb.0:
	s_load_dword s3, s[0:1], 0x20
	s_load_dwordx4 s[4:7], s[0:1], 0x0
	s_load_dwordx2 s[14:15], s[0:1], 0x10
	s_lshl_b32 s20, s2, 10
	v_mov_b32_e32 v1, 0
	s_waitcnt lgkmcnt(0)
	s_add_i32 s3, s3, -1
	s_add_u32 s0, s4, s20
	s_addc_u32 s1, s5, 0
	s_cmp_lg_u32 s2, s3
	v_lshl_add_u64 v[2:3], s[0:1], 0, v[0:1]
	s_cbranch_scc0 .LBB5_2
; %bb.1:
	global_load_ubyte v5, v[2:3], off
	global_load_ubyte v8, v[2:3], off offset:128
	global_load_ubyte v9, v[2:3], off offset:256
	;; [unrolled: 1-line block ×7, first 2 shown]
	s_add_u32 s2, s14, s20
	s_addc_u32 s3, s15, 0
	v_lshl_add_u64 v[6:7], s[2:3], 0, v[0:1]
	s_mov_b64 s[16:17], -1
	s_waitcnt vmcnt(7)
	global_store_byte v[6:7], v5, off
	s_waitcnt vmcnt(7)
	global_store_byte v[6:7], v8, off offset:128
	s_waitcnt vmcnt(7)
	global_store_byte v[6:7], v9, off offset:256
	;; [unrolled: 2-line block ×6, first 2 shown]
	s_cbranch_execz .LBB5_3
	s_branch .LBB5_34
.LBB5_2:
	s_mov_b64 s[16:17], 0
                                        ; implicit-def: $vgpr4
.LBB5_3:
	s_sub_i32 s18, s6, s20
	v_cmp_gt_u32_e32 vcc, s18, v0
	v_mov_b32_e32 v12, 0
	v_mov_b32_e32 v13, 0
	v_mov_b32_e32 v14, 0
	v_mov_b32_e32 v8, 0
	v_mov_b32_e32 v9, 0
	v_mov_b32_e32 v10, 0
	v_mov_b32_e32 v11, 0
	s_and_saveexec_b64 s[0:1], vcc
	s_cbranch_execz .LBB5_5
; %bb.4:
	global_load_ubyte v13, v[2:3], off
	v_mov_b32_e32 v14, 0
	v_mov_b32_e32 v8, 0
	;; [unrolled: 1-line block ×5, first 2 shown]
.LBB5_5:
	s_or_b64 exec, exec, s[0:1]
	s_waitcnt vmcnt(7)
	v_or_b32_e32 v4, 0x80, v0
	v_cmp_gt_u32_e64 s[0:1], s18, v4
	v_mov_b32_e32 v15, v12
	s_and_saveexec_b64 s[2:3], s[0:1]
	s_cbranch_execz .LBB5_7
; %bb.6:
	global_load_ubyte v15, v[2:3], off offset:128
.LBB5_7:
	s_or_b64 exec, exec, s[2:3]
	v_or_b32_e32 v4, 0x100, v0
	v_cmp_gt_u32_e64 s[2:3], s18, v4
	s_and_saveexec_b64 s[4:5], s[2:3]
	s_cbranch_execz .LBB5_9
; %bb.8:
	global_load_ubyte v12, v[2:3], off offset:256
.LBB5_9:
	s_or_b64 exec, exec, s[4:5]
	v_or_b32_e32 v4, 0x180, v0
	v_cmp_gt_u32_e64 s[4:5], s18, v4
	;; [unrolled: 8-line block ×6, first 2 shown]
	s_and_saveexec_b64 s[18:19], s[12:13]
	s_cbranch_execz .LBB5_19
; %bb.18:
	global_load_ubyte v11, v[2:3], off offset:896
.LBB5_19:
	s_or_b64 exec, exec, s[18:19]
	s_mov_b32 s18, 0xffff
	s_waitcnt vmcnt(0)
	v_and_b32_sdwa v2, s18, v13 dst_sel:DWORD dst_unused:UNUSED_PAD src0_sel:DWORD src1_sel:BYTE_0
	s_add_u32 s18, s14, s20
	s_addc_u32 s19, s15, 0
	v_mov_b32_e32 v5, 0
	v_cndmask_b32_e32 v4, 0, v2, vcc
	v_lshl_add_u64 v[2:3], s[18:19], 0, v[0:1]
	s_and_saveexec_b64 s[18:19], vcc
	s_cbranch_execz .LBB5_21
; %bb.20:
	global_store_byte v[2:3], v4, off
.LBB5_21:
	s_or_b64 exec, exec, s[18:19]
	s_mov_b32 s18, 0xc0c0004
	v_perm_b32 v6, v13, v15, s18
	v_perm_b32 v7, v12, v14, s18
	v_lshl_or_b32 v16, v7, 16, v6
	v_cndmask_b32_e64 v17, v4, v16, s[0:1]
	s_and_saveexec_b64 s[18:19], s[0:1]
	s_cbranch_execz .LBB5_23
; %bb.22:
	v_lshrrev_b32_e32 v6, 8, v17
	global_store_byte v[2:3], v6, off offset:128
.LBB5_23:
	s_or_b64 exec, exec, s[18:19]
	s_movk_i32 s0, 0xff00
	s_mov_b64 vcc, s[2:3]
	v_bitop3_b16 v18, v4, v17, s0 bitop3:0xf8
	v_lshrrev_b64 v[6:7], 24, v[4:5]
	v_mov_b32_e32 v5, 8
	v_lshrrev_b32_sdwa v5, v5, v17 dst_sel:BYTE_1 dst_unused:UNUSED_PAD src0_sel:DWORD src1_sel:DWORD
	v_cndmask_b32_sdwa v7, v18, v16, vcc dst_sel:DWORD dst_unused:UNUSED_PAD src0_sel:WORD_0 src1_sel:DWORD
	s_and_saveexec_b64 s[0:1], s[2:3]
	s_cbranch_execz .LBB5_25
; %bb.24:
	global_store_byte_d16_hi v[2:3], v7, off offset:256
.LBB5_25:
	s_or_b64 exec, exec, s[0:1]
	s_mov_b32 s0, 0xc0c0006
	v_or_b32_e32 v4, v4, v5
	v_perm_b32 v6, v7, v6, s0
	v_and_b32_e32 v4, 0xffff, v4
	s_mov_b32 s0, 0xc0c0004
	v_lshl_or_b32 v4, v6, 16, v4
	v_perm_b32 v5, v13, v15, s0
	v_perm_b32 v6, v12, v14, s0
	v_lshl_or_b32 v5, v6, 16, v5
	v_cndmask_b32_e64 v4, v4, v5, s[4:5]
	v_perm_b32 v5, v8, v9, s0
	v_perm_b32 v6, v10, v11, s0
	v_lshl_or_b32 v5, v6, 16, v5
	s_and_saveexec_b64 s[0:1], s[4:5]
	s_cbranch_execz .LBB5_27
; %bb.26:
	v_lshrrev_b32_e32 v4, 24, v4
	global_store_byte v[2:3], v4, off offset:384
.LBB5_27:
	s_or_b64 exec, exec, s[0:1]
	v_cndmask_b32_e64 v5, 0, v5, s[6:7]
	s_and_saveexec_b64 s[0:1], s[6:7]
	s_cbranch_execz .LBB5_29
; %bb.28:
	global_store_byte v[2:3], v5, off offset:512
.LBB5_29:
	s_or_b64 exec, exec, s[0:1]
	s_mov_b32 s0, 0xc0c0004
	v_perm_b32 v4, v8, v9, s0
	v_perm_b32 v6, v10, v11, s0
	v_lshl_or_b32 v4, v6, 16, v4
	s_mov_b64 vcc, s[8:9]
	v_cndmask_b32_sdwa v4, v5, v4, vcc dst_sel:DWORD dst_unused:UNUSED_PAD src0_sel:BYTE_0 src1_sel:DWORD
	v_lshrrev_b32_e32 v6, 8, v4
	s_and_saveexec_b64 s[0:1], s[8:9]
	s_cbranch_execnz .LBB5_37
; %bb.30:
	s_or_b64 exec, exec, s[0:1]
	s_and_saveexec_b64 s[0:1], s[10:11]
	s_cbranch_execnz .LBB5_38
.LBB5_31:
	s_or_b64 exec, exec, s[0:1]
                                        ; implicit-def: $vgpr4
	s_and_saveexec_b64 s[0:1], s[12:13]
.LBB5_32:
	s_mov_b32 s2, 0xc0c0004
	v_perm_b32 v2, v8, v9, s2
	v_perm_b32 v3, v10, v11, s2
	v_lshl_or_b32 v2, v3, 16, v2
	v_perm_b32 v3, v5, v6, s2
	v_cndmask_b32_e64 v2, v3, v2, s[12:13]
	v_lshrrev_b32_e32 v4, 24, v2
	s_or_b64 s[16:17], s[16:17], exec
.LBB5_33:
	s_or_b64 exec, exec, s[0:1]
.LBB5_34:
	s_and_saveexec_b64 s[0:1], s[16:17]
	s_cbranch_execnz .LBB5_36
; %bb.35:
	s_endpgm
.LBB5_36:
	s_add_u32 s0, s14, s20
	s_addc_u32 s1, s15, 0
	v_lshl_add_u64 v[0:1], s[0:1], 0, v[0:1]
	s_waitcnt vmcnt(7)
	global_store_byte v[0:1], v4, off offset:896
	s_endpgm
.LBB5_37:
	global_store_byte v[2:3], v6, off offset:640
	s_or_b64 exec, exec, s[0:1]
	s_and_saveexec_b64 s[0:1], s[10:11]
	s_cbranch_execz .LBB5_31
.LBB5_38:
	s_mov_b32 s2, 0xc0c0004
	v_perm_b32 v4, v8, v9, s2
	v_perm_b32 v7, v10, v11, s2
	v_lshl_or_b32 v4, v7, 16, v4
	v_perm_b32 v7, v5, v6, s2
	v_cndmask_b32_e64 v4, v7, v4, s[10:11]
	global_store_byte_d16_hi v[2:3], v4, off offset:768
	s_or_b64 exec, exec, s[0:1]
                                        ; implicit-def: $vgpr4
	s_and_saveexec_b64 s[0:1], s[12:13]
	s_cbranch_execnz .LBB5_32
	s_branch .LBB5_33
	.section	.rodata,"a",@progbits
	.p2align	6, 0x0
	.amdhsa_kernel _ZN7rocprim17ROCPRIM_304000_NS6detail16transform_kernelINS1_24wrapped_transform_configINS0_14default_configEhEEhPhS6_NS0_8identityIhEEEEvT1_mT2_T3_
		.amdhsa_group_segment_fixed_size 0
		.amdhsa_private_segment_fixed_size 0
		.amdhsa_kernarg_size 288
		.amdhsa_user_sgpr_count 2
		.amdhsa_user_sgpr_dispatch_ptr 0
		.amdhsa_user_sgpr_queue_ptr 0
		.amdhsa_user_sgpr_kernarg_segment_ptr 1
		.amdhsa_user_sgpr_dispatch_id 0
		.amdhsa_user_sgpr_kernarg_preload_length 0
		.amdhsa_user_sgpr_kernarg_preload_offset 0
		.amdhsa_user_sgpr_private_segment_size 0
		.amdhsa_uses_dynamic_stack 0
		.amdhsa_enable_private_segment 0
		.amdhsa_system_sgpr_workgroup_id_x 1
		.amdhsa_system_sgpr_workgroup_id_y 0
		.amdhsa_system_sgpr_workgroup_id_z 0
		.amdhsa_system_sgpr_workgroup_info 0
		.amdhsa_system_vgpr_workitem_id 0
		.amdhsa_next_free_vgpr 19
		.amdhsa_next_free_sgpr 21
		.amdhsa_accum_offset 20
		.amdhsa_reserve_vcc 1
		.amdhsa_float_round_mode_32 0
		.amdhsa_float_round_mode_16_64 0
		.amdhsa_float_denorm_mode_32 3
		.amdhsa_float_denorm_mode_16_64 3
		.amdhsa_dx10_clamp 1
		.amdhsa_ieee_mode 1
		.amdhsa_fp16_overflow 0
		.amdhsa_tg_split 0
		.amdhsa_exception_fp_ieee_invalid_op 0
		.amdhsa_exception_fp_denorm_src 0
		.amdhsa_exception_fp_ieee_div_zero 0
		.amdhsa_exception_fp_ieee_overflow 0
		.amdhsa_exception_fp_ieee_underflow 0
		.amdhsa_exception_fp_ieee_inexact 0
		.amdhsa_exception_int_div_zero 0
	.end_amdhsa_kernel
	.section	.text._ZN7rocprim17ROCPRIM_304000_NS6detail16transform_kernelINS1_24wrapped_transform_configINS0_14default_configEhEEhPhS6_NS0_8identityIhEEEEvT1_mT2_T3_,"axG",@progbits,_ZN7rocprim17ROCPRIM_304000_NS6detail16transform_kernelINS1_24wrapped_transform_configINS0_14default_configEhEEhPhS6_NS0_8identityIhEEEEvT1_mT2_T3_,comdat
.Lfunc_end5:
	.size	_ZN7rocprim17ROCPRIM_304000_NS6detail16transform_kernelINS1_24wrapped_transform_configINS0_14default_configEhEEhPhS6_NS0_8identityIhEEEEvT1_mT2_T3_, .Lfunc_end5-_ZN7rocprim17ROCPRIM_304000_NS6detail16transform_kernelINS1_24wrapped_transform_configINS0_14default_configEhEEhPhS6_NS0_8identityIhEEEEvT1_mT2_T3_
                                        ; -- End function
	.set _ZN7rocprim17ROCPRIM_304000_NS6detail16transform_kernelINS1_24wrapped_transform_configINS0_14default_configEhEEhPhS6_NS0_8identityIhEEEEvT1_mT2_T3_.num_vgpr, 19
	.set _ZN7rocprim17ROCPRIM_304000_NS6detail16transform_kernelINS1_24wrapped_transform_configINS0_14default_configEhEEhPhS6_NS0_8identityIhEEEEvT1_mT2_T3_.num_agpr, 0
	.set _ZN7rocprim17ROCPRIM_304000_NS6detail16transform_kernelINS1_24wrapped_transform_configINS0_14default_configEhEEhPhS6_NS0_8identityIhEEEEvT1_mT2_T3_.numbered_sgpr, 21
	.set _ZN7rocprim17ROCPRIM_304000_NS6detail16transform_kernelINS1_24wrapped_transform_configINS0_14default_configEhEEhPhS6_NS0_8identityIhEEEEvT1_mT2_T3_.num_named_barrier, 0
	.set _ZN7rocprim17ROCPRIM_304000_NS6detail16transform_kernelINS1_24wrapped_transform_configINS0_14default_configEhEEhPhS6_NS0_8identityIhEEEEvT1_mT2_T3_.private_seg_size, 0
	.set _ZN7rocprim17ROCPRIM_304000_NS6detail16transform_kernelINS1_24wrapped_transform_configINS0_14default_configEhEEhPhS6_NS0_8identityIhEEEEvT1_mT2_T3_.uses_vcc, 1
	.set _ZN7rocprim17ROCPRIM_304000_NS6detail16transform_kernelINS1_24wrapped_transform_configINS0_14default_configEhEEhPhS6_NS0_8identityIhEEEEvT1_mT2_T3_.uses_flat_scratch, 0
	.set _ZN7rocprim17ROCPRIM_304000_NS6detail16transform_kernelINS1_24wrapped_transform_configINS0_14default_configEhEEhPhS6_NS0_8identityIhEEEEvT1_mT2_T3_.has_dyn_sized_stack, 0
	.set _ZN7rocprim17ROCPRIM_304000_NS6detail16transform_kernelINS1_24wrapped_transform_configINS0_14default_configEhEEhPhS6_NS0_8identityIhEEEEvT1_mT2_T3_.has_recursion, 0
	.set _ZN7rocprim17ROCPRIM_304000_NS6detail16transform_kernelINS1_24wrapped_transform_configINS0_14default_configEhEEhPhS6_NS0_8identityIhEEEEvT1_mT2_T3_.has_indirect_call, 0
	.section	.AMDGPU.csdata,"",@progbits
; Kernel info:
; codeLenInByte = 1196
; TotalNumSgprs: 27
; NumVgprs: 19
; NumAgprs: 0
; TotalNumVgprs: 19
; ScratchSize: 0
; MemoryBound: 0
; FloatMode: 240
; IeeeMode: 1
; LDSByteSize: 0 bytes/workgroup (compile time only)
; SGPRBlocks: 3
; VGPRBlocks: 2
; NumSGPRsForWavesPerEU: 27
; NumVGPRsForWavesPerEU: 19
; AccumOffset: 20
; Occupancy: 8
; WaveLimiterHint : 1
; COMPUTE_PGM_RSRC2:SCRATCH_EN: 0
; COMPUTE_PGM_RSRC2:USER_SGPR: 2
; COMPUTE_PGM_RSRC2:TRAP_HANDLER: 0
; COMPUTE_PGM_RSRC2:TGID_X_EN: 1
; COMPUTE_PGM_RSRC2:TGID_Y_EN: 0
; COMPUTE_PGM_RSRC2:TGID_Z_EN: 0
; COMPUTE_PGM_RSRC2:TIDIG_COMP_CNT: 0
; COMPUTE_PGM_RSRC3_GFX90A:ACCUM_OFFSET: 4
; COMPUTE_PGM_RSRC3_GFX90A:TG_SPLIT: 0
	.section	.text._ZN7rocprim17ROCPRIM_304000_NS6detail16transform_kernelINS1_24wrapped_transform_configINS0_14default_configEN2at4cuda3cub6detail10OpaqueTypeILi8EEEEESA_PSA_SC_NS0_8identityISA_EEEEvT1_mT2_T3_,"axG",@progbits,_ZN7rocprim17ROCPRIM_304000_NS6detail16transform_kernelINS1_24wrapped_transform_configINS0_14default_configEN2at4cuda3cub6detail10OpaqueTypeILi8EEEEESA_PSA_SC_NS0_8identityISA_EEEEvT1_mT2_T3_,comdat
	.protected	_ZN7rocprim17ROCPRIM_304000_NS6detail16transform_kernelINS1_24wrapped_transform_configINS0_14default_configEN2at4cuda3cub6detail10OpaqueTypeILi8EEEEESA_PSA_SC_NS0_8identityISA_EEEEvT1_mT2_T3_ ; -- Begin function _ZN7rocprim17ROCPRIM_304000_NS6detail16transform_kernelINS1_24wrapped_transform_configINS0_14default_configEN2at4cuda3cub6detail10OpaqueTypeILi8EEEEESA_PSA_SC_NS0_8identityISA_EEEEvT1_mT2_T3_
	.globl	_ZN7rocprim17ROCPRIM_304000_NS6detail16transform_kernelINS1_24wrapped_transform_configINS0_14default_configEN2at4cuda3cub6detail10OpaqueTypeILi8EEEEESA_PSA_SC_NS0_8identityISA_EEEEvT1_mT2_T3_
	.p2align	8
	.type	_ZN7rocprim17ROCPRIM_304000_NS6detail16transform_kernelINS1_24wrapped_transform_configINS0_14default_configEN2at4cuda3cub6detail10OpaqueTypeILi8EEEEESA_PSA_SC_NS0_8identityISA_EEEEvT1_mT2_T3_,@function
_ZN7rocprim17ROCPRIM_304000_NS6detail16transform_kernelINS1_24wrapped_transform_configINS0_14default_configEN2at4cuda3cub6detail10OpaqueTypeILi8EEEEESA_PSA_SC_NS0_8identityISA_EEEEvT1_mT2_T3_: ; @_ZN7rocprim17ROCPRIM_304000_NS6detail16transform_kernelINS1_24wrapped_transform_configINS0_14default_configEN2at4cuda3cub6detail10OpaqueTypeILi8EEEEESA_PSA_SC_NS0_8identityISA_EEEEvT1_mT2_T3_
; %bb.0:
	s_load_dword s3, s[0:1], 0x20
	s_load_dwordx4 s[4:7], s[0:1], 0x0
	s_lshl_b32 s8, s2, 7
	s_waitcnt lgkmcnt(0)
	s_add_i32 s3, s3, -1
	s_cmp_lg_u32 s2, s3
	s_cselect_b64 s[2:3], -1, 0
	s_sub_i32 s6, s6, s8
	v_cmp_gt_u32_e32 vcc, s6, v0
	s_or_b64 s[2:3], vcc, s[2:3]
	s_and_saveexec_b64 s[6:7], s[2:3]
	s_cbranch_execz .LBB6_2
; %bb.1:
	s_load_dwordx2 s[0:1], s[0:1], 0x10
	s_mov_b32 s9, 0
	s_lshl_b64 s[2:3], s[8:9], 3
	v_lshlrev_b32_e32 v2, 3, v0
	s_waitcnt lgkmcnt(0)
	s_add_u32 s0, s0, s2
	s_addc_u32 s1, s1, s3
	s_add_u32 s2, s4, s2
	s_addc_u32 s3, s5, s3
	global_load_dwordx2 v[0:1], v2, s[2:3]
	s_waitcnt vmcnt(0)
	global_store_dwordx2 v2, v[0:1], s[0:1]
.LBB6_2:
	s_endpgm
	.section	.rodata,"a",@progbits
	.p2align	6, 0x0
	.amdhsa_kernel _ZN7rocprim17ROCPRIM_304000_NS6detail16transform_kernelINS1_24wrapped_transform_configINS0_14default_configEN2at4cuda3cub6detail10OpaqueTypeILi8EEEEESA_PSA_SC_NS0_8identityISA_EEEEvT1_mT2_T3_
		.amdhsa_group_segment_fixed_size 0
		.amdhsa_private_segment_fixed_size 0
		.amdhsa_kernarg_size 288
		.amdhsa_user_sgpr_count 2
		.amdhsa_user_sgpr_dispatch_ptr 0
		.amdhsa_user_sgpr_queue_ptr 0
		.amdhsa_user_sgpr_kernarg_segment_ptr 1
		.amdhsa_user_sgpr_dispatch_id 0
		.amdhsa_user_sgpr_kernarg_preload_length 0
		.amdhsa_user_sgpr_kernarg_preload_offset 0
		.amdhsa_user_sgpr_private_segment_size 0
		.amdhsa_uses_dynamic_stack 0
		.amdhsa_enable_private_segment 0
		.amdhsa_system_sgpr_workgroup_id_x 1
		.amdhsa_system_sgpr_workgroup_id_y 0
		.amdhsa_system_sgpr_workgroup_id_z 0
		.amdhsa_system_sgpr_workgroup_info 0
		.amdhsa_system_vgpr_workitem_id 0
		.amdhsa_next_free_vgpr 3
		.amdhsa_next_free_sgpr 10
		.amdhsa_accum_offset 4
		.amdhsa_reserve_vcc 1
		.amdhsa_float_round_mode_32 0
		.amdhsa_float_round_mode_16_64 0
		.amdhsa_float_denorm_mode_32 3
		.amdhsa_float_denorm_mode_16_64 3
		.amdhsa_dx10_clamp 1
		.amdhsa_ieee_mode 1
		.amdhsa_fp16_overflow 0
		.amdhsa_tg_split 0
		.amdhsa_exception_fp_ieee_invalid_op 0
		.amdhsa_exception_fp_denorm_src 0
		.amdhsa_exception_fp_ieee_div_zero 0
		.amdhsa_exception_fp_ieee_overflow 0
		.amdhsa_exception_fp_ieee_underflow 0
		.amdhsa_exception_fp_ieee_inexact 0
		.amdhsa_exception_int_div_zero 0
	.end_amdhsa_kernel
	.section	.text._ZN7rocprim17ROCPRIM_304000_NS6detail16transform_kernelINS1_24wrapped_transform_configINS0_14default_configEN2at4cuda3cub6detail10OpaqueTypeILi8EEEEESA_PSA_SC_NS0_8identityISA_EEEEvT1_mT2_T3_,"axG",@progbits,_ZN7rocprim17ROCPRIM_304000_NS6detail16transform_kernelINS1_24wrapped_transform_configINS0_14default_configEN2at4cuda3cub6detail10OpaqueTypeILi8EEEEESA_PSA_SC_NS0_8identityISA_EEEEvT1_mT2_T3_,comdat
.Lfunc_end6:
	.size	_ZN7rocprim17ROCPRIM_304000_NS6detail16transform_kernelINS1_24wrapped_transform_configINS0_14default_configEN2at4cuda3cub6detail10OpaqueTypeILi8EEEEESA_PSA_SC_NS0_8identityISA_EEEEvT1_mT2_T3_, .Lfunc_end6-_ZN7rocprim17ROCPRIM_304000_NS6detail16transform_kernelINS1_24wrapped_transform_configINS0_14default_configEN2at4cuda3cub6detail10OpaqueTypeILi8EEEEESA_PSA_SC_NS0_8identityISA_EEEEvT1_mT2_T3_
                                        ; -- End function
	.set _ZN7rocprim17ROCPRIM_304000_NS6detail16transform_kernelINS1_24wrapped_transform_configINS0_14default_configEN2at4cuda3cub6detail10OpaqueTypeILi8EEEEESA_PSA_SC_NS0_8identityISA_EEEEvT1_mT2_T3_.num_vgpr, 3
	.set _ZN7rocprim17ROCPRIM_304000_NS6detail16transform_kernelINS1_24wrapped_transform_configINS0_14default_configEN2at4cuda3cub6detail10OpaqueTypeILi8EEEEESA_PSA_SC_NS0_8identityISA_EEEEvT1_mT2_T3_.num_agpr, 0
	.set _ZN7rocprim17ROCPRIM_304000_NS6detail16transform_kernelINS1_24wrapped_transform_configINS0_14default_configEN2at4cuda3cub6detail10OpaqueTypeILi8EEEEESA_PSA_SC_NS0_8identityISA_EEEEvT1_mT2_T3_.numbered_sgpr, 10
	.set _ZN7rocprim17ROCPRIM_304000_NS6detail16transform_kernelINS1_24wrapped_transform_configINS0_14default_configEN2at4cuda3cub6detail10OpaqueTypeILi8EEEEESA_PSA_SC_NS0_8identityISA_EEEEvT1_mT2_T3_.num_named_barrier, 0
	.set _ZN7rocprim17ROCPRIM_304000_NS6detail16transform_kernelINS1_24wrapped_transform_configINS0_14default_configEN2at4cuda3cub6detail10OpaqueTypeILi8EEEEESA_PSA_SC_NS0_8identityISA_EEEEvT1_mT2_T3_.private_seg_size, 0
	.set _ZN7rocprim17ROCPRIM_304000_NS6detail16transform_kernelINS1_24wrapped_transform_configINS0_14default_configEN2at4cuda3cub6detail10OpaqueTypeILi8EEEEESA_PSA_SC_NS0_8identityISA_EEEEvT1_mT2_T3_.uses_vcc, 1
	.set _ZN7rocprim17ROCPRIM_304000_NS6detail16transform_kernelINS1_24wrapped_transform_configINS0_14default_configEN2at4cuda3cub6detail10OpaqueTypeILi8EEEEESA_PSA_SC_NS0_8identityISA_EEEEvT1_mT2_T3_.uses_flat_scratch, 0
	.set _ZN7rocprim17ROCPRIM_304000_NS6detail16transform_kernelINS1_24wrapped_transform_configINS0_14default_configEN2at4cuda3cub6detail10OpaqueTypeILi8EEEEESA_PSA_SC_NS0_8identityISA_EEEEvT1_mT2_T3_.has_dyn_sized_stack, 0
	.set _ZN7rocprim17ROCPRIM_304000_NS6detail16transform_kernelINS1_24wrapped_transform_configINS0_14default_configEN2at4cuda3cub6detail10OpaqueTypeILi8EEEEESA_PSA_SC_NS0_8identityISA_EEEEvT1_mT2_T3_.has_recursion, 0
	.set _ZN7rocprim17ROCPRIM_304000_NS6detail16transform_kernelINS1_24wrapped_transform_configINS0_14default_configEN2at4cuda3cub6detail10OpaqueTypeILi8EEEEESA_PSA_SC_NS0_8identityISA_EEEEvT1_mT2_T3_.has_indirect_call, 0
	.section	.AMDGPU.csdata,"",@progbits
; Kernel info:
; codeLenInByte = 120
; TotalNumSgprs: 16
; NumVgprs: 3
; NumAgprs: 0
; TotalNumVgprs: 3
; ScratchSize: 0
; MemoryBound: 0
; FloatMode: 240
; IeeeMode: 1
; LDSByteSize: 0 bytes/workgroup (compile time only)
; SGPRBlocks: 1
; VGPRBlocks: 0
; NumSGPRsForWavesPerEU: 16
; NumVGPRsForWavesPerEU: 3
; AccumOffset: 4
; Occupancy: 8
; WaveLimiterHint : 0
; COMPUTE_PGM_RSRC2:SCRATCH_EN: 0
; COMPUTE_PGM_RSRC2:USER_SGPR: 2
; COMPUTE_PGM_RSRC2:TRAP_HANDLER: 0
; COMPUTE_PGM_RSRC2:TGID_X_EN: 1
; COMPUTE_PGM_RSRC2:TGID_Y_EN: 0
; COMPUTE_PGM_RSRC2:TGID_Z_EN: 0
; COMPUTE_PGM_RSRC2:TIDIG_COMP_CNT: 0
; COMPUTE_PGM_RSRC3_GFX90A:ACCUM_OFFSET: 0
; COMPUTE_PGM_RSRC3_GFX90A:TG_SPLIT: 0
	.section	.text._ZN7rocprim17ROCPRIM_304000_NS6detail45device_block_merge_mergepath_partition_kernelINS1_37wrapped_merge_sort_block_merge_configINS0_14default_configEhN2at4cuda3cub6detail10OpaqueTypeILi8EEEEEPhjNS1_19radix_merge_compareILb1ELb1EhNS0_19identity_decomposerEEEEEvT0_T1_jPSH_T2_SH_,"axG",@progbits,_ZN7rocprim17ROCPRIM_304000_NS6detail45device_block_merge_mergepath_partition_kernelINS1_37wrapped_merge_sort_block_merge_configINS0_14default_configEhN2at4cuda3cub6detail10OpaqueTypeILi8EEEEEPhjNS1_19radix_merge_compareILb1ELb1EhNS0_19identity_decomposerEEEEEvT0_T1_jPSH_T2_SH_,comdat
	.protected	_ZN7rocprim17ROCPRIM_304000_NS6detail45device_block_merge_mergepath_partition_kernelINS1_37wrapped_merge_sort_block_merge_configINS0_14default_configEhN2at4cuda3cub6detail10OpaqueTypeILi8EEEEEPhjNS1_19radix_merge_compareILb1ELb1EhNS0_19identity_decomposerEEEEEvT0_T1_jPSH_T2_SH_ ; -- Begin function _ZN7rocprim17ROCPRIM_304000_NS6detail45device_block_merge_mergepath_partition_kernelINS1_37wrapped_merge_sort_block_merge_configINS0_14default_configEhN2at4cuda3cub6detail10OpaqueTypeILi8EEEEEPhjNS1_19radix_merge_compareILb1ELb1EhNS0_19identity_decomposerEEEEEvT0_T1_jPSH_T2_SH_
	.globl	_ZN7rocprim17ROCPRIM_304000_NS6detail45device_block_merge_mergepath_partition_kernelINS1_37wrapped_merge_sort_block_merge_configINS0_14default_configEhN2at4cuda3cub6detail10OpaqueTypeILi8EEEEEPhjNS1_19radix_merge_compareILb1ELb1EhNS0_19identity_decomposerEEEEEvT0_T1_jPSH_T2_SH_
	.p2align	8
	.type	_ZN7rocprim17ROCPRIM_304000_NS6detail45device_block_merge_mergepath_partition_kernelINS1_37wrapped_merge_sort_block_merge_configINS0_14default_configEhN2at4cuda3cub6detail10OpaqueTypeILi8EEEEEPhjNS1_19radix_merge_compareILb1ELb1EhNS0_19identity_decomposerEEEEEvT0_T1_jPSH_T2_SH_,@function
_ZN7rocprim17ROCPRIM_304000_NS6detail45device_block_merge_mergepath_partition_kernelINS1_37wrapped_merge_sort_block_merge_configINS0_14default_configEhN2at4cuda3cub6detail10OpaqueTypeILi8EEEEEPhjNS1_19radix_merge_compareILb1ELb1EhNS0_19identity_decomposerEEEEEvT0_T1_jPSH_T2_SH_: ; @_ZN7rocprim17ROCPRIM_304000_NS6detail45device_block_merge_mergepath_partition_kernelINS1_37wrapped_merge_sort_block_merge_configINS0_14default_configEhN2at4cuda3cub6detail10OpaqueTypeILi8EEEEEPhjNS1_19radix_merge_compareILb1ELb1EhNS0_19identity_decomposerEEEEEvT0_T1_jPSH_T2_SH_
; %bb.0:
	s_load_dwordx2 s[4:5], s[0:1], 0x8
	v_lshl_or_b32 v0, s2, 7, v0
	s_waitcnt lgkmcnt(0)
	v_cmp_gt_u32_e32 vcc, s5, v0
	s_and_saveexec_b64 s[2:3], vcc
	s_cbranch_execz .LBB7_6
; %bb.1:
	s_load_dwordx2 s[6:7], s[0:1], 0x18
	s_waitcnt lgkmcnt(0)
	s_lshr_b32 s2, s7, 9
	s_and_b32 s2, s2, 0x7ffffe
	s_add_i32 s3, s2, -1
	s_sub_i32 s2, 0, s2
	v_and_b32_e32 v1, s2, v0
	v_and_b32_e32 v2, s3, v0
	v_lshlrev_b32_e32 v1, 10, v1
	v_lshlrev_b32_e32 v3, 10, v2
	v_min_u32_e32 v2, s4, v1
	v_add_u32_e32 v1, s7, v1
	v_min_u32_e32 v4, s4, v1
	v_add_u32_e32 v1, s7, v4
	v_min_u32_e32 v1, s4, v1
	v_sub_u32_e32 v5, v1, v2
	v_min_u32_e32 v10, v5, v3
	v_sub_u32_e32 v3, v4, v2
	v_sub_u32_e32 v1, v1, v4
	v_sub_u32_e64 v1, v10, v1 clamp
	v_min_u32_e32 v11, v10, v3
	v_cmp_lt_u32_e32 vcc, v1, v11
	s_and_saveexec_b64 s[2:3], vcc
	s_cbranch_execz .LBB7_5
; %bb.2:
	s_load_dwordx2 s[8:9], s[0:1], 0x0
	v_mov_b32_e32 v5, 0
	v_mov_b32_e32 v3, v5
	s_mov_b64 s[4:5], 0
	s_movk_i32 s7, 0xff
	s_waitcnt lgkmcnt(0)
	v_lshl_add_u64 v[6:7], s[8:9], 0, v[2:3]
	v_lshl_add_u64 v[8:9], s[8:9], 0, v[4:5]
	v_mov_b32_e32 v3, s6
.LBB7_3:                                ; =>This Inner Loop Header: Depth=1
	v_add_u32_e32 v4, v11, v1
	v_lshrrev_b32_e32 v4, 1, v4
	v_mov_b32_e32 v13, v5
	v_xad_u32 v12, v4, -1, v10
	v_lshl_add_u64 v[14:15], v[6:7], 0, v[4:5]
	v_lshl_add_u64 v[12:13], v[8:9], 0, v[12:13]
	global_load_ubyte v16, v[14:15], off
	global_load_ubyte v17, v[12:13], off
	v_add_u32_e32 v12, 1, v4
	s_waitcnt vmcnt(1)
	v_bitop3_b16 v13, v16, s7, v3 bitop3:0x80
	s_waitcnt vmcnt(0)
	v_bitop3_b16 v14, v17, s7, v3 bitop3:0x80
	v_cmp_gt_u16_e32 vcc, v14, v13
	s_nop 1
	v_cndmask_b32_e32 v11, v11, v4, vcc
	v_cndmask_b32_e32 v1, v12, v1, vcc
	v_cmp_ge_u32_e32 vcc, v1, v11
	s_or_b64 s[4:5], vcc, s[4:5]
	s_andn2_b64 exec, exec, s[4:5]
	s_cbranch_execnz .LBB7_3
; %bb.4:
	s_or_b64 exec, exec, s[4:5]
.LBB7_5:
	s_or_b64 exec, exec, s[2:3]
	s_load_dwordx2 s[0:1], s[0:1], 0x10
	v_add_u32_e32 v2, v1, v2
	v_mov_b32_e32 v1, 0
	s_waitcnt lgkmcnt(0)
	v_lshl_add_u64 v[0:1], v[0:1], 2, s[0:1]
	global_store_dword v[0:1], v2, off
.LBB7_6:
	s_endpgm
	.section	.rodata,"a",@progbits
	.p2align	6, 0x0
	.amdhsa_kernel _ZN7rocprim17ROCPRIM_304000_NS6detail45device_block_merge_mergepath_partition_kernelINS1_37wrapped_merge_sort_block_merge_configINS0_14default_configEhN2at4cuda3cub6detail10OpaqueTypeILi8EEEEEPhjNS1_19radix_merge_compareILb1ELb1EhNS0_19identity_decomposerEEEEEvT0_T1_jPSH_T2_SH_
		.amdhsa_group_segment_fixed_size 0
		.amdhsa_private_segment_fixed_size 0
		.amdhsa_kernarg_size 32
		.amdhsa_user_sgpr_count 2
		.amdhsa_user_sgpr_dispatch_ptr 0
		.amdhsa_user_sgpr_queue_ptr 0
		.amdhsa_user_sgpr_kernarg_segment_ptr 1
		.amdhsa_user_sgpr_dispatch_id 0
		.amdhsa_user_sgpr_kernarg_preload_length 0
		.amdhsa_user_sgpr_kernarg_preload_offset 0
		.amdhsa_user_sgpr_private_segment_size 0
		.amdhsa_uses_dynamic_stack 0
		.amdhsa_enable_private_segment 0
		.amdhsa_system_sgpr_workgroup_id_x 1
		.amdhsa_system_sgpr_workgroup_id_y 0
		.amdhsa_system_sgpr_workgroup_id_z 0
		.amdhsa_system_sgpr_workgroup_info 0
		.amdhsa_system_vgpr_workitem_id 0
		.amdhsa_next_free_vgpr 18
		.amdhsa_next_free_sgpr 10
		.amdhsa_accum_offset 20
		.amdhsa_reserve_vcc 1
		.amdhsa_float_round_mode_32 0
		.amdhsa_float_round_mode_16_64 0
		.amdhsa_float_denorm_mode_32 3
		.amdhsa_float_denorm_mode_16_64 3
		.amdhsa_dx10_clamp 1
		.amdhsa_ieee_mode 1
		.amdhsa_fp16_overflow 0
		.amdhsa_tg_split 0
		.amdhsa_exception_fp_ieee_invalid_op 0
		.amdhsa_exception_fp_denorm_src 0
		.amdhsa_exception_fp_ieee_div_zero 0
		.amdhsa_exception_fp_ieee_overflow 0
		.amdhsa_exception_fp_ieee_underflow 0
		.amdhsa_exception_fp_ieee_inexact 0
		.amdhsa_exception_int_div_zero 0
	.end_amdhsa_kernel
	.section	.text._ZN7rocprim17ROCPRIM_304000_NS6detail45device_block_merge_mergepath_partition_kernelINS1_37wrapped_merge_sort_block_merge_configINS0_14default_configEhN2at4cuda3cub6detail10OpaqueTypeILi8EEEEEPhjNS1_19radix_merge_compareILb1ELb1EhNS0_19identity_decomposerEEEEEvT0_T1_jPSH_T2_SH_,"axG",@progbits,_ZN7rocprim17ROCPRIM_304000_NS6detail45device_block_merge_mergepath_partition_kernelINS1_37wrapped_merge_sort_block_merge_configINS0_14default_configEhN2at4cuda3cub6detail10OpaqueTypeILi8EEEEEPhjNS1_19radix_merge_compareILb1ELb1EhNS0_19identity_decomposerEEEEEvT0_T1_jPSH_T2_SH_,comdat
.Lfunc_end7:
	.size	_ZN7rocprim17ROCPRIM_304000_NS6detail45device_block_merge_mergepath_partition_kernelINS1_37wrapped_merge_sort_block_merge_configINS0_14default_configEhN2at4cuda3cub6detail10OpaqueTypeILi8EEEEEPhjNS1_19radix_merge_compareILb1ELb1EhNS0_19identity_decomposerEEEEEvT0_T1_jPSH_T2_SH_, .Lfunc_end7-_ZN7rocprim17ROCPRIM_304000_NS6detail45device_block_merge_mergepath_partition_kernelINS1_37wrapped_merge_sort_block_merge_configINS0_14default_configEhN2at4cuda3cub6detail10OpaqueTypeILi8EEEEEPhjNS1_19radix_merge_compareILb1ELb1EhNS0_19identity_decomposerEEEEEvT0_T1_jPSH_T2_SH_
                                        ; -- End function
	.set _ZN7rocprim17ROCPRIM_304000_NS6detail45device_block_merge_mergepath_partition_kernelINS1_37wrapped_merge_sort_block_merge_configINS0_14default_configEhN2at4cuda3cub6detail10OpaqueTypeILi8EEEEEPhjNS1_19radix_merge_compareILb1ELb1EhNS0_19identity_decomposerEEEEEvT0_T1_jPSH_T2_SH_.num_vgpr, 18
	.set _ZN7rocprim17ROCPRIM_304000_NS6detail45device_block_merge_mergepath_partition_kernelINS1_37wrapped_merge_sort_block_merge_configINS0_14default_configEhN2at4cuda3cub6detail10OpaqueTypeILi8EEEEEPhjNS1_19radix_merge_compareILb1ELb1EhNS0_19identity_decomposerEEEEEvT0_T1_jPSH_T2_SH_.num_agpr, 0
	.set _ZN7rocprim17ROCPRIM_304000_NS6detail45device_block_merge_mergepath_partition_kernelINS1_37wrapped_merge_sort_block_merge_configINS0_14default_configEhN2at4cuda3cub6detail10OpaqueTypeILi8EEEEEPhjNS1_19radix_merge_compareILb1ELb1EhNS0_19identity_decomposerEEEEEvT0_T1_jPSH_T2_SH_.numbered_sgpr, 10
	.set _ZN7rocprim17ROCPRIM_304000_NS6detail45device_block_merge_mergepath_partition_kernelINS1_37wrapped_merge_sort_block_merge_configINS0_14default_configEhN2at4cuda3cub6detail10OpaqueTypeILi8EEEEEPhjNS1_19radix_merge_compareILb1ELb1EhNS0_19identity_decomposerEEEEEvT0_T1_jPSH_T2_SH_.num_named_barrier, 0
	.set _ZN7rocprim17ROCPRIM_304000_NS6detail45device_block_merge_mergepath_partition_kernelINS1_37wrapped_merge_sort_block_merge_configINS0_14default_configEhN2at4cuda3cub6detail10OpaqueTypeILi8EEEEEPhjNS1_19radix_merge_compareILb1ELb1EhNS0_19identity_decomposerEEEEEvT0_T1_jPSH_T2_SH_.private_seg_size, 0
	.set _ZN7rocprim17ROCPRIM_304000_NS6detail45device_block_merge_mergepath_partition_kernelINS1_37wrapped_merge_sort_block_merge_configINS0_14default_configEhN2at4cuda3cub6detail10OpaqueTypeILi8EEEEEPhjNS1_19radix_merge_compareILb1ELb1EhNS0_19identity_decomposerEEEEEvT0_T1_jPSH_T2_SH_.uses_vcc, 1
	.set _ZN7rocprim17ROCPRIM_304000_NS6detail45device_block_merge_mergepath_partition_kernelINS1_37wrapped_merge_sort_block_merge_configINS0_14default_configEhN2at4cuda3cub6detail10OpaqueTypeILi8EEEEEPhjNS1_19radix_merge_compareILb1ELb1EhNS0_19identity_decomposerEEEEEvT0_T1_jPSH_T2_SH_.uses_flat_scratch, 0
	.set _ZN7rocprim17ROCPRIM_304000_NS6detail45device_block_merge_mergepath_partition_kernelINS1_37wrapped_merge_sort_block_merge_configINS0_14default_configEhN2at4cuda3cub6detail10OpaqueTypeILi8EEEEEPhjNS1_19radix_merge_compareILb1ELb1EhNS0_19identity_decomposerEEEEEvT0_T1_jPSH_T2_SH_.has_dyn_sized_stack, 0
	.set _ZN7rocprim17ROCPRIM_304000_NS6detail45device_block_merge_mergepath_partition_kernelINS1_37wrapped_merge_sort_block_merge_configINS0_14default_configEhN2at4cuda3cub6detail10OpaqueTypeILi8EEEEEPhjNS1_19radix_merge_compareILb1ELb1EhNS0_19identity_decomposerEEEEEvT0_T1_jPSH_T2_SH_.has_recursion, 0
	.set _ZN7rocprim17ROCPRIM_304000_NS6detail45device_block_merge_mergepath_partition_kernelINS1_37wrapped_merge_sort_block_merge_configINS0_14default_configEhN2at4cuda3cub6detail10OpaqueTypeILi8EEEEEPhjNS1_19radix_merge_compareILb1ELb1EhNS0_19identity_decomposerEEEEEvT0_T1_jPSH_T2_SH_.has_indirect_call, 0
	.section	.AMDGPU.csdata,"",@progbits
; Kernel info:
; codeLenInByte = 348
; TotalNumSgprs: 16
; NumVgprs: 18
; NumAgprs: 0
; TotalNumVgprs: 18
; ScratchSize: 0
; MemoryBound: 0
; FloatMode: 240
; IeeeMode: 1
; LDSByteSize: 0 bytes/workgroup (compile time only)
; SGPRBlocks: 1
; VGPRBlocks: 2
; NumSGPRsForWavesPerEU: 16
; NumVGPRsForWavesPerEU: 18
; AccumOffset: 20
; Occupancy: 8
; WaveLimiterHint : 0
; COMPUTE_PGM_RSRC2:SCRATCH_EN: 0
; COMPUTE_PGM_RSRC2:USER_SGPR: 2
; COMPUTE_PGM_RSRC2:TRAP_HANDLER: 0
; COMPUTE_PGM_RSRC2:TGID_X_EN: 1
; COMPUTE_PGM_RSRC2:TGID_Y_EN: 0
; COMPUTE_PGM_RSRC2:TGID_Z_EN: 0
; COMPUTE_PGM_RSRC2:TIDIG_COMP_CNT: 0
; COMPUTE_PGM_RSRC3_GFX90A:ACCUM_OFFSET: 4
; COMPUTE_PGM_RSRC3_GFX90A:TG_SPLIT: 0
	.section	.text._ZN7rocprim17ROCPRIM_304000_NS6detail35device_block_merge_mergepath_kernelINS1_37wrapped_merge_sort_block_merge_configINS0_14default_configEhN2at4cuda3cub6detail10OpaqueTypeILi8EEEEEPhSC_PSA_SD_jNS1_19radix_merge_compareILb1ELb1EhNS0_19identity_decomposerEEEEEvT0_T1_T2_T3_T4_SL_jT5_PKSL_NS1_7vsmem_tE,"axG",@progbits,_ZN7rocprim17ROCPRIM_304000_NS6detail35device_block_merge_mergepath_kernelINS1_37wrapped_merge_sort_block_merge_configINS0_14default_configEhN2at4cuda3cub6detail10OpaqueTypeILi8EEEEEPhSC_PSA_SD_jNS1_19radix_merge_compareILb1ELb1EhNS0_19identity_decomposerEEEEEvT0_T1_T2_T3_T4_SL_jT5_PKSL_NS1_7vsmem_tE,comdat
	.protected	_ZN7rocprim17ROCPRIM_304000_NS6detail35device_block_merge_mergepath_kernelINS1_37wrapped_merge_sort_block_merge_configINS0_14default_configEhN2at4cuda3cub6detail10OpaqueTypeILi8EEEEEPhSC_PSA_SD_jNS1_19radix_merge_compareILb1ELb1EhNS0_19identity_decomposerEEEEEvT0_T1_T2_T3_T4_SL_jT5_PKSL_NS1_7vsmem_tE ; -- Begin function _ZN7rocprim17ROCPRIM_304000_NS6detail35device_block_merge_mergepath_kernelINS1_37wrapped_merge_sort_block_merge_configINS0_14default_configEhN2at4cuda3cub6detail10OpaqueTypeILi8EEEEEPhSC_PSA_SD_jNS1_19radix_merge_compareILb1ELb1EhNS0_19identity_decomposerEEEEEvT0_T1_T2_T3_T4_SL_jT5_PKSL_NS1_7vsmem_tE
	.globl	_ZN7rocprim17ROCPRIM_304000_NS6detail35device_block_merge_mergepath_kernelINS1_37wrapped_merge_sort_block_merge_configINS0_14default_configEhN2at4cuda3cub6detail10OpaqueTypeILi8EEEEEPhSC_PSA_SD_jNS1_19radix_merge_compareILb1ELb1EhNS0_19identity_decomposerEEEEEvT0_T1_T2_T3_T4_SL_jT5_PKSL_NS1_7vsmem_tE
	.p2align	8
	.type	_ZN7rocprim17ROCPRIM_304000_NS6detail35device_block_merge_mergepath_kernelINS1_37wrapped_merge_sort_block_merge_configINS0_14default_configEhN2at4cuda3cub6detail10OpaqueTypeILi8EEEEEPhSC_PSA_SD_jNS1_19radix_merge_compareILb1ELb1EhNS0_19identity_decomposerEEEEEvT0_T1_T2_T3_T4_SL_jT5_PKSL_NS1_7vsmem_tE,@function
_ZN7rocprim17ROCPRIM_304000_NS6detail35device_block_merge_mergepath_kernelINS1_37wrapped_merge_sort_block_merge_configINS0_14default_configEhN2at4cuda3cub6detail10OpaqueTypeILi8EEEEEPhSC_PSA_SD_jNS1_19radix_merge_compareILb1ELb1EhNS0_19identity_decomposerEEEEEvT0_T1_T2_T3_T4_SL_jT5_PKSL_NS1_7vsmem_tE: ; @_ZN7rocprim17ROCPRIM_304000_NS6detail35device_block_merge_mergepath_kernelINS1_37wrapped_merge_sort_block_merge_configINS0_14default_configEhN2at4cuda3cub6detail10OpaqueTypeILi8EEEEEPhSC_PSA_SD_jNS1_19radix_merge_compareILb1ELb1EhNS0_19identity_decomposerEEEEEvT0_T1_T2_T3_T4_SL_jT5_PKSL_NS1_7vsmem_tE
; %bb.0:
	s_load_dwordx2 s[26:27], s[0:1], 0x40
	s_load_dwordx4 s[12:15], s[0:1], 0x20
	s_add_u32 s24, s0, 64
	s_addc_u32 s25, s1, 0
	s_waitcnt lgkmcnt(0)
	s_mul_i32 s4, s27, s4
	s_add_i32 s3, s4, s3
	s_mul_i32 s3, s3, s26
	s_add_i32 s22, s3, s2
	s_cmp_ge_u32 s22, s14
	s_cbranch_scc1 .LBB8_51
; %bb.1:
	s_load_dwordx8 s[4:11], s[0:1], 0x0
	s_load_dwordx2 s[18:19], s[0:1], 0x30
	s_lshr_b32 s14, s12, 10
	s_cmp_lg_u32 s22, s14
	s_mov_b32 s23, 0
	s_cselect_b64 s[16:17], -1, 0
	s_lshl_b64 s[0:1], s[22:23], 2
	s_waitcnt lgkmcnt(0)
	s_add_u32 s0, s18, s0
	s_addc_u32 s1, s19, s1
	s_load_dwordx2 s[18:19], s[0:1], 0x0
	s_lshr_b32 s0, s13, 9
	s_and_b32 s0, s0, 0x7ffffe
	s_sub_i32 s0, 0, s0
	s_and_b32 s1, s22, s0
	s_lshl_b32 s3, s1, 10
	s_lshl_b32 s27, s22, 10
	;; [unrolled: 1-line block ×3, first 2 shown]
	s_sub_i32 s20, s27, s3
	s_add_i32 s1, s1, s13
	s_add_i32 s21, s1, s20
	s_waitcnt lgkmcnt(0)
	s_sub_i32 s20, s21, s18
	s_sub_i32 s21, s21, s19
	s_sub_i32 s1, s1, s3
	s_min_u32 s20, s12, s20
	s_addk_i32 s21, 0x400
	s_or_b32 s0, s22, s0
	s_min_u32 s3, s12, s1
	s_add_i32 s1, s1, s13
	s_cmp_eq_u32 s0, -1
	s_cselect_b32 s0, s1, s21
	s_cselect_b32 s1, s3, s19
	s_min_u32 s0, s0, s12
	s_sub_i32 s13, s1, s18
	s_sub_i32 s28, s0, s20
	s_add_u32 s0, s4, s18
	s_addc_u32 s1, s5, 0
	s_add_u32 s4, s4, s20
	s_addc_u32 s5, s5, 0
	s_cmp_lt_u32 s2, s26
	v_mov_b32_e32 v1, 0
	s_cselect_b32 s2, 12, 18
	global_load_dword v2, v1, s[24:25] offset:14
	s_add_u32 s2, s24, s2
	s_addc_u32 s3, s25, 0
	global_load_ushort v3, v1, s[2:3]
	s_mov_b32 s19, s23
	s_mov_b32 s21, s23
	s_cmp_eq_u32 s22, s14
	s_waitcnt vmcnt(1)
	v_lshrrev_b32_e32 v4, 16, v2
	v_and_b32_e32 v2, 0xffff, v2
	v_mul_lo_u32 v2, v2, v4
	s_waitcnt vmcnt(0)
	v_mul_lo_u32 v2, v2, v3
	v_add_u32_e32 v2, v2, v0
	s_cbranch_scc1 .LBB8_3
; %bb.2:
	v_subrev_co_u32_e32 v6, vcc, s13, v0
	v_mov_b32_e32 v7, v1
	v_lshl_add_u64 v[4:5], s[0:1], 0, v[0:1]
	v_lshl_add_u64 v[6:7], s[4:5], 0, v[6:7]
	v_cndmask_b32_e32 v5, v7, v5, vcc
	v_cndmask_b32_e32 v4, v6, v4, vcc
	v_mov_b32_e32 v3, v1
	v_subrev_co_u32_e32 v8, vcc, s13, v2
	v_mov_b32_e32 v9, v1
	v_lshl_add_u64 v[6:7], s[0:1], 0, v[2:3]
	v_lshl_add_u64 v[8:9], s[4:5], 0, v[8:9]
	v_cndmask_b32_e32 v7, v9, v7, vcc
	v_cndmask_b32_e32 v6, v8, v6, vcc
	global_load_ubyte v1, v[4:5], off
	global_load_ubyte v3, v[6:7], off
	s_mov_b32 s14, 0xc0c0004
	s_add_i32 s22, s28, s13
	v_mov_b32_e32 v8, s22
	s_waitcnt vmcnt(0)
	v_perm_b32 v6, v1, v3, s14
	s_cbranch_execz .LBB8_4
	s_branch .LBB8_9
.LBB8_3:
                                        ; implicit-def: $vgpr6
                                        ; implicit-def: $vgpr8
.LBB8_4:
	s_add_i32 s14, s28, s13
	v_cmp_gt_u32_e32 vcc, s14, v0
	v_mov_b32_e32 v6, 0
	s_and_saveexec_b64 s[2:3], vcc
	s_cbranch_execz .LBB8_6
; %bb.5:
	v_mov_b32_e32 v1, 0
	v_subrev_co_u32_e32 v6, vcc, s13, v0
	v_mov_b32_e32 v7, v1
	v_lshl_add_u64 v[4:5], s[0:1], 0, v[0:1]
	v_lshl_add_u64 v[6:7], s[4:5], 0, v[6:7]
	v_cndmask_b32_e32 v5, v7, v5, vcc
	v_cndmask_b32_e32 v4, v6, v4, vcc
	global_load_ubyte v6, v[4:5], off
.LBB8_6:
	s_or_b64 exec, exec, s[2:3]
	v_cmp_gt_u32_e32 vcc, s14, v2
	s_and_saveexec_b64 s[2:3], vcc
	s_cbranch_execz .LBB8_8
; %bb.7:
	v_mov_b32_e32 v3, 0
	v_lshl_add_u64 v[4:5], s[0:1], 0, v[2:3]
	v_subrev_co_u32_e32 v2, vcc, s13, v2
	v_lshl_add_u64 v[2:3], s[4:5], 0, v[2:3]
	s_nop 0
	v_cndmask_b32_e32 v3, v3, v5, vcc
	v_cndmask_b32_e32 v2, v2, v4, vcc
	global_load_ubyte v1, v[2:3], off
	s_waitcnt vmcnt(0)
	v_lshlrev_b16_e32 v1, 8, v1
	v_or_b32_e32 v1, v6, v1
	v_and_b32_e32 v6, 0xffff, v1
.LBB8_8:
	s_or_b64 exec, exec, s[2:3]
	v_mov_b32_e32 v8, s14
.LBB8_9:
	v_lshlrev_b32_e32 v7, 1, v0
	s_waitcnt vmcnt(0)
	v_lshrrev_b16_e32 v1, 8, v6
	v_min_u32_e32 v2, v8, v7
	ds_write_b8 v0, v1 offset:512
	v_sub_u32_e64 v1, v2, s28 clamp
	v_min_u32_e32 v3, s13, v2
	v_cmp_lt_u32_e32 vcc, v1, v3
	ds_write_b8 v0, v6
	s_waitcnt lgkmcnt(0)
	s_barrier
	s_and_saveexec_b64 s[0:1], vcc
	s_cbranch_execz .LBB8_13
; %bb.10:
	v_add_u32_e32 v4, s13, v2
	s_mov_b64 s[2:3], 0
	s_movk_i32 s4, 0xff
	v_mov_b32_e32 v5, s15
.LBB8_11:                               ; =>This Inner Loop Header: Depth=1
	v_add_u32_e32 v9, v3, v1
	v_lshrrev_b32_e32 v9, 1, v9
	v_xad_u32 v10, v9, -1, v4
	ds_read_u8 v11, v9
	ds_read_u8 v10, v10
	v_add_u32_e32 v12, 1, v9
	s_waitcnt lgkmcnt(1)
	v_bitop3_b16 v11, v11, s4, v5 bitop3:0x80
	s_waitcnt lgkmcnt(0)
	v_bitop3_b16 v10, v10, s4, v5 bitop3:0x80
	v_cmp_gt_u16_e32 vcc, v10, v11
	s_nop 1
	v_cndmask_b32_e32 v3, v3, v9, vcc
	v_cndmask_b32_e32 v1, v12, v1, vcc
	v_cmp_ge_u32_e32 vcc, v1, v3
	s_or_b64 s[2:3], vcc, s[2:3]
	s_andn2_b64 exec, exec, s[2:3]
	s_cbranch_execnz .LBB8_11
; %bb.12:
	s_or_b64 exec, exec, s[2:3]
.LBB8_13:
	s_or_b64 exec, exec, s[0:1]
	v_sub_u32_e32 v2, v2, v1
	v_add_u32_e32 v2, s13, v2
	v_cmp_ge_u32_e32 vcc, s13, v1
	v_cmp_le_u32_e64 s[0:1], v2, v8
	s_or_b64 s[0:1], vcc, s[0:1]
	v_mov_b32_e32 v9, 0
	v_mov_b32_e32 v10, 0
	s_and_saveexec_b64 s[4:5], s[0:1]
	s_cbranch_execz .LBB8_19
; %bb.14:
	v_cmp_gt_u32_e32 vcc, s13, v1
                                        ; implicit-def: $vgpr3
	s_and_saveexec_b64 s[0:1], vcc
; %bb.15:
	ds_read_u8 v3, v1
; %bb.16:
	s_or_b64 exec, exec, s[0:1]
	v_cmp_ge_u32_e64 s[0:1], v2, v8
	v_cmp_lt_u32_e64 s[2:3], v2, v8
                                        ; implicit-def: $vgpr4
	s_and_saveexec_b64 s[22:23], s[2:3]
; %bb.17:
	ds_read_u8 v4, v2
; %bb.18:
	s_or_b64 exec, exec, s[22:23]
	s_movk_i32 s14, 0xff
	v_mov_b32_e32 v5, s15
	s_waitcnt lgkmcnt(0)
	v_bitop3_b16 v6, v4, s14, v5 bitop3:0x80
	v_bitop3_b16 v9, v3, s14, v5 bitop3:0x80
	v_cmp_le_u16_e64 s[2:3], v6, v9
	s_and_b64 s[2:3], vcc, s[2:3]
	s_or_b64 vcc, s[0:1], s[2:3]
	v_mov_b32_e32 v6, s13
	v_cndmask_b32_e32 v10, v2, v1, vcc
	v_cndmask_b32_e32 v6, v8, v6, vcc
	v_add_u32_e32 v9, 1, v10
	v_add_u32_e32 v6, -1, v6
	v_min_u32_e32 v6, v9, v6
	ds_read_u8 v6, v6
	v_cndmask_b32_e32 v11, v4, v3, vcc
	v_cndmask_b32_e32 v1, v1, v9, vcc
	;; [unrolled: 1-line block ×3, first 2 shown]
	v_cmp_gt_u32_e64 s[0:1], s13, v1
	s_waitcnt lgkmcnt(0)
	v_cndmask_b32_e32 v4, v6, v4, vcc
	v_cndmask_b32_e32 v3, v3, v6, vcc
	v_bitop3_b16 v6, v4, s14, v5 bitop3:0x80
	v_bitop3_b16 v5, v3, s14, v5 bitop3:0x80
	v_cmp_le_u16_e64 s[2:3], v6, v5
	v_cmp_ge_u32_e32 vcc, v2, v8
	s_and_b64 s[0:1], s[0:1], s[2:3]
	s_or_b64 vcc, vcc, s[0:1]
	v_cndmask_b32_e32 v9, v2, v1, vcc
	v_cndmask_b32_sdwa v1, v4, v3, vcc dst_sel:BYTE_1 dst_unused:UNUSED_PAD src0_sel:DWORD src1_sel:DWORD
	s_nop 0
	v_bitop3_b16 v1, v11, v1, s14 bitop3:0xec
	v_and_b32_e32 v6, 0xffff, v1
.LBB8_19:
	s_or_b64 exec, exec, s[4:5]
	s_lshl_b64 s[0:1], s[18:19], 3
	s_add_u32 s14, s8, s0
	s_addc_u32 s15, s9, s1
	s_lshl_b64 s[0:1], s[20:21], 3
	s_add_u32 s8, s8, s0
	v_cndmask_b32_e64 v2, 0, 1, s[16:17]
	v_mov_b32_e32 v1, 0
	s_addc_u32 s9, s9, s1
	v_cmp_gt_u32_e64 s[4:5], s13, v0
	v_cmp_ne_u32_e64 s[0:1], 1, v2
	s_andn2_b64 vcc, exec, s[16:17]
	v_cmp_le_u32_e64 s[2:3], s13, v0
	s_barrier
	s_cbranch_vccnz .LBB8_21
; %bb.20:
	v_subrev_u32_e32 v4, s13, v0
	v_lshlrev_b32_e32 v2, 3, v0
	v_mov_b32_e32 v3, v1
	v_lshlrev_b32_e32 v4, 3, v4
	v_mov_b32_e32 v5, v1
	v_lshl_add_u64 v[2:3], s[14:15], 0, v[2:3]
	v_lshl_add_u64 v[4:5], s[8:9], 0, v[4:5]
	v_cndmask_b32_e64 v3, v5, v3, s[4:5]
	v_cndmask_b32_e64 v2, v4, v2, s[4:5]
	global_load_dwordx2 v[12:13], v[2:3], off
	v_or_b32_e32 v11, 0x200, v0
	v_mov_b32_e32 v2, s9
	v_mov_b32_e32 v3, s15
	;; [unrolled: 1-line block ×4, first 2 shown]
	v_subrev_u32_e32 v4, s13, v11
	v_cmp_gt_u32_e32 vcc, s13, v11
	v_mad_u32_u24 v5, v0, 7, v0
	s_nop 0
	v_cndmask_b32_e32 v3, v2, v3, vcc
	v_min_u32_e32 v4, v11, v4
	v_cndmask_b32_e32 v2, v14, v15, vcc
	s_mov_b64 s[4:5], -1
	s_waitcnt vmcnt(0)
	ds_write_b64 v5, v[12:13]
	s_cbranch_execz .LBB8_22
	s_branch .LBB8_31
.LBB8_21:
	s_mov_b64 s[4:5], 0
                                        ; implicit-def: $vgpr11
                                        ; implicit-def: $vgpr2_vgpr3
                                        ; implicit-def: $vgpr4
.LBB8_22:
	s_and_saveexec_b64 s[4:5], s[2:3]
	s_xor_b64 s[2:3], exec, s[4:5]
	s_cbranch_execz .LBB8_26
; %bb.23:
	v_subrev_u32_e32 v2, s13, v0
	v_cmp_gt_u32_e32 vcc, s28, v2
	s_and_saveexec_b64 s[4:5], vcc
	s_cbranch_execz .LBB8_25
; %bb.24:
	v_lshlrev_b32_e32 v2, 3, v2
	global_load_dwordx2 v[2:3], v2, s[8:9]
	v_mad_u32_u24 v4, v0, 7, v0
	s_waitcnt vmcnt(0)
	ds_write_b64 v4, v[2:3]
.LBB8_25:
	s_or_b64 exec, exec, s[4:5]
.LBB8_26:
	s_andn2_saveexec_b64 s[2:3], s[2:3]
	s_cbranch_execz .LBB8_28
; %bb.27:
	v_lshlrev_b32_e32 v2, 3, v0
	global_load_dwordx2 v[2:3], v2, s[14:15]
	v_mad_u32_u24 v4, v0, 7, v0
	s_waitcnt vmcnt(0)
	ds_write_b64 v4, v[2:3]
.LBB8_28:
	s_or_b64 exec, exec, s[2:3]
	v_or_b32_e32 v11, 0x200, v0
	v_cmp_le_u32_e32 vcc, s13, v11
	s_mov_b64 s[4:5], -1
	v_mov_b64_e32 v[2:3], s[14:15]
	v_mov_b32_e32 v4, v11
	s_and_saveexec_b64 s[2:3], vcc
; %bb.29:
	v_subrev_u32_e32 v4, s13, v11
	v_cmp_gt_u32_e32 vcc, s28, v4
	v_mov_b64_e32 v[2:3], s[8:9]
	s_orn2_b64 s[4:5], vcc, exec
; %bb.30:
	s_or_b64 exec, exec, s[2:3]
.LBB8_31:
	s_and_saveexec_b64 s[2:3], s[4:5]
	s_cbranch_execz .LBB8_33
; %bb.32:
	v_mov_b32_e32 v5, 0
	v_lshl_add_u64 v[2:3], v[4:5], 3, v[2:3]
	global_load_dwordx2 v[2:3], v[2:3], off
	v_lshlrev_b32_e32 v4, 3, v11
	s_waitcnt vmcnt(0)
	ds_write_b64 v4, v[2:3]
.LBB8_33:
	s_or_b64 exec, exec, s[2:3]
	s_and_b64 vcc, exec, s[0:1]
	v_add_u32_e32 v2, s27, v7
	s_waitcnt lgkmcnt(0)
	s_barrier
	s_cbranch_vccnz .LBB8_35
; %bb.34:
	v_lshlrev_b32_e32 v3, 3, v10
	ds_read_b64 v[4:5], v3
	v_mov_b32_e32 v3, 0
	v_lshl_add_u64 v[12:13], v[2:3], 3, s[10:11]
	s_mov_b64 s[0:1], -1
	s_waitcnt lgkmcnt(0)
	global_store_dwordx2 v[12:13], v[4:5], off
	s_cbranch_execz .LBB8_36
	s_branch .LBB8_41
.LBB8_35:
	s_mov_b64 s[0:1], 0
.LBB8_36:
	v_cmp_lt_u32_e32 vcc, v7, v8
	s_and_saveexec_b64 s[2:3], vcc
	s_cbranch_execz .LBB8_38
; %bb.37:
	v_lshlrev_b32_e32 v3, 3, v10
	ds_read_b64 v[4:5], v3
	v_mov_b32_e32 v3, 0
	v_lshl_add_u64 v[10:11], v[2:3], 3, s[10:11]
	s_waitcnt lgkmcnt(0)
	global_store_dwordx2 v[10:11], v[4:5], off
.LBB8_38:
	s_or_b64 exec, exec, s[2:3]
	v_or_b32_e32 v3, 1, v7
	v_cmp_lt_u32_e32 vcc, v3, v8
	s_and_saveexec_b64 s[2:3], vcc
; %bb.39:
	v_mov_b32_e32 v3, 0
	s_or_b64 s[0:1], s[0:1], exec
; %bb.40:
	s_or_b64 exec, exec, s[2:3]
.LBB8_41:
	s_and_saveexec_b64 s[2:3], s[0:1]
	s_cbranch_execz .LBB8_43
; %bb.42:
	v_lshlrev_b32_e32 v4, 3, v9
	ds_read_b64 v[4:5], v4
	v_lshl_add_u64 v[2:3], v[2:3], 3, s[10:11]
	s_waitcnt lgkmcnt(0)
	global_store_dwordx2 v[2:3], v[4:5], off offset:8
.LBB8_43:
	s_or_b64 exec, exec, s[2:3]
	v_lshrrev_b32_e32 v2, 4, v0
	v_and_b32_e32 v2, 28, v2
	v_add_u32_e32 v2, v2, v7
	s_barrier
	s_barrier
	ds_write_b16 v2, v6
	v_lshrrev_b32_e32 v2, 5, v0
	v_or_b32_e32 v4, 0x200, v0
	s_add_u32 s0, s6, s27
	v_and_b32_e32 v5, 12, v2
	v_lshrrev_b32_e32 v2, 5, v4
	s_addc_u32 s1, s7, 0
	v_and_b32_e32 v6, 28, v2
	v_lshl_add_u64 v[2:3], s[0:1], 0, v[0:1]
	s_and_b64 vcc, exec, s[16:17]
	v_add_u32_e32 v6, v6, v0
	s_waitcnt lgkmcnt(0)
	s_cbranch_vccz .LBB8_45
; %bb.44:
	v_add_u32_e32 v1, v5, v0
	s_barrier
	ds_read_u8 v7, v1
	ds_read_u8 v1, v6 offset:512
	s_mov_b64 s[0:1], -1
	s_waitcnt lgkmcnt(1)
	global_store_byte v[2:3], v7, off
	s_cbranch_execz .LBB8_46
	s_branch .LBB8_49
.LBB8_45:
	s_mov_b64 s[0:1], 0
                                        ; implicit-def: $vgpr1
.LBB8_46:
	s_barrier
	s_waitcnt lgkmcnt(0)
	ds_read_u8 v1, v6 offset:512
	s_sub_i32 s2, s12, s27
	v_cmp_gt_u32_e32 vcc, s2, v0
	s_and_saveexec_b64 s[0:1], vcc
	s_cbranch_execz .LBB8_48
; %bb.47:
	v_add_u32_e32 v0, v5, v0
	ds_read_u8 v0, v0
	s_waitcnt lgkmcnt(0)
	global_store_byte v[2:3], v0, off
.LBB8_48:
	s_or_b64 exec, exec, s[0:1]
	v_cmp_gt_u32_e64 s[0:1], s2, v4
.LBB8_49:
	s_and_saveexec_b64 s[2:3], s[0:1]
	s_cbranch_execz .LBB8_51
; %bb.50:
	s_waitcnt lgkmcnt(0)
	global_store_byte v[2:3], v1, off offset:512
.LBB8_51:
	s_endpgm
	.section	.rodata,"a",@progbits
	.p2align	6, 0x0
	.amdhsa_kernel _ZN7rocprim17ROCPRIM_304000_NS6detail35device_block_merge_mergepath_kernelINS1_37wrapped_merge_sort_block_merge_configINS0_14default_configEhN2at4cuda3cub6detail10OpaqueTypeILi8EEEEEPhSC_PSA_SD_jNS1_19radix_merge_compareILb1ELb1EhNS0_19identity_decomposerEEEEEvT0_T1_T2_T3_T4_SL_jT5_PKSL_NS1_7vsmem_tE
		.amdhsa_group_segment_fixed_size 8208
		.amdhsa_private_segment_fixed_size 0
		.amdhsa_kernarg_size 320
		.amdhsa_user_sgpr_count 2
		.amdhsa_user_sgpr_dispatch_ptr 0
		.amdhsa_user_sgpr_queue_ptr 0
		.amdhsa_user_sgpr_kernarg_segment_ptr 1
		.amdhsa_user_sgpr_dispatch_id 0
		.amdhsa_user_sgpr_kernarg_preload_length 0
		.amdhsa_user_sgpr_kernarg_preload_offset 0
		.amdhsa_user_sgpr_private_segment_size 0
		.amdhsa_uses_dynamic_stack 0
		.amdhsa_enable_private_segment 0
		.amdhsa_system_sgpr_workgroup_id_x 1
		.amdhsa_system_sgpr_workgroup_id_y 1
		.amdhsa_system_sgpr_workgroup_id_z 1
		.amdhsa_system_sgpr_workgroup_info 0
		.amdhsa_system_vgpr_workitem_id 0
		.amdhsa_next_free_vgpr 16
		.amdhsa_next_free_sgpr 29
		.amdhsa_accum_offset 16
		.amdhsa_reserve_vcc 1
		.amdhsa_float_round_mode_32 0
		.amdhsa_float_round_mode_16_64 0
		.amdhsa_float_denorm_mode_32 3
		.amdhsa_float_denorm_mode_16_64 3
		.amdhsa_dx10_clamp 1
		.amdhsa_ieee_mode 1
		.amdhsa_fp16_overflow 0
		.amdhsa_tg_split 0
		.amdhsa_exception_fp_ieee_invalid_op 0
		.amdhsa_exception_fp_denorm_src 0
		.amdhsa_exception_fp_ieee_div_zero 0
		.amdhsa_exception_fp_ieee_overflow 0
		.amdhsa_exception_fp_ieee_underflow 0
		.amdhsa_exception_fp_ieee_inexact 0
		.amdhsa_exception_int_div_zero 0
	.end_amdhsa_kernel
	.section	.text._ZN7rocprim17ROCPRIM_304000_NS6detail35device_block_merge_mergepath_kernelINS1_37wrapped_merge_sort_block_merge_configINS0_14default_configEhN2at4cuda3cub6detail10OpaqueTypeILi8EEEEEPhSC_PSA_SD_jNS1_19radix_merge_compareILb1ELb1EhNS0_19identity_decomposerEEEEEvT0_T1_T2_T3_T4_SL_jT5_PKSL_NS1_7vsmem_tE,"axG",@progbits,_ZN7rocprim17ROCPRIM_304000_NS6detail35device_block_merge_mergepath_kernelINS1_37wrapped_merge_sort_block_merge_configINS0_14default_configEhN2at4cuda3cub6detail10OpaqueTypeILi8EEEEEPhSC_PSA_SD_jNS1_19radix_merge_compareILb1ELb1EhNS0_19identity_decomposerEEEEEvT0_T1_T2_T3_T4_SL_jT5_PKSL_NS1_7vsmem_tE,comdat
.Lfunc_end8:
	.size	_ZN7rocprim17ROCPRIM_304000_NS6detail35device_block_merge_mergepath_kernelINS1_37wrapped_merge_sort_block_merge_configINS0_14default_configEhN2at4cuda3cub6detail10OpaqueTypeILi8EEEEEPhSC_PSA_SD_jNS1_19radix_merge_compareILb1ELb1EhNS0_19identity_decomposerEEEEEvT0_T1_T2_T3_T4_SL_jT5_PKSL_NS1_7vsmem_tE, .Lfunc_end8-_ZN7rocprim17ROCPRIM_304000_NS6detail35device_block_merge_mergepath_kernelINS1_37wrapped_merge_sort_block_merge_configINS0_14default_configEhN2at4cuda3cub6detail10OpaqueTypeILi8EEEEEPhSC_PSA_SD_jNS1_19radix_merge_compareILb1ELb1EhNS0_19identity_decomposerEEEEEvT0_T1_T2_T3_T4_SL_jT5_PKSL_NS1_7vsmem_tE
                                        ; -- End function
	.set _ZN7rocprim17ROCPRIM_304000_NS6detail35device_block_merge_mergepath_kernelINS1_37wrapped_merge_sort_block_merge_configINS0_14default_configEhN2at4cuda3cub6detail10OpaqueTypeILi8EEEEEPhSC_PSA_SD_jNS1_19radix_merge_compareILb1ELb1EhNS0_19identity_decomposerEEEEEvT0_T1_T2_T3_T4_SL_jT5_PKSL_NS1_7vsmem_tE.num_vgpr, 16
	.set _ZN7rocprim17ROCPRIM_304000_NS6detail35device_block_merge_mergepath_kernelINS1_37wrapped_merge_sort_block_merge_configINS0_14default_configEhN2at4cuda3cub6detail10OpaqueTypeILi8EEEEEPhSC_PSA_SD_jNS1_19radix_merge_compareILb1ELb1EhNS0_19identity_decomposerEEEEEvT0_T1_T2_T3_T4_SL_jT5_PKSL_NS1_7vsmem_tE.num_agpr, 0
	.set _ZN7rocprim17ROCPRIM_304000_NS6detail35device_block_merge_mergepath_kernelINS1_37wrapped_merge_sort_block_merge_configINS0_14default_configEhN2at4cuda3cub6detail10OpaqueTypeILi8EEEEEPhSC_PSA_SD_jNS1_19radix_merge_compareILb1ELb1EhNS0_19identity_decomposerEEEEEvT0_T1_T2_T3_T4_SL_jT5_PKSL_NS1_7vsmem_tE.numbered_sgpr, 29
	.set _ZN7rocprim17ROCPRIM_304000_NS6detail35device_block_merge_mergepath_kernelINS1_37wrapped_merge_sort_block_merge_configINS0_14default_configEhN2at4cuda3cub6detail10OpaqueTypeILi8EEEEEPhSC_PSA_SD_jNS1_19radix_merge_compareILb1ELb1EhNS0_19identity_decomposerEEEEEvT0_T1_T2_T3_T4_SL_jT5_PKSL_NS1_7vsmem_tE.num_named_barrier, 0
	.set _ZN7rocprim17ROCPRIM_304000_NS6detail35device_block_merge_mergepath_kernelINS1_37wrapped_merge_sort_block_merge_configINS0_14default_configEhN2at4cuda3cub6detail10OpaqueTypeILi8EEEEEPhSC_PSA_SD_jNS1_19radix_merge_compareILb1ELb1EhNS0_19identity_decomposerEEEEEvT0_T1_T2_T3_T4_SL_jT5_PKSL_NS1_7vsmem_tE.private_seg_size, 0
	.set _ZN7rocprim17ROCPRIM_304000_NS6detail35device_block_merge_mergepath_kernelINS1_37wrapped_merge_sort_block_merge_configINS0_14default_configEhN2at4cuda3cub6detail10OpaqueTypeILi8EEEEEPhSC_PSA_SD_jNS1_19radix_merge_compareILb1ELb1EhNS0_19identity_decomposerEEEEEvT0_T1_T2_T3_T4_SL_jT5_PKSL_NS1_7vsmem_tE.uses_vcc, 1
	.set _ZN7rocprim17ROCPRIM_304000_NS6detail35device_block_merge_mergepath_kernelINS1_37wrapped_merge_sort_block_merge_configINS0_14default_configEhN2at4cuda3cub6detail10OpaqueTypeILi8EEEEEPhSC_PSA_SD_jNS1_19radix_merge_compareILb1ELb1EhNS0_19identity_decomposerEEEEEvT0_T1_T2_T3_T4_SL_jT5_PKSL_NS1_7vsmem_tE.uses_flat_scratch, 0
	.set _ZN7rocprim17ROCPRIM_304000_NS6detail35device_block_merge_mergepath_kernelINS1_37wrapped_merge_sort_block_merge_configINS0_14default_configEhN2at4cuda3cub6detail10OpaqueTypeILi8EEEEEPhSC_PSA_SD_jNS1_19radix_merge_compareILb1ELb1EhNS0_19identity_decomposerEEEEEvT0_T1_T2_T3_T4_SL_jT5_PKSL_NS1_7vsmem_tE.has_dyn_sized_stack, 0
	.set _ZN7rocprim17ROCPRIM_304000_NS6detail35device_block_merge_mergepath_kernelINS1_37wrapped_merge_sort_block_merge_configINS0_14default_configEhN2at4cuda3cub6detail10OpaqueTypeILi8EEEEEPhSC_PSA_SD_jNS1_19radix_merge_compareILb1ELb1EhNS0_19identity_decomposerEEEEEvT0_T1_T2_T3_T4_SL_jT5_PKSL_NS1_7vsmem_tE.has_recursion, 0
	.set _ZN7rocprim17ROCPRIM_304000_NS6detail35device_block_merge_mergepath_kernelINS1_37wrapped_merge_sort_block_merge_configINS0_14default_configEhN2at4cuda3cub6detail10OpaqueTypeILi8EEEEEPhSC_PSA_SD_jNS1_19radix_merge_compareILb1ELb1EhNS0_19identity_decomposerEEEEEvT0_T1_T2_T3_T4_SL_jT5_PKSL_NS1_7vsmem_tE.has_indirect_call, 0
	.section	.AMDGPU.csdata,"",@progbits
; Kernel info:
; codeLenInByte = 1884
; TotalNumSgprs: 35
; NumVgprs: 16
; NumAgprs: 0
; TotalNumVgprs: 16
; ScratchSize: 0
; MemoryBound: 0
; FloatMode: 240
; IeeeMode: 1
; LDSByteSize: 8208 bytes/workgroup (compile time only)
; SGPRBlocks: 4
; VGPRBlocks: 1
; NumSGPRsForWavesPerEU: 35
; NumVGPRsForWavesPerEU: 16
; AccumOffset: 16
; Occupancy: 8
; WaveLimiterHint : 1
; COMPUTE_PGM_RSRC2:SCRATCH_EN: 0
; COMPUTE_PGM_RSRC2:USER_SGPR: 2
; COMPUTE_PGM_RSRC2:TRAP_HANDLER: 0
; COMPUTE_PGM_RSRC2:TGID_X_EN: 1
; COMPUTE_PGM_RSRC2:TGID_Y_EN: 1
; COMPUTE_PGM_RSRC2:TGID_Z_EN: 1
; COMPUTE_PGM_RSRC2:TIDIG_COMP_CNT: 0
; COMPUTE_PGM_RSRC3_GFX90A:ACCUM_OFFSET: 3
; COMPUTE_PGM_RSRC3_GFX90A:TG_SPLIT: 0
	.section	.text._ZN7rocprim17ROCPRIM_304000_NS6detail33device_block_merge_oddeven_kernelINS1_37wrapped_merge_sort_block_merge_configINS0_14default_configEhN2at4cuda3cub6detail10OpaqueTypeILi8EEEEEPhSC_PSA_SD_jNS1_19radix_merge_compareILb1ELb1EhNS0_19identity_decomposerEEEEEvT0_T1_T2_T3_T4_SL_T5_,"axG",@progbits,_ZN7rocprim17ROCPRIM_304000_NS6detail33device_block_merge_oddeven_kernelINS1_37wrapped_merge_sort_block_merge_configINS0_14default_configEhN2at4cuda3cub6detail10OpaqueTypeILi8EEEEEPhSC_PSA_SD_jNS1_19radix_merge_compareILb1ELb1EhNS0_19identity_decomposerEEEEEvT0_T1_T2_T3_T4_SL_T5_,comdat
	.protected	_ZN7rocprim17ROCPRIM_304000_NS6detail33device_block_merge_oddeven_kernelINS1_37wrapped_merge_sort_block_merge_configINS0_14default_configEhN2at4cuda3cub6detail10OpaqueTypeILi8EEEEEPhSC_PSA_SD_jNS1_19radix_merge_compareILb1ELb1EhNS0_19identity_decomposerEEEEEvT0_T1_T2_T3_T4_SL_T5_ ; -- Begin function _ZN7rocprim17ROCPRIM_304000_NS6detail33device_block_merge_oddeven_kernelINS1_37wrapped_merge_sort_block_merge_configINS0_14default_configEhN2at4cuda3cub6detail10OpaqueTypeILi8EEEEEPhSC_PSA_SD_jNS1_19radix_merge_compareILb1ELb1EhNS0_19identity_decomposerEEEEEvT0_T1_T2_T3_T4_SL_T5_
	.globl	_ZN7rocprim17ROCPRIM_304000_NS6detail33device_block_merge_oddeven_kernelINS1_37wrapped_merge_sort_block_merge_configINS0_14default_configEhN2at4cuda3cub6detail10OpaqueTypeILi8EEEEEPhSC_PSA_SD_jNS1_19radix_merge_compareILb1ELb1EhNS0_19identity_decomposerEEEEEvT0_T1_T2_T3_T4_SL_T5_
	.p2align	8
	.type	_ZN7rocprim17ROCPRIM_304000_NS6detail33device_block_merge_oddeven_kernelINS1_37wrapped_merge_sort_block_merge_configINS0_14default_configEhN2at4cuda3cub6detail10OpaqueTypeILi8EEEEEPhSC_PSA_SD_jNS1_19radix_merge_compareILb1ELb1EhNS0_19identity_decomposerEEEEEvT0_T1_T2_T3_T4_SL_T5_,@function
_ZN7rocprim17ROCPRIM_304000_NS6detail33device_block_merge_oddeven_kernelINS1_37wrapped_merge_sort_block_merge_configINS0_14default_configEhN2at4cuda3cub6detail10OpaqueTypeILi8EEEEEPhSC_PSA_SD_jNS1_19radix_merge_compareILb1ELb1EhNS0_19identity_decomposerEEEEEvT0_T1_T2_T3_T4_SL_T5_: ; @_ZN7rocprim17ROCPRIM_304000_NS6detail33device_block_merge_oddeven_kernelINS1_37wrapped_merge_sort_block_merge_configINS0_14default_configEhN2at4cuda3cub6detail10OpaqueTypeILi8EEEEEPhSC_PSA_SD_jNS1_19radix_merge_compareILb1ELb1EhNS0_19identity_decomposerEEEEEvT0_T1_T2_T3_T4_SL_T5_
; %bb.0:
	s_load_dwordx4 s[16:19], s[0:1], 0x20
	s_waitcnt lgkmcnt(0)
	s_lshr_b32 s3, s16, 8
	s_cmp_eq_u32 s2, s3
	s_cselect_b64 s[6:7], -1, 0
	s_cmp_lg_u32 s2, s3
	s_cselect_b64 s[8:9], -1, 0
	s_lshl_b32 s20, s2, 8
	s_sub_i32 s3, s16, s20
	v_cmp_gt_u32_e64 s[4:5], s3, v0
	s_or_b64 s[8:9], s[8:9], s[4:5]
	s_and_saveexec_b64 s[10:11], s[8:9]
	s_cbranch_execz .LBB9_24
; %bb.1:
	s_load_dwordx8 s[8:15], s[0:1], 0x0
	s_mov_b32 s21, 0
	v_lshlrev_b32_e32 v1, 3, v0
	s_waitcnt lgkmcnt(0)
	s_add_u32 s0, s8, s20
	s_addc_u32 s1, s9, 0
	s_lshl_b64 s[22:23], s[20:21], 3
	s_add_u32 s12, s12, s22
	s_addc_u32 s13, s13, s23
	global_load_dwordx2 v[2:3], v1, s[12:13]
	global_load_ubyte v4, v0, s[0:1]
	s_lshr_b32 s0, s17, 8
	s_sub_i32 s1, 0, s0
	s_and_b32 s1, s2, s1
	s_and_b32 s0, s1, s0
	s_lshl_b32 s19, s1, 8
	s_sub_i32 s12, 0, s17
	s_cmp_eq_u32 s0, 0
	s_cselect_b64 s[0:1], -1, 0
	s_and_b64 s[2:3], s[0:1], exec
	s_cselect_b32 s12, s17, s12
	s_add_i32 s12, s12, s19
	s_mov_b64 s[2:3], -1
	s_cmp_gt_u32 s16, s12
	v_add_u32_e32 v0, s20, v0
	s_cbranch_scc1 .LBB9_9
; %bb.2:
	s_and_b64 vcc, exec, s[6:7]
	s_cbranch_vccz .LBB9_6
; %bb.3:
	v_cmp_gt_u32_e32 vcc, s16, v0
	s_and_saveexec_b64 s[2:3], vcc
	s_cbranch_execz .LBB9_5
; %bb.4:
	v_mov_b32_e32 v1, 0
	v_lshl_add_u64 v[6:7], v[0:1], 3, s[14:15]
	s_waitcnt vmcnt(0)
	global_store_byte v0, v4, s[10:11]
	global_store_dwordx2 v[6:7], v[2:3], off
.LBB9_5:
	s_or_b64 exec, exec, s[2:3]
	s_mov_b64 s[2:3], 0
.LBB9_6:
	s_andn2_b64 vcc, exec, s[2:3]
	s_cbranch_vccnz .LBB9_8
; %bb.7:
	v_mov_b32_e32 v1, 0
	v_lshl_add_u64 v[6:7], v[0:1], 3, s[14:15]
	s_waitcnt vmcnt(0)
	global_store_byte v0, v4, s[10:11]
	global_store_dwordx2 v[6:7], v[2:3], off
.LBB9_8:
	s_mov_b64 s[2:3], 0
.LBB9_9:
	s_andn2_b64 vcc, exec, s[2:3]
	s_cbranch_vccnz .LBB9_24
; %bb.10:
	s_min_u32 s13, s12, s16
	s_add_i32 s2, s13, s17
	s_min_u32 s16, s2, s16
	s_min_u32 s2, s19, s13
	s_add_i32 s19, s19, s13
	v_subrev_u32_e32 v0, s19, v0
	v_add_u32_e32 v0, s2, v0
	s_waitcnt vmcnt(0)
	v_and_b32_e32 v1, s18, v4
	s_mov_b64 s[2:3], -1
	s_and_b64 vcc, exec, s[6:7]
	s_cbranch_vccz .LBB9_18
; %bb.11:
	s_and_saveexec_b64 s[2:3], s[4:5]
	s_cbranch_execz .LBB9_17
; %bb.12:
	s_cmp_ge_u32 s12, s16
	v_mov_b32_e32 v5, s13
	s_cbranch_scc1 .LBB9_16
; %bb.13:
	s_mov_b64 s[4:5], 0
	v_mov_b32_e32 v6, s16
	v_mov_b32_e32 v5, s13
	s_and_b32 s6, s18, 0xff
.LBB9_14:                               ; =>This Inner Loop Header: Depth=1
	v_add_u32_e32 v7, v5, v6
	v_lshrrev_b32_e32 v7, 1, v7
	global_load_ubyte v8, v7, s[8:9]
	v_add_u32_e32 v9, 1, v7
	s_waitcnt vmcnt(0)
	v_and_b32_e32 v8, s6, v8
	v_cmp_gt_u16_sdwa s[20:21], v8, v1 src0_sel:DWORD src1_sel:BYTE_0
	s_nop 1
	v_cndmask_b32_e64 v10, 0, 1, s[20:21]
	v_cmp_le_u16_sdwa s[20:21], v1, v8 src0_sel:BYTE_0 src1_sel:DWORD
	s_nop 1
	v_cndmask_b32_e64 v8, 0, 1, s[20:21]
	v_cndmask_b32_e64 v8, v8, v10, s[0:1]
	v_and_b32_e32 v8, 1, v8
	v_cmp_eq_u32_e32 vcc, 1, v8
	s_nop 1
	v_cndmask_b32_e32 v6, v7, v6, vcc
	v_cndmask_b32_e32 v5, v5, v9, vcc
	v_cmp_ge_u32_e32 vcc, v5, v6
	s_or_b64 s[4:5], vcc, s[4:5]
	s_andn2_b64 exec, exec, s[4:5]
	s_cbranch_execnz .LBB9_14
; %bb.15:
	s_or_b64 exec, exec, s[4:5]
.LBB9_16:
	v_add_u32_e32 v6, v5, v0
	v_mov_b32_e32 v7, 0
	global_store_byte v6, v4, s[10:11]
	v_lshl_add_u64 v[6:7], v[6:7], 3, s[14:15]
	global_store_dwordx2 v[6:7], v[2:3], off
.LBB9_17:
	s_or_b64 exec, exec, s[2:3]
	s_mov_b64 s[2:3], 0
.LBB9_18:
	s_andn2_b64 vcc, exec, s[2:3]
	s_cbranch_vccnz .LBB9_24
; %bb.19:
	s_cmp_ge_u32 s12, s16
	v_mov_b32_e32 v5, s13
	s_cbranch_scc1 .LBB9_23
; %bb.20:
	s_mov_b64 s[2:3], 0
	v_mov_b32_e32 v6, s16
	v_mov_b32_e32 v5, s13
	s_and_b32 s4, s18, 0xff
.LBB9_21:                               ; =>This Inner Loop Header: Depth=1
	v_add_u32_e32 v7, v5, v6
	v_lshrrev_b32_e32 v7, 1, v7
	global_load_ubyte v8, v7, s[8:9]
	v_add_u32_e32 v9, 1, v7
	s_waitcnt vmcnt(0)
	v_and_b32_e32 v8, s4, v8
	v_cmp_gt_u16_sdwa s[6:7], v8, v1 src0_sel:DWORD src1_sel:BYTE_0
	s_nop 1
	v_cndmask_b32_e64 v10, 0, 1, s[6:7]
	v_cmp_le_u16_sdwa s[6:7], v1, v8 src0_sel:BYTE_0 src1_sel:DWORD
	s_nop 1
	v_cndmask_b32_e64 v8, 0, 1, s[6:7]
	v_cndmask_b32_e64 v8, v8, v10, s[0:1]
	v_and_b32_e32 v8, 1, v8
	v_cmp_eq_u32_e32 vcc, 1, v8
	s_nop 1
	v_cndmask_b32_e32 v6, v7, v6, vcc
	v_cndmask_b32_e32 v5, v5, v9, vcc
	v_cmp_ge_u32_e32 vcc, v5, v6
	s_or_b64 s[2:3], vcc, s[2:3]
	s_andn2_b64 exec, exec, s[2:3]
	s_cbranch_execnz .LBB9_21
; %bb.22:
	s_or_b64 exec, exec, s[2:3]
.LBB9_23:
	v_add_u32_e32 v0, v5, v0
	v_mov_b32_e32 v1, 0
	global_store_byte v0, v4, s[10:11]
	v_lshl_add_u64 v[0:1], v[0:1], 3, s[14:15]
	global_store_dwordx2 v[0:1], v[2:3], off
.LBB9_24:
	s_endpgm
	.section	.rodata,"a",@progbits
	.p2align	6, 0x0
	.amdhsa_kernel _ZN7rocprim17ROCPRIM_304000_NS6detail33device_block_merge_oddeven_kernelINS1_37wrapped_merge_sort_block_merge_configINS0_14default_configEhN2at4cuda3cub6detail10OpaqueTypeILi8EEEEEPhSC_PSA_SD_jNS1_19radix_merge_compareILb1ELb1EhNS0_19identity_decomposerEEEEEvT0_T1_T2_T3_T4_SL_T5_
		.amdhsa_group_segment_fixed_size 0
		.amdhsa_private_segment_fixed_size 0
		.amdhsa_kernarg_size 44
		.amdhsa_user_sgpr_count 2
		.amdhsa_user_sgpr_dispatch_ptr 0
		.amdhsa_user_sgpr_queue_ptr 0
		.amdhsa_user_sgpr_kernarg_segment_ptr 1
		.amdhsa_user_sgpr_dispatch_id 0
		.amdhsa_user_sgpr_kernarg_preload_length 0
		.amdhsa_user_sgpr_kernarg_preload_offset 0
		.amdhsa_user_sgpr_private_segment_size 0
		.amdhsa_uses_dynamic_stack 0
		.amdhsa_enable_private_segment 0
		.amdhsa_system_sgpr_workgroup_id_x 1
		.amdhsa_system_sgpr_workgroup_id_y 0
		.amdhsa_system_sgpr_workgroup_id_z 0
		.amdhsa_system_sgpr_workgroup_info 0
		.amdhsa_system_vgpr_workitem_id 0
		.amdhsa_next_free_vgpr 11
		.amdhsa_next_free_sgpr 24
		.amdhsa_accum_offset 12
		.amdhsa_reserve_vcc 1
		.amdhsa_float_round_mode_32 0
		.amdhsa_float_round_mode_16_64 0
		.amdhsa_float_denorm_mode_32 3
		.amdhsa_float_denorm_mode_16_64 3
		.amdhsa_dx10_clamp 1
		.amdhsa_ieee_mode 1
		.amdhsa_fp16_overflow 0
		.amdhsa_tg_split 0
		.amdhsa_exception_fp_ieee_invalid_op 0
		.amdhsa_exception_fp_denorm_src 0
		.amdhsa_exception_fp_ieee_div_zero 0
		.amdhsa_exception_fp_ieee_overflow 0
		.amdhsa_exception_fp_ieee_underflow 0
		.amdhsa_exception_fp_ieee_inexact 0
		.amdhsa_exception_int_div_zero 0
	.end_amdhsa_kernel
	.section	.text._ZN7rocprim17ROCPRIM_304000_NS6detail33device_block_merge_oddeven_kernelINS1_37wrapped_merge_sort_block_merge_configINS0_14default_configEhN2at4cuda3cub6detail10OpaqueTypeILi8EEEEEPhSC_PSA_SD_jNS1_19radix_merge_compareILb1ELb1EhNS0_19identity_decomposerEEEEEvT0_T1_T2_T3_T4_SL_T5_,"axG",@progbits,_ZN7rocprim17ROCPRIM_304000_NS6detail33device_block_merge_oddeven_kernelINS1_37wrapped_merge_sort_block_merge_configINS0_14default_configEhN2at4cuda3cub6detail10OpaqueTypeILi8EEEEEPhSC_PSA_SD_jNS1_19radix_merge_compareILb1ELb1EhNS0_19identity_decomposerEEEEEvT0_T1_T2_T3_T4_SL_T5_,comdat
.Lfunc_end9:
	.size	_ZN7rocprim17ROCPRIM_304000_NS6detail33device_block_merge_oddeven_kernelINS1_37wrapped_merge_sort_block_merge_configINS0_14default_configEhN2at4cuda3cub6detail10OpaqueTypeILi8EEEEEPhSC_PSA_SD_jNS1_19radix_merge_compareILb1ELb1EhNS0_19identity_decomposerEEEEEvT0_T1_T2_T3_T4_SL_T5_, .Lfunc_end9-_ZN7rocprim17ROCPRIM_304000_NS6detail33device_block_merge_oddeven_kernelINS1_37wrapped_merge_sort_block_merge_configINS0_14default_configEhN2at4cuda3cub6detail10OpaqueTypeILi8EEEEEPhSC_PSA_SD_jNS1_19radix_merge_compareILb1ELb1EhNS0_19identity_decomposerEEEEEvT0_T1_T2_T3_T4_SL_T5_
                                        ; -- End function
	.set _ZN7rocprim17ROCPRIM_304000_NS6detail33device_block_merge_oddeven_kernelINS1_37wrapped_merge_sort_block_merge_configINS0_14default_configEhN2at4cuda3cub6detail10OpaqueTypeILi8EEEEEPhSC_PSA_SD_jNS1_19radix_merge_compareILb1ELb1EhNS0_19identity_decomposerEEEEEvT0_T1_T2_T3_T4_SL_T5_.num_vgpr, 11
	.set _ZN7rocprim17ROCPRIM_304000_NS6detail33device_block_merge_oddeven_kernelINS1_37wrapped_merge_sort_block_merge_configINS0_14default_configEhN2at4cuda3cub6detail10OpaqueTypeILi8EEEEEPhSC_PSA_SD_jNS1_19radix_merge_compareILb1ELb1EhNS0_19identity_decomposerEEEEEvT0_T1_T2_T3_T4_SL_T5_.num_agpr, 0
	.set _ZN7rocprim17ROCPRIM_304000_NS6detail33device_block_merge_oddeven_kernelINS1_37wrapped_merge_sort_block_merge_configINS0_14default_configEhN2at4cuda3cub6detail10OpaqueTypeILi8EEEEEPhSC_PSA_SD_jNS1_19radix_merge_compareILb1ELb1EhNS0_19identity_decomposerEEEEEvT0_T1_T2_T3_T4_SL_T5_.numbered_sgpr, 24
	.set _ZN7rocprim17ROCPRIM_304000_NS6detail33device_block_merge_oddeven_kernelINS1_37wrapped_merge_sort_block_merge_configINS0_14default_configEhN2at4cuda3cub6detail10OpaqueTypeILi8EEEEEPhSC_PSA_SD_jNS1_19radix_merge_compareILb1ELb1EhNS0_19identity_decomposerEEEEEvT0_T1_T2_T3_T4_SL_T5_.num_named_barrier, 0
	.set _ZN7rocprim17ROCPRIM_304000_NS6detail33device_block_merge_oddeven_kernelINS1_37wrapped_merge_sort_block_merge_configINS0_14default_configEhN2at4cuda3cub6detail10OpaqueTypeILi8EEEEEPhSC_PSA_SD_jNS1_19radix_merge_compareILb1ELb1EhNS0_19identity_decomposerEEEEEvT0_T1_T2_T3_T4_SL_T5_.private_seg_size, 0
	.set _ZN7rocprim17ROCPRIM_304000_NS6detail33device_block_merge_oddeven_kernelINS1_37wrapped_merge_sort_block_merge_configINS0_14default_configEhN2at4cuda3cub6detail10OpaqueTypeILi8EEEEEPhSC_PSA_SD_jNS1_19radix_merge_compareILb1ELb1EhNS0_19identity_decomposerEEEEEvT0_T1_T2_T3_T4_SL_T5_.uses_vcc, 1
	.set _ZN7rocprim17ROCPRIM_304000_NS6detail33device_block_merge_oddeven_kernelINS1_37wrapped_merge_sort_block_merge_configINS0_14default_configEhN2at4cuda3cub6detail10OpaqueTypeILi8EEEEEPhSC_PSA_SD_jNS1_19radix_merge_compareILb1ELb1EhNS0_19identity_decomposerEEEEEvT0_T1_T2_T3_T4_SL_T5_.uses_flat_scratch, 0
	.set _ZN7rocprim17ROCPRIM_304000_NS6detail33device_block_merge_oddeven_kernelINS1_37wrapped_merge_sort_block_merge_configINS0_14default_configEhN2at4cuda3cub6detail10OpaqueTypeILi8EEEEEPhSC_PSA_SD_jNS1_19radix_merge_compareILb1ELb1EhNS0_19identity_decomposerEEEEEvT0_T1_T2_T3_T4_SL_T5_.has_dyn_sized_stack, 0
	.set _ZN7rocprim17ROCPRIM_304000_NS6detail33device_block_merge_oddeven_kernelINS1_37wrapped_merge_sort_block_merge_configINS0_14default_configEhN2at4cuda3cub6detail10OpaqueTypeILi8EEEEEPhSC_PSA_SD_jNS1_19radix_merge_compareILb1ELb1EhNS0_19identity_decomposerEEEEEvT0_T1_T2_T3_T4_SL_T5_.has_recursion, 0
	.set _ZN7rocprim17ROCPRIM_304000_NS6detail33device_block_merge_oddeven_kernelINS1_37wrapped_merge_sort_block_merge_configINS0_14default_configEhN2at4cuda3cub6detail10OpaqueTypeILi8EEEEEPhSC_PSA_SD_jNS1_19radix_merge_compareILb1ELb1EhNS0_19identity_decomposerEEEEEvT0_T1_T2_T3_T4_SL_T5_.has_indirect_call, 0
	.section	.AMDGPU.csdata,"",@progbits
; Kernel info:
; codeLenInByte = 724
; TotalNumSgprs: 30
; NumVgprs: 11
; NumAgprs: 0
; TotalNumVgprs: 11
; ScratchSize: 0
; MemoryBound: 0
; FloatMode: 240
; IeeeMode: 1
; LDSByteSize: 0 bytes/workgroup (compile time only)
; SGPRBlocks: 3
; VGPRBlocks: 1
; NumSGPRsForWavesPerEU: 30
; NumVGPRsForWavesPerEU: 11
; AccumOffset: 12
; Occupancy: 8
; WaveLimiterHint : 0
; COMPUTE_PGM_RSRC2:SCRATCH_EN: 0
; COMPUTE_PGM_RSRC2:USER_SGPR: 2
; COMPUTE_PGM_RSRC2:TRAP_HANDLER: 0
; COMPUTE_PGM_RSRC2:TGID_X_EN: 1
; COMPUTE_PGM_RSRC2:TGID_Y_EN: 0
; COMPUTE_PGM_RSRC2:TGID_Z_EN: 0
; COMPUTE_PGM_RSRC2:TIDIG_COMP_CNT: 0
; COMPUTE_PGM_RSRC3_GFX90A:ACCUM_OFFSET: 2
; COMPUTE_PGM_RSRC3_GFX90A:TG_SPLIT: 0
	.section	.text._ZN7rocprim17ROCPRIM_304000_NS6detail26onesweep_histograms_kernelINS1_34wrapped_radix_sort_onesweep_configINS0_14default_configEhN2at4cuda3cub6detail10OpaqueTypeILi8EEEEELb1EPKhmNS0_19identity_decomposerEEEvT1_PT2_SG_SG_T3_jj,"axG",@progbits,_ZN7rocprim17ROCPRIM_304000_NS6detail26onesweep_histograms_kernelINS1_34wrapped_radix_sort_onesweep_configINS0_14default_configEhN2at4cuda3cub6detail10OpaqueTypeILi8EEEEELb1EPKhmNS0_19identity_decomposerEEEvT1_PT2_SG_SG_T3_jj,comdat
	.protected	_ZN7rocprim17ROCPRIM_304000_NS6detail26onesweep_histograms_kernelINS1_34wrapped_radix_sort_onesweep_configINS0_14default_configEhN2at4cuda3cub6detail10OpaqueTypeILi8EEEEELb1EPKhmNS0_19identity_decomposerEEEvT1_PT2_SG_SG_T3_jj ; -- Begin function _ZN7rocprim17ROCPRIM_304000_NS6detail26onesweep_histograms_kernelINS1_34wrapped_radix_sort_onesweep_configINS0_14default_configEhN2at4cuda3cub6detail10OpaqueTypeILi8EEEEELb1EPKhmNS0_19identity_decomposerEEEvT1_PT2_SG_SG_T3_jj
	.globl	_ZN7rocprim17ROCPRIM_304000_NS6detail26onesweep_histograms_kernelINS1_34wrapped_radix_sort_onesweep_configINS0_14default_configEhN2at4cuda3cub6detail10OpaqueTypeILi8EEEEELb1EPKhmNS0_19identity_decomposerEEEvT1_PT2_SG_SG_T3_jj
	.p2align	8
	.type	_ZN7rocprim17ROCPRIM_304000_NS6detail26onesweep_histograms_kernelINS1_34wrapped_radix_sort_onesweep_configINS0_14default_configEhN2at4cuda3cub6detail10OpaqueTypeILi8EEEEELb1EPKhmNS0_19identity_decomposerEEEvT1_PT2_SG_SG_T3_jj,@function
_ZN7rocprim17ROCPRIM_304000_NS6detail26onesweep_histograms_kernelINS1_34wrapped_radix_sort_onesweep_configINS0_14default_configEhN2at4cuda3cub6detail10OpaqueTypeILi8EEEEELb1EPKhmNS0_19identity_decomposerEEEvT1_PT2_SG_SG_T3_jj: ; @_ZN7rocprim17ROCPRIM_304000_NS6detail26onesweep_histograms_kernelINS1_34wrapped_radix_sort_onesweep_configINS0_14default_configEhN2at4cuda3cub6detail10OpaqueTypeILi8EEEEELb1EPKhmNS0_19identity_decomposerEEEvT1_PT2_SG_SG_T3_jj
; %bb.0:
	s_load_dwordx8 s[8:15], s[0:1], 0x0
	s_load_dwordx2 s[16:17], s[0:1], 0x24
	v_mov_b32_e32 v1, 0
	v_mov_b32_e32 v2, s2
	;; [unrolled: 1-line block ×3, first 2 shown]
	s_mul_hi_u32 s0, s2, 0xc00
	s_mulk_i32 s2, 0xc00
	s_waitcnt lgkmcnt(0)
	v_cmp_le_u64_e32 vcc, s[14:15], v[2:3]
	s_add_u32 s18, s8, s2
	s_addc_u32 s19, s9, s0
	s_mov_b64 s[0:1], -1
	s_cbranch_vccz .LBB10_50
; %bb.1:
	s_mul_i32 s0, s14, 0xfffff400
	s_add_i32 s12, s0, s12
	v_lshl_add_u64 v[2:3], s[18:19], 0, v[0:1]
	v_cmp_gt_u32_e64 s[4:5], s12, v0
	v_mov_b32_e32 v8, 0
	v_mov_b32_e32 v6, 0
	;; [unrolled: 1-line block ×4, first 2 shown]
	s_and_saveexec_b64 s[0:1], s[4:5]
	s_cbranch_execz .LBB10_3
; %bb.2:
	global_load_ubyte v8, v[2:3], off
	v_mov_b32_e32 v6, 0
	v_mov_b32_e32 v5, 0
	;; [unrolled: 1-line block ×3, first 2 shown]
.LBB10_3:
	s_or_b64 exec, exec, s[0:1]
	v_or_b32_e32 v7, 0x200, v0
	v_cmp_gt_u32_e32 vcc, s12, v7
	v_mov_b32_e32 v7, v1
	s_and_saveexec_b64 s[0:1], vcc
	s_cbranch_execz .LBB10_5
; %bb.4:
	global_load_ubyte v7, v[2:3], off offset:512
.LBB10_5:
	s_or_b64 exec, exec, s[0:1]
	v_or_b32_e32 v9, 0x400, v0
	v_cmp_gt_u32_e64 s[0:1], s12, v9
	s_and_saveexec_b64 s[2:3], s[0:1]
	s_cbranch_execz .LBB10_7
; %bb.6:
	global_load_ubyte v1, v[2:3], off offset:1024
.LBB10_7:
	s_or_b64 exec, exec, s[2:3]
	v_or_b32_e32 v9, 0x600, v0
	v_cmp_gt_u32_e64 s[2:3], s12, v9
	s_and_saveexec_b64 s[6:7], s[2:3]
	;; [unrolled: 8-line block ×4, first 2 shown]
	s_cbranch_execz .LBB10_13
; %bb.12:
	global_load_ubyte v4, v[2:3], off offset:2560
.LBB10_13:
	s_or_b64 exec, exec, s[12:13]
	s_mov_b32 s12, 0
	s_mov_b32 s13, 1
	v_lshlrev_b32_e32 v2, 2, v0
	s_mov_b64 s[14:15], 0
	v_mov_b32_e32 v3, 0
	s_mov_b32 s20, s12
	s_branch .LBB10_15
.LBB10_14:                              ;   in Loop: Header=BB10_15 Depth=1
	s_or_b64 exec, exec, s[24:25]
	s_add_i32 s20, s20, 2
	v_cmp_eq_u32_e64 s[22:23], 2, s20
	s_or_b64 s[14:15], s[22:23], s[14:15]
	v_add_u32_e32 v2, 0x1000, v2
	s_andn2_b64 exec, exec, s[14:15]
	s_cbranch_execz .LBB10_19
.LBB10_15:                              ; =>This Inner Loop Header: Depth=1
	s_mov_b32 s21, s20
	s_or_b64 s[24:25], s[20:21], s[12:13]
	v_cmp_le_u32_e64 s[22:23], s25, 1
	v_cmp_le_u32_e64 s[26:27], s24, 1
	s_and_saveexec_b64 s[24:25], s[26:27]
; %bb.16:                               ;   in Loop: Header=BB10_15 Depth=1
	ds_write_b32 v2, v3
; %bb.17:                               ;   in Loop: Header=BB10_15 Depth=1
	s_or_b64 exec, exec, s[24:25]
	s_and_saveexec_b64 s[24:25], s[22:23]
	s_cbranch_execz .LBB10_14
; %bb.18:                               ;   in Loop: Header=BB10_15 Depth=1
	ds_write_b32 v2, v3 offset:2048
	s_branch .LBB10_14
.LBB10_19:
	s_or_b64 exec, exec, s[14:15]
	s_cmp_gt_u32 s17, s16
	s_cselect_b64 s[12:13], -1, 0
	s_cmp_le_u32 s17, s16
	s_waitcnt lgkmcnt(0)
	s_barrier
	s_cbranch_scc1 .LBB10_44
; %bb.20:
	v_and_b32_e32 v2, 3, v0
	v_lshlrev_b32_e32 v2, 2, v2
	s_sub_i32 s20, s17, s16
	s_waitcnt vmcnt(0)
	v_xor_b32_e32 v3, -1, v8
	v_mov_b32_e32 v8, 1
	s_mov_b32 s21, s20
	v_mov_b32_e32 v9, v2
	s_mov_b32 s22, s16
	s_branch .LBB10_22
.LBB10_21:                              ;   in Loop: Header=BB10_22 Depth=1
	s_or_b64 exec, exec, s[14:15]
	s_add_i32 s22, s22, 8
	s_add_i32 s21, s21, -8
	s_cmp_ge_u32 s22, s17
	v_add_u32_e32 v9, 0x1000, v9
	s_cbranch_scc1 .LBB10_24
.LBB10_22:                              ; =>This Inner Loop Header: Depth=1
	s_and_saveexec_b64 s[14:15], s[4:5]
	s_cbranch_execz .LBB10_21
; %bb.23:                               ;   in Loop: Header=BB10_22 Depth=1
	s_min_u32 s23, s21, 8
	v_lshrrev_b32_sdwa v10, s22, v3 dst_sel:DWORD dst_unused:UNUSED_PAD src0_sel:DWORD src1_sel:BYTE_0
	v_bfe_u32 v10, v10, 0, s23
	v_lshl_add_u32 v10, v10, 4, v9
	ds_add_u32 v10, v8
	s_branch .LBB10_21
.LBB10_24:
	v_xor_b32_e32 v3, -1, v7
	v_mov_b32_e32 v7, 1
	s_mov_b32 s14, s20
	v_mov_b32_e32 v8, v2
	s_mov_b32 s15, s16
	s_branch .LBB10_26
.LBB10_25:                              ;   in Loop: Header=BB10_26 Depth=1
	s_or_b64 exec, exec, s[4:5]
	s_add_i32 s15, s15, 8
	s_add_i32 s14, s14, -8
	s_cmp_lt_u32 s15, s17
	v_add_u32_e32 v8, 0x1000, v8
	s_cbranch_scc0 .LBB10_28
.LBB10_26:                              ; =>This Inner Loop Header: Depth=1
	s_and_saveexec_b64 s[4:5], vcc
	s_cbranch_execz .LBB10_25
; %bb.27:                               ;   in Loop: Header=BB10_26 Depth=1
	s_min_u32 s21, s14, 8
	v_lshrrev_b32_sdwa v9, s15, v3 dst_sel:DWORD dst_unused:UNUSED_PAD src0_sel:DWORD src1_sel:BYTE_0
	v_bfe_u32 v9, v9, 0, s21
	v_lshl_add_u32 v9, v9, 4, v8
	ds_add_u32 v9, v7
	s_branch .LBB10_25
.LBB10_28:
	v_xor_b32_e32 v1, -1, v1
	v_mov_b32_e32 v3, 1
	s_mov_b32 s14, s20
	v_mov_b32_e32 v7, v2
	s_mov_b32 s15, s16
	s_branch .LBB10_30
.LBB10_29:                              ;   in Loop: Header=BB10_30 Depth=1
	s_or_b64 exec, exec, s[4:5]
	s_add_i32 s15, s15, 8
	s_add_i32 s14, s14, -8
	s_cmp_lt_u32 s15, s17
	v_add_u32_e32 v7, 0x1000, v7
	s_cbranch_scc0 .LBB10_32
.LBB10_30:                              ; =>This Inner Loop Header: Depth=1
	s_and_saveexec_b64 s[4:5], s[0:1]
	s_cbranch_execz .LBB10_29
; %bb.31:                               ;   in Loop: Header=BB10_30 Depth=1
	s_min_u32 s21, s14, 8
	v_lshrrev_b32_sdwa v8, s15, v1 dst_sel:DWORD dst_unused:UNUSED_PAD src0_sel:DWORD src1_sel:BYTE_0
	v_bfe_u32 v8, v8, 0, s21
	v_lshl_add_u32 v8, v8, 4, v7
	ds_add_u32 v8, v3
	s_branch .LBB10_29
.LBB10_32:
	v_xor_b32_e32 v1, -1, v6
	v_mov_b32_e32 v3, 1
	s_mov_b32 s4, s20
	v_mov_b32_e32 v6, v2
	s_mov_b32 s5, s16
	s_branch .LBB10_34
.LBB10_33:                              ;   in Loop: Header=BB10_34 Depth=1
	s_or_b64 exec, exec, s[0:1]
	s_add_i32 s5, s5, 8
	s_add_i32 s4, s4, -8
	s_cmp_lt_u32 s5, s17
	v_add_u32_e32 v6, 0x1000, v6
	s_cbranch_scc0 .LBB10_36
.LBB10_34:                              ; =>This Inner Loop Header: Depth=1
	s_and_saveexec_b64 s[0:1], s[2:3]
	s_cbranch_execz .LBB10_33
; %bb.35:                               ;   in Loop: Header=BB10_34 Depth=1
	s_min_u32 s14, s4, 8
	v_lshrrev_b32_sdwa v7, s5, v1 dst_sel:DWORD dst_unused:UNUSED_PAD src0_sel:DWORD src1_sel:BYTE_0
	v_bfe_u32 v7, v7, 0, s14
	v_lshl_add_u32 v7, v7, 4, v6
	ds_add_u32 v7, v3
	s_branch .LBB10_33
.LBB10_36:
	v_xor_b32_e32 v1, -1, v5
	v_mov_b32_e32 v3, 1
	s_mov_b32 s2, s20
	v_mov_b32_e32 v5, v2
	s_mov_b32 s3, s16
	s_branch .LBB10_38
.LBB10_37:                              ;   in Loop: Header=BB10_38 Depth=1
	s_or_b64 exec, exec, s[0:1]
	s_add_i32 s3, s3, 8
	s_add_i32 s2, s2, -8
	s_cmp_lt_u32 s3, s17
	v_add_u32_e32 v5, 0x1000, v5
	s_cbranch_scc0 .LBB10_40
.LBB10_38:                              ; =>This Inner Loop Header: Depth=1
	s_and_saveexec_b64 s[0:1], s[6:7]
	s_cbranch_execz .LBB10_37
; %bb.39:                               ;   in Loop: Header=BB10_38 Depth=1
	s_min_u32 s4, s2, 8
	v_lshrrev_b32_sdwa v6, s3, v1 dst_sel:DWORD dst_unused:UNUSED_PAD src0_sel:DWORD src1_sel:BYTE_0
	v_bfe_u32 v6, v6, 0, s4
	v_lshl_add_u32 v6, v6, 4, v5
	ds_add_u32 v6, v3
	s_branch .LBB10_37
.LBB10_40:
	v_xor_b32_e32 v1, -1, v4
	v_mov_b32_e32 v3, 1
	s_mov_b32 s2, s16
	s_branch .LBB10_42
.LBB10_41:                              ;   in Loop: Header=BB10_42 Depth=1
	s_or_b64 exec, exec, s[0:1]
	s_add_i32 s2, s2, 8
	s_add_i32 s20, s20, -8
	s_cmp_lt_u32 s2, s17
	v_add_u32_e32 v2, 0x1000, v2
	s_cbranch_scc0 .LBB10_44
.LBB10_42:                              ; =>This Inner Loop Header: Depth=1
	s_and_saveexec_b64 s[0:1], s[8:9]
	s_cbranch_execz .LBB10_41
; %bb.43:                               ;   in Loop: Header=BB10_42 Depth=1
	s_min_u32 s3, s20, 8
	v_lshrrev_b32_sdwa v4, s2, v1 dst_sel:DWORD dst_unused:UNUSED_PAD src0_sel:DWORD src1_sel:BYTE_0
	v_bfe_u32 v4, v4, 0, s3
	v_lshl_add_u32 v4, v4, 4, v2
	ds_add_u32 v4, v3
	s_branch .LBB10_41
.LBB10_44:
	s_and_b64 vcc, exec, s[12:13]
	s_waitcnt lgkmcnt(0)
	s_barrier
	s_cbranch_vccz .LBB10_49
; %bb.45:
	s_movk_i32 s0, 0x100
	v_cmp_gt_u32_e32 vcc, s0, v0
	s_waitcnt vmcnt(0)
	v_lshlrev_b32_e32 v1, 4, v0
	v_mov_b32_e32 v3, 0
	v_mov_b32_e32 v2, v0
	s_mov_b32 s2, s16
	s_branch .LBB10_47
.LBB10_46:                              ;   in Loop: Header=BB10_47 Depth=1
	s_or_b64 exec, exec, s[0:1]
	s_add_i32 s2, s2, 8
	v_add_u32_e32 v2, 0x100, v2
	s_cmp_lt_u32 s2, s17
	v_add_u32_e32 v1, 0x1000, v1
	s_cbranch_scc0 .LBB10_49
.LBB10_47:                              ; =>This Inner Loop Header: Depth=1
	s_and_saveexec_b64 s[0:1], vcc
	s_cbranch_execz .LBB10_46
; %bb.48:                               ;   in Loop: Header=BB10_47 Depth=1
	ds_read2_b32 v[4:5], v1 offset1:1
	ds_read2_b32 v[6:7], v1 offset0:2 offset1:3
	v_lshl_add_u64 v[8:9], v[2:3], 3, s[10:11]
	s_waitcnt lgkmcnt(1)
	v_add_u32_e32 v4, v5, v4
	s_waitcnt lgkmcnt(0)
	v_add3_u32 v4, v4, v6, v7
	v_mov_b32_e32 v5, v3
	global_atomic_add_x2 v[8:9], v[4:5], off
	s_branch .LBB10_46
.LBB10_49:
	s_mov_b64 s[0:1], 0
.LBB10_50:
	s_and_b64 vcc, exec, s[0:1]
	s_cbranch_vccz .LBB10_86
; %bb.51:
	global_load_ubyte v1, v0, s[18:19]
	global_load_ubyte v4, v0, s[18:19] offset:512
	global_load_ubyte v5, v0, s[18:19] offset:1024
	;; [unrolled: 1-line block ×5, first 2 shown]
	s_cmp_eq_u32 s16, 0
	s_cselect_b64 s[2:3], -1, 0
	s_cmp_eq_u32 s17, 8
	s_cselect_b64 s[4:5], -1, 0
	s_mov_b32 s0, 0
	s_and_b64 s[4:5], s[2:3], s[4:5]
	s_mov_b32 s1, 1
	v_mov_b32_e32 v2, 0
	s_mov_b64 s[2:3], -1
	s_and_b64 vcc, exec, s[4:5]
	v_lshlrev_b32_e32 v9, 2, v0
	s_cbranch_vccnz .LBB10_77
; %bb.52:
	v_lshlrev_b32_e32 v3, 2, v0
	s_mov_b64 s[2:3], 0
	s_mov_b32 s4, s0
	s_branch .LBB10_54
.LBB10_53:                              ;   in Loop: Header=BB10_54 Depth=1
	s_or_b64 exec, exec, s[8:9]
	s_add_i32 s4, s4, 2
	v_cmp_eq_u32_e64 s[6:7], 2, s4
	s_or_b64 s[2:3], s[6:7], s[2:3]
	v_add_u32_e32 v3, 0x1000, v3
	s_andn2_b64 exec, exec, s[2:3]
	s_cbranch_execz .LBB10_58
.LBB10_54:                              ; =>This Inner Loop Header: Depth=1
	s_mov_b32 s5, s4
	s_or_b64 s[8:9], s[4:5], s[0:1]
	v_cmp_le_u32_e64 s[6:7], s9, 1
	v_cmp_le_u32_e64 s[12:13], s8, 1
	s_and_saveexec_b64 s[8:9], s[12:13]
; %bb.55:                               ;   in Loop: Header=BB10_54 Depth=1
	ds_write_b32 v3, v2
; %bb.56:                               ;   in Loop: Header=BB10_54 Depth=1
	s_or_b64 exec, exec, s[8:9]
	s_and_saveexec_b64 s[8:9], s[6:7]
	s_cbranch_execz .LBB10_53
; %bb.57:                               ;   in Loop: Header=BB10_54 Depth=1
	ds_write_b32 v3, v2 offset:2048
	s_branch .LBB10_53
.LBB10_58:
	s_or_b64 exec, exec, s[2:3]
	s_cmp_gt_u32 s17, s16
	s_cselect_b64 s[0:1], -1, 0
	s_cmp_le_u32 s17, s16
	s_waitcnt lgkmcnt(0)
	s_barrier
	s_cbranch_scc1 .LBB10_71
; %bb.59:
	v_and_b32_e32 v2, 3, v0
	v_lshlrev_b32_e32 v2, 2, v2
	s_sub_i32 s2, s17, s16
	s_waitcnt vmcnt(5)
	v_xor_b32_e32 v3, -1, v1
	v_mov_b32_e32 v10, 1
	s_mov_b32 s3, s2
	v_mov_b32_e32 v11, v2
	s_mov_b32 s4, s16
.LBB10_60:                              ; =>This Inner Loop Header: Depth=1
	s_min_u32 s5, s3, 8
	v_lshrrev_b32_sdwa v12, s4, v3 dst_sel:DWORD dst_unused:UNUSED_PAD src0_sel:DWORD src1_sel:BYTE_0
	v_bfe_u32 v12, v12, 0, s5
	v_lshl_add_u32 v12, v12, 4, v11
	ds_add_u32 v12, v10
	s_add_i32 s4, s4, 8
	s_add_i32 s3, s3, -8
	s_cmp_ge_u32 s4, s17
	v_add_u32_e32 v11, 0x1000, v11
	s_cbranch_scc0 .LBB10_60
; %bb.61:
	s_waitcnt vmcnt(4)
	v_xor_b32_e32 v3, -1, v4
	v_mov_b32_e32 v10, 1
	s_mov_b32 s3, s2
	v_mov_b32_e32 v11, v2
	s_mov_b32 s4, s16
.LBB10_62:                              ; =>This Inner Loop Header: Depth=1
	s_min_u32 s5, s3, 8
	v_lshrrev_b32_sdwa v12, s4, v3 dst_sel:DWORD dst_unused:UNUSED_PAD src0_sel:DWORD src1_sel:BYTE_0
	v_bfe_u32 v12, v12, 0, s5
	v_lshl_add_u32 v12, v12, 4, v11
	ds_add_u32 v12, v10
	s_add_i32 s4, s4, 8
	s_add_i32 s3, s3, -8
	s_cmp_lt_u32 s4, s17
	v_add_u32_e32 v11, 0x1000, v11
	s_cbranch_scc1 .LBB10_62
; %bb.63:
	s_waitcnt vmcnt(3)
	v_xor_b32_e32 v3, -1, v5
	v_mov_b32_e32 v10, 1
	s_mov_b32 s3, s2
	v_mov_b32_e32 v11, v2
	s_mov_b32 s4, s16
.LBB10_64:                              ; =>This Inner Loop Header: Depth=1
	s_min_u32 s5, s3, 8
	v_lshrrev_b32_sdwa v12, s4, v3 dst_sel:DWORD dst_unused:UNUSED_PAD src0_sel:DWORD src1_sel:BYTE_0
	v_bfe_u32 v12, v12, 0, s5
	v_lshl_add_u32 v12, v12, 4, v11
	ds_add_u32 v12, v10
	s_add_i32 s4, s4, 8
	s_add_i32 s3, s3, -8
	s_cmp_lt_u32 s4, s17
	v_add_u32_e32 v11, 0x1000, v11
	s_cbranch_scc1 .LBB10_64
	;; [unrolled: 18-line block ×4, first 2 shown]
; %bb.69:
	s_waitcnt vmcnt(0)
	v_xor_b32_e32 v3, -1, v8
	v_mov_b32_e32 v10, 1
	s_mov_b32 s3, s16
.LBB10_70:                              ; =>This Inner Loop Header: Depth=1
	s_min_u32 s4, s2, 8
	v_lshrrev_b32_sdwa v11, s3, v3 dst_sel:DWORD dst_unused:UNUSED_PAD src0_sel:DWORD src1_sel:BYTE_0
	v_bfe_u32 v11, v11, 0, s4
	v_lshl_add_u32 v11, v11, 4, v2
	ds_add_u32 v11, v10
	s_add_i32 s3, s3, 8
	s_add_i32 s2, s2, -8
	s_cmp_lt_u32 s3, s17
	v_add_u32_e32 v2, 0x1000, v2
	s_cbranch_scc1 .LBB10_70
.LBB10_71:
	s_and_b64 vcc, exec, s[0:1]
	s_waitcnt lgkmcnt(0)
	s_barrier
	s_cbranch_vccz .LBB10_76
; %bb.72:
	s_movk_i32 s0, 0x100
	v_cmp_gt_u32_e32 vcc, s0, v0
	v_lshlrev_b32_e32 v10, 4, v0
	v_mov_b32_e32 v3, 0
	v_mov_b32_e32 v2, v0
	s_branch .LBB10_74
.LBB10_73:                              ;   in Loop: Header=BB10_74 Depth=1
	s_or_b64 exec, exec, s[0:1]
	s_add_i32 s16, s16, 8
	v_add_u32_e32 v2, 0x100, v2
	s_cmp_ge_u32 s16, s17
	v_add_u32_e32 v10, 0x1000, v10
	s_cbranch_scc1 .LBB10_76
.LBB10_74:                              ; =>This Inner Loop Header: Depth=1
	s_and_saveexec_b64 s[0:1], vcc
	s_cbranch_execz .LBB10_73
; %bb.75:                               ;   in Loop: Header=BB10_74 Depth=1
	ds_read2_b32 v[12:13], v10 offset1:1
	ds_read2_b32 v[14:15], v10 offset0:2 offset1:3
	v_lshl_add_u64 v[16:17], v[2:3], 3, s[10:11]
	s_waitcnt lgkmcnt(1)
	v_add_u32_e32 v11, v13, v12
	s_waitcnt lgkmcnt(0)
	v_add3_u32 v12, v11, v14, v15
	v_mov_b32_e32 v13, v3
	global_atomic_add_x2 v[16:17], v[12:13], off
	s_branch .LBB10_73
.LBB10_76:
	s_mov_b64 s[2:3], 0
.LBB10_77:
	s_and_b64 vcc, exec, s[2:3]
	s_cbranch_vccz .LBB10_86
; %bb.78:
	s_mov_b32 s0, 0
	s_mov_b32 s1, 1
	s_mov_b64 s[2:3], 0
	v_mov_b32_e32 v2, 0
	s_mov_b32 s4, s0
	s_branch .LBB10_80
.LBB10_79:                              ;   in Loop: Header=BB10_80 Depth=1
	s_or_b64 exec, exec, s[8:9]
	s_add_i32 s4, s4, 2
	v_cmp_eq_u32_e64 s[6:7], 2, s4
	s_or_b64 s[2:3], s[6:7], s[2:3]
	v_add_u32_e32 v9, 0x1000, v9
	s_andn2_b64 exec, exec, s[2:3]
	s_cbranch_execz .LBB10_84
.LBB10_80:                              ; =>This Inner Loop Header: Depth=1
	s_mov_b32 s5, s4
	s_or_b64 s[8:9], s[4:5], s[0:1]
	v_cmp_le_u32_e64 s[6:7], s9, 1
	v_cmp_le_u32_e64 s[12:13], s8, 1
	s_and_saveexec_b64 s[8:9], s[12:13]
; %bb.81:                               ;   in Loop: Header=BB10_80 Depth=1
	ds_write_b32 v9, v2
; %bb.82:                               ;   in Loop: Header=BB10_80 Depth=1
	s_or_b64 exec, exec, s[8:9]
	s_and_saveexec_b64 s[8:9], s[6:7]
	s_cbranch_execz .LBB10_79
; %bb.83:                               ;   in Loop: Header=BB10_80 Depth=1
	ds_write_b32 v9, v2 offset:2048
	s_branch .LBB10_79
.LBB10_84:
	s_or_b64 exec, exec, s[2:3]
	s_waitcnt vmcnt(5)
	v_xor_b32_e32 v1, -1, v1
	s_waitcnt vmcnt(3)
	v_xor_b32_e32 v3, -1, v5
	;; [unrolled: 2-line block ×3, first 2 shown]
	v_and_b32_e32 v7, 3, v0
	v_and_b32_e32 v1, 0xff, v1
	v_lshlrev_b32_e32 v7, 2, v7
	v_xor_b32_e32 v2, -1, v4
	v_xor_b32_e32 v4, -1, v6
	s_waitcnt vmcnt(0)
	v_xor_b32_e32 v6, -1, v8
	v_lshl_or_b32 v1, v1, 4, v7
	v_mov_b32_e32 v8, 1
	s_waitcnt lgkmcnt(0)
	s_barrier
	ds_add_u32 v1, v8
	v_and_b32_e32 v1, 0xff, v2
	v_lshl_or_b32 v1, v1, 4, v7
	ds_add_u32 v1, v8
	v_and_b32_e32 v1, 0xff, v3
	v_lshl_or_b32 v1, v1, 4, v7
	ds_add_u32 v1, v8
	v_and_b32_e32 v1, 0xff, v4
	v_lshl_or_b32 v1, v1, 4, v7
	ds_add_u32 v1, v8
	v_and_b32_e32 v1, 0xff, v5
	v_lshl_or_b32 v1, v1, 4, v7
	ds_add_u32 v1, v8
	v_and_b32_e32 v1, 0xff, v6
	v_lshl_or_b32 v1, v1, 4, v7
	ds_add_u32 v1, v8
	s_movk_i32 s0, 0x100
	v_cmp_gt_u32_e32 vcc, s0, v0
	s_waitcnt lgkmcnt(0)
	s_barrier
	s_and_saveexec_b64 s[0:1], vcc
	s_cbranch_execz .LBB10_86
; %bb.85:
	v_lshlrev_b32_e32 v1, 4, v0
	ds_read2_b32 v[2:3], v1 offset1:1
	ds_read2_b32 v[4:5], v1 offset0:2 offset1:3
	v_lshlrev_b32_e32 v6, 3, v0
	v_mov_b32_e32 v1, 0
	s_waitcnt lgkmcnt(1)
	v_add_u32_e32 v0, v3, v2
	s_waitcnt lgkmcnt(0)
	v_add3_u32 v0, v0, v4, v5
	global_atomic_add_x2 v6, v[0:1], s[10:11]
.LBB10_86:
	s_endpgm
	.section	.rodata,"a",@progbits
	.p2align	6, 0x0
	.amdhsa_kernel _ZN7rocprim17ROCPRIM_304000_NS6detail26onesweep_histograms_kernelINS1_34wrapped_radix_sort_onesweep_configINS0_14default_configEhN2at4cuda3cub6detail10OpaqueTypeILi8EEEEELb1EPKhmNS0_19identity_decomposerEEEvT1_PT2_SG_SG_T3_jj
		.amdhsa_group_segment_fixed_size 4096
		.amdhsa_private_segment_fixed_size 0
		.amdhsa_kernarg_size 44
		.amdhsa_user_sgpr_count 2
		.amdhsa_user_sgpr_dispatch_ptr 0
		.amdhsa_user_sgpr_queue_ptr 0
		.amdhsa_user_sgpr_kernarg_segment_ptr 1
		.amdhsa_user_sgpr_dispatch_id 0
		.amdhsa_user_sgpr_kernarg_preload_length 0
		.amdhsa_user_sgpr_kernarg_preload_offset 0
		.amdhsa_user_sgpr_private_segment_size 0
		.amdhsa_uses_dynamic_stack 0
		.amdhsa_enable_private_segment 0
		.amdhsa_system_sgpr_workgroup_id_x 1
		.amdhsa_system_sgpr_workgroup_id_y 0
		.amdhsa_system_sgpr_workgroup_id_z 0
		.amdhsa_system_sgpr_workgroup_info 0
		.amdhsa_system_vgpr_workitem_id 0
		.amdhsa_next_free_vgpr 18
		.amdhsa_next_free_sgpr 28
		.amdhsa_accum_offset 20
		.amdhsa_reserve_vcc 1
		.amdhsa_float_round_mode_32 0
		.amdhsa_float_round_mode_16_64 0
		.amdhsa_float_denorm_mode_32 3
		.amdhsa_float_denorm_mode_16_64 3
		.amdhsa_dx10_clamp 1
		.amdhsa_ieee_mode 1
		.amdhsa_fp16_overflow 0
		.amdhsa_tg_split 0
		.amdhsa_exception_fp_ieee_invalid_op 0
		.amdhsa_exception_fp_denorm_src 0
		.amdhsa_exception_fp_ieee_div_zero 0
		.amdhsa_exception_fp_ieee_overflow 0
		.amdhsa_exception_fp_ieee_underflow 0
		.amdhsa_exception_fp_ieee_inexact 0
		.amdhsa_exception_int_div_zero 0
	.end_amdhsa_kernel
	.section	.text._ZN7rocprim17ROCPRIM_304000_NS6detail26onesweep_histograms_kernelINS1_34wrapped_radix_sort_onesweep_configINS0_14default_configEhN2at4cuda3cub6detail10OpaqueTypeILi8EEEEELb1EPKhmNS0_19identity_decomposerEEEvT1_PT2_SG_SG_T3_jj,"axG",@progbits,_ZN7rocprim17ROCPRIM_304000_NS6detail26onesweep_histograms_kernelINS1_34wrapped_radix_sort_onesweep_configINS0_14default_configEhN2at4cuda3cub6detail10OpaqueTypeILi8EEEEELb1EPKhmNS0_19identity_decomposerEEEvT1_PT2_SG_SG_T3_jj,comdat
.Lfunc_end10:
	.size	_ZN7rocprim17ROCPRIM_304000_NS6detail26onesweep_histograms_kernelINS1_34wrapped_radix_sort_onesweep_configINS0_14default_configEhN2at4cuda3cub6detail10OpaqueTypeILi8EEEEELb1EPKhmNS0_19identity_decomposerEEEvT1_PT2_SG_SG_T3_jj, .Lfunc_end10-_ZN7rocprim17ROCPRIM_304000_NS6detail26onesweep_histograms_kernelINS1_34wrapped_radix_sort_onesweep_configINS0_14default_configEhN2at4cuda3cub6detail10OpaqueTypeILi8EEEEELb1EPKhmNS0_19identity_decomposerEEEvT1_PT2_SG_SG_T3_jj
                                        ; -- End function
	.set _ZN7rocprim17ROCPRIM_304000_NS6detail26onesweep_histograms_kernelINS1_34wrapped_radix_sort_onesweep_configINS0_14default_configEhN2at4cuda3cub6detail10OpaqueTypeILi8EEEEELb1EPKhmNS0_19identity_decomposerEEEvT1_PT2_SG_SG_T3_jj.num_vgpr, 18
	.set _ZN7rocprim17ROCPRIM_304000_NS6detail26onesweep_histograms_kernelINS1_34wrapped_radix_sort_onesweep_configINS0_14default_configEhN2at4cuda3cub6detail10OpaqueTypeILi8EEEEELb1EPKhmNS0_19identity_decomposerEEEvT1_PT2_SG_SG_T3_jj.num_agpr, 0
	.set _ZN7rocprim17ROCPRIM_304000_NS6detail26onesweep_histograms_kernelINS1_34wrapped_radix_sort_onesweep_configINS0_14default_configEhN2at4cuda3cub6detail10OpaqueTypeILi8EEEEELb1EPKhmNS0_19identity_decomposerEEEvT1_PT2_SG_SG_T3_jj.numbered_sgpr, 28
	.set _ZN7rocprim17ROCPRIM_304000_NS6detail26onesweep_histograms_kernelINS1_34wrapped_radix_sort_onesweep_configINS0_14default_configEhN2at4cuda3cub6detail10OpaqueTypeILi8EEEEELb1EPKhmNS0_19identity_decomposerEEEvT1_PT2_SG_SG_T3_jj.num_named_barrier, 0
	.set _ZN7rocprim17ROCPRIM_304000_NS6detail26onesweep_histograms_kernelINS1_34wrapped_radix_sort_onesweep_configINS0_14default_configEhN2at4cuda3cub6detail10OpaqueTypeILi8EEEEELb1EPKhmNS0_19identity_decomposerEEEvT1_PT2_SG_SG_T3_jj.private_seg_size, 0
	.set _ZN7rocprim17ROCPRIM_304000_NS6detail26onesweep_histograms_kernelINS1_34wrapped_radix_sort_onesweep_configINS0_14default_configEhN2at4cuda3cub6detail10OpaqueTypeILi8EEEEELb1EPKhmNS0_19identity_decomposerEEEvT1_PT2_SG_SG_T3_jj.uses_vcc, 1
	.set _ZN7rocprim17ROCPRIM_304000_NS6detail26onesweep_histograms_kernelINS1_34wrapped_radix_sort_onesweep_configINS0_14default_configEhN2at4cuda3cub6detail10OpaqueTypeILi8EEEEELb1EPKhmNS0_19identity_decomposerEEEvT1_PT2_SG_SG_T3_jj.uses_flat_scratch, 0
	.set _ZN7rocprim17ROCPRIM_304000_NS6detail26onesweep_histograms_kernelINS1_34wrapped_radix_sort_onesweep_configINS0_14default_configEhN2at4cuda3cub6detail10OpaqueTypeILi8EEEEELb1EPKhmNS0_19identity_decomposerEEEvT1_PT2_SG_SG_T3_jj.has_dyn_sized_stack, 0
	.set _ZN7rocprim17ROCPRIM_304000_NS6detail26onesweep_histograms_kernelINS1_34wrapped_radix_sort_onesweep_configINS0_14default_configEhN2at4cuda3cub6detail10OpaqueTypeILi8EEEEELb1EPKhmNS0_19identity_decomposerEEEvT1_PT2_SG_SG_T3_jj.has_recursion, 0
	.set _ZN7rocprim17ROCPRIM_304000_NS6detail26onesweep_histograms_kernelINS1_34wrapped_radix_sort_onesweep_configINS0_14default_configEhN2at4cuda3cub6detail10OpaqueTypeILi8EEEEELb1EPKhmNS0_19identity_decomposerEEEvT1_PT2_SG_SG_T3_jj.has_indirect_call, 0
	.section	.AMDGPU.csdata,"",@progbits
; Kernel info:
; codeLenInByte = 2548
; TotalNumSgprs: 34
; NumVgprs: 18
; NumAgprs: 0
; TotalNumVgprs: 18
; ScratchSize: 0
; MemoryBound: 0
; FloatMode: 240
; IeeeMode: 1
; LDSByteSize: 4096 bytes/workgroup (compile time only)
; SGPRBlocks: 4
; VGPRBlocks: 2
; NumSGPRsForWavesPerEU: 34
; NumVGPRsForWavesPerEU: 18
; AccumOffset: 20
; Occupancy: 8
; WaveLimiterHint : 1
; COMPUTE_PGM_RSRC2:SCRATCH_EN: 0
; COMPUTE_PGM_RSRC2:USER_SGPR: 2
; COMPUTE_PGM_RSRC2:TRAP_HANDLER: 0
; COMPUTE_PGM_RSRC2:TGID_X_EN: 1
; COMPUTE_PGM_RSRC2:TGID_Y_EN: 0
; COMPUTE_PGM_RSRC2:TGID_Z_EN: 0
; COMPUTE_PGM_RSRC2:TIDIG_COMP_CNT: 0
; COMPUTE_PGM_RSRC3_GFX90A:ACCUM_OFFSET: 4
; COMPUTE_PGM_RSRC3_GFX90A:TG_SPLIT: 0
	.section	.text._ZN7rocprim17ROCPRIM_304000_NS6detail31onesweep_scan_histograms_kernelINS1_34wrapped_radix_sort_onesweep_configINS0_14default_configEhN2at4cuda3cub6detail10OpaqueTypeILi8EEEEEmEEvPT0_,"axG",@progbits,_ZN7rocprim17ROCPRIM_304000_NS6detail31onesweep_scan_histograms_kernelINS1_34wrapped_radix_sort_onesweep_configINS0_14default_configEhN2at4cuda3cub6detail10OpaqueTypeILi8EEEEEmEEvPT0_,comdat
	.protected	_ZN7rocprim17ROCPRIM_304000_NS6detail31onesweep_scan_histograms_kernelINS1_34wrapped_radix_sort_onesweep_configINS0_14default_configEhN2at4cuda3cub6detail10OpaqueTypeILi8EEEEEmEEvPT0_ ; -- Begin function _ZN7rocprim17ROCPRIM_304000_NS6detail31onesweep_scan_histograms_kernelINS1_34wrapped_radix_sort_onesweep_configINS0_14default_configEhN2at4cuda3cub6detail10OpaqueTypeILi8EEEEEmEEvPT0_
	.globl	_ZN7rocprim17ROCPRIM_304000_NS6detail31onesweep_scan_histograms_kernelINS1_34wrapped_radix_sort_onesweep_configINS0_14default_configEhN2at4cuda3cub6detail10OpaqueTypeILi8EEEEEmEEvPT0_
	.p2align	8
	.type	_ZN7rocprim17ROCPRIM_304000_NS6detail31onesweep_scan_histograms_kernelINS1_34wrapped_radix_sort_onesweep_configINS0_14default_configEhN2at4cuda3cub6detail10OpaqueTypeILi8EEEEEmEEvPT0_,@function
_ZN7rocprim17ROCPRIM_304000_NS6detail31onesweep_scan_histograms_kernelINS1_34wrapped_radix_sort_onesweep_configINS0_14default_configEhN2at4cuda3cub6detail10OpaqueTypeILi8EEEEEmEEvPT0_: ; @_ZN7rocprim17ROCPRIM_304000_NS6detail31onesweep_scan_histograms_kernelINS1_34wrapped_radix_sort_onesweep_configINS0_14default_configEhN2at4cuda3cub6detail10OpaqueTypeILi8EEEEEmEEvPT0_
; %bb.0:
	s_load_dwordx2 s[0:1], s[0:1], 0x0
	s_lshl_b32 s2, s2, 8
	s_mov_b32 s3, 0
	s_lshl_b64 s[2:3], s[2:3], 3
	v_lshlrev_b32_e32 v8, 3, v0
	s_waitcnt lgkmcnt(0)
	s_add_u32 s6, s0, s2
	s_movk_i32 s0, 0x100
	s_addc_u32 s7, s1, s3
	v_cmp_gt_u32_e32 vcc, s0, v0
                                        ; implicit-def: $vgpr2_vgpr3
	s_and_saveexec_b64 s[0:1], vcc
	s_cbranch_execz .LBB11_2
; %bb.1:
	global_load_dwordx2 v[2:3], v8, s[6:7]
.LBB11_2:
	s_or_b64 exec, exec, s[0:1]
	v_mbcnt_lo_u32_b32 v1, -1, 0
	v_mov_b32_e32 v6, 0
	v_mbcnt_hi_u32_b32 v9, -1, v1
	s_waitcnt vmcnt(0)
	v_mov_b32_dpp v4, v2 row_shr:1 row_mask:0xf bank_mask:0xf
	v_mov_b32_e32 v5, v6
	v_and_b32_e32 v1, 15, v9
	v_mov_b32_dpp v7, v3 row_shr:1 row_mask:0xf bank_mask:0xf
	v_lshl_add_u64 v[4:5], v[2:3], 0, v[4:5]
	v_lshl_add_u64 v[6:7], v[6:7], 0, v[4:5]
	v_cmp_eq_u32_e64 s[0:1], 0, v1
	v_cmp_ne_u32_e64 s[4:5], 0, v9
	s_nop 0
	v_cndmask_b32_e64 v10, v4, v2, s[0:1]
	v_cndmask_b32_e64 v5, v7, v3, s[0:1]
	v_cndmask_b32_e64 v4, v6, v2, s[0:1]
	v_mov_b32_dpp v6, v10 row_shr:2 row_mask:0xf bank_mask:0xf
	v_mov_b32_dpp v7, v5 row_shr:2 row_mask:0xf bank_mask:0xf
	v_lshl_add_u64 v[6:7], v[6:7], 0, v[4:5]
	v_cmp_lt_u32_e64 s[0:1], 1, v1
	s_nop 1
	v_cndmask_b32_e64 v10, v10, v6, s[0:1]
	v_cndmask_b32_e64 v5, v5, v7, s[0:1]
	v_cndmask_b32_e64 v4, v4, v6, s[0:1]
	v_mov_b32_dpp v6, v10 row_shr:4 row_mask:0xf bank_mask:0xf
	v_mov_b32_dpp v7, v5 row_shr:4 row_mask:0xf bank_mask:0xf
	v_lshl_add_u64 v[6:7], v[6:7], 0, v[4:5]
	v_cmp_lt_u32_e64 s[0:1], 3, v1
	s_nop 1
	v_cndmask_b32_e64 v10, v10, v6, s[0:1]
	v_cndmask_b32_e64 v5, v5, v7, s[0:1]
	v_cndmask_b32_e64 v4, v4, v6, s[0:1]
	v_mov_b32_dpp v6, v10 row_shr:8 row_mask:0xf bank_mask:0xf
	v_mov_b32_dpp v7, v5 row_shr:8 row_mask:0xf bank_mask:0xf
	v_lshl_add_u64 v[6:7], v[6:7], 0, v[4:5]
	v_cmp_lt_u32_e64 s[0:1], 7, v1
	s_nop 1
	v_cndmask_b32_e64 v1, v10, v6, s[0:1]
	v_cndmask_b32_e64 v5, v5, v7, s[0:1]
	;; [unrolled: 1-line block ×3, first 2 shown]
	v_mov_b32_dpp v6, v1 row_bcast:15 row_mask:0xf bank_mask:0xf
	v_mov_b32_dpp v7, v5 row_bcast:15 row_mask:0xf bank_mask:0xf
	v_and_b32_e32 v10, 16, v9
	v_lshl_add_u64 v[6:7], v[6:7], 0, v[4:5]
	v_cmp_eq_u32_e64 s[2:3], 0, v10
	v_cmp_eq_u32_e64 s[0:1], 0, v9
	s_nop 0
	v_cndmask_b32_e64 v10, v7, v5, s[2:3]
	v_cndmask_b32_e64 v1, v6, v1, s[2:3]
	s_nop 0
	v_mov_b32_dpp v10, v10 row_bcast:31 row_mask:0xf bank_mask:0xf
	v_mov_b32_dpp v1, v1 row_bcast:31 row_mask:0xf bank_mask:0xf
	s_and_saveexec_b64 s[8:9], s[4:5]
; %bb.3:
	v_cndmask_b32_e64 v3, v7, v5, s[2:3]
	v_cndmask_b32_e64 v2, v6, v4, s[2:3]
	v_cmp_lt_u32_e64 s[2:3], 31, v9
	s_nop 1
	v_cndmask_b32_e64 v5, 0, v10, s[2:3]
	v_cndmask_b32_e64 v4, 0, v1, s[2:3]
	v_lshl_add_u64 v[2:3], v[4:5], 0, v[2:3]
; %bb.4:
	s_or_b64 exec, exec, s[8:9]
	v_or_b32_e32 v1, 63, v0
	v_lshrrev_b32_e32 v4, 6, v0
	v_cmp_eq_u32_e64 s[2:3], v0, v1
	s_and_saveexec_b64 s[4:5], s[2:3]
; %bb.5:
	v_lshlrev_b32_e32 v1, 3, v4
	ds_write_b64 v1, v[2:3]
; %bb.6:
	s_or_b64 exec, exec, s[4:5]
	v_cmp_gt_u32_e64 s[2:3], 8, v0
	s_waitcnt lgkmcnt(0)
	s_barrier
	s_and_saveexec_b64 s[4:5], s[2:3]
	s_cbranch_execz .LBB11_8
; %bb.7:
	ds_read_b64 v[6:7], v8
	v_mov_b32_e32 v10, 0
	v_and_b32_e32 v1, 7, v9
	v_mov_b32_e32 v13, v10
	v_cmp_eq_u32_e64 s[2:3], 0, v1
	s_waitcnt lgkmcnt(0)
	v_mov_b32_dpp v12, v6 row_shr:1 row_mask:0xf bank_mask:0xf
	v_mov_b32_dpp v11, v7 row_shr:1 row_mask:0xf bank_mask:0xf
	v_lshl_add_u64 v[12:13], v[6:7], 0, v[12:13]
	v_lshl_add_u64 v[14:15], v[10:11], 0, v[12:13]
	v_cndmask_b32_e64 v5, v12, v6, s[2:3]
	v_cndmask_b32_e64 v15, v15, v7, s[2:3]
	;; [unrolled: 1-line block ×3, first 2 shown]
	v_mov_b32_dpp v6, v5 row_shr:2 row_mask:0xf bank_mask:0xf
	v_mov_b32_e32 v7, v10
	v_mov_b32_dpp v11, v15 row_shr:2 row_mask:0xf bank_mask:0xf
	v_lshl_add_u64 v[6:7], v[14:15], 0, v[6:7]
	v_lshl_add_u64 v[10:11], v[6:7], 0, v[10:11]
	v_cmp_lt_u32_e64 s[2:3], 1, v1
	s_nop 1
	v_cndmask_b32_e64 v11, v15, v11, s[2:3]
	v_cndmask_b32_e64 v5, v5, v6, s[2:3]
	;; [unrolled: 1-line block ×3, first 2 shown]
	v_mov_b32_dpp v7, v11 row_shr:4 row_mask:0xf bank_mask:0xf
	v_mov_b32_dpp v5, v5 row_shr:4 row_mask:0xf bank_mask:0xf
	v_cmp_lt_u32_e64 s[2:3], 3, v1
	s_nop 1
	v_cndmask_b32_e64 v6, 0, v5, s[2:3]
	v_cndmask_b32_e64 v7, 0, v7, s[2:3]
	v_lshl_add_u64 v[6:7], v[6:7], 0, v[10:11]
	ds_write_b64 v8, v[6:7]
.LBB11_8:
	s_or_b64 exec, exec, s[4:5]
	v_cmp_lt_u32_e64 s[2:3], 63, v0
	v_mov_b64_e32 v[0:1], 0
	s_waitcnt lgkmcnt(0)
	s_barrier
	s_and_saveexec_b64 s[4:5], s[2:3]
; %bb.9:
	v_lshl_add_u32 v0, v4, 3, -8
	ds_read_b64 v[0:1], v0
; %bb.10:
	s_or_b64 exec, exec, s[4:5]
	v_add_u32_e32 v4, -1, v9
	v_and_b32_e32 v5, 64, v9
	v_cmp_lt_i32_e64 s[2:3], v4, v5
	s_waitcnt lgkmcnt(0)
	v_lshl_add_u64 v[2:3], v[0:1], 0, v[2:3]
	v_cndmask_b32_e64 v4, v4, v9, s[2:3]
	v_lshlrev_b32_e32 v4, 2, v4
	ds_bpermute_b32 v2, v4, v2
	ds_bpermute_b32 v3, v4, v3
	s_and_saveexec_b64 s[2:3], vcc
	s_cbranch_execz .LBB11_12
; %bb.11:
	s_waitcnt lgkmcnt(0)
	v_cndmask_b32_e64 v1, v3, v1, s[0:1]
	v_cndmask_b32_e64 v0, v2, v0, s[0:1]
	global_store_dwordx2 v8, v[0:1], s[6:7]
.LBB11_12:
	s_endpgm
	.section	.rodata,"a",@progbits
	.p2align	6, 0x0
	.amdhsa_kernel _ZN7rocprim17ROCPRIM_304000_NS6detail31onesweep_scan_histograms_kernelINS1_34wrapped_radix_sort_onesweep_configINS0_14default_configEhN2at4cuda3cub6detail10OpaqueTypeILi8EEEEEmEEvPT0_
		.amdhsa_group_segment_fixed_size 64
		.amdhsa_private_segment_fixed_size 0
		.amdhsa_kernarg_size 8
		.amdhsa_user_sgpr_count 2
		.amdhsa_user_sgpr_dispatch_ptr 0
		.amdhsa_user_sgpr_queue_ptr 0
		.amdhsa_user_sgpr_kernarg_segment_ptr 1
		.amdhsa_user_sgpr_dispatch_id 0
		.amdhsa_user_sgpr_kernarg_preload_length 0
		.amdhsa_user_sgpr_kernarg_preload_offset 0
		.amdhsa_user_sgpr_private_segment_size 0
		.amdhsa_uses_dynamic_stack 0
		.amdhsa_enable_private_segment 0
		.amdhsa_system_sgpr_workgroup_id_x 1
		.amdhsa_system_sgpr_workgroup_id_y 0
		.amdhsa_system_sgpr_workgroup_id_z 0
		.amdhsa_system_sgpr_workgroup_info 0
		.amdhsa_system_vgpr_workitem_id 0
		.amdhsa_next_free_vgpr 16
		.amdhsa_next_free_sgpr 10
		.amdhsa_accum_offset 16
		.amdhsa_reserve_vcc 1
		.amdhsa_float_round_mode_32 0
		.amdhsa_float_round_mode_16_64 0
		.amdhsa_float_denorm_mode_32 3
		.amdhsa_float_denorm_mode_16_64 3
		.amdhsa_dx10_clamp 1
		.amdhsa_ieee_mode 1
		.amdhsa_fp16_overflow 0
		.amdhsa_tg_split 0
		.amdhsa_exception_fp_ieee_invalid_op 0
		.amdhsa_exception_fp_denorm_src 0
		.amdhsa_exception_fp_ieee_div_zero 0
		.amdhsa_exception_fp_ieee_overflow 0
		.amdhsa_exception_fp_ieee_underflow 0
		.amdhsa_exception_fp_ieee_inexact 0
		.amdhsa_exception_int_div_zero 0
	.end_amdhsa_kernel
	.section	.text._ZN7rocprim17ROCPRIM_304000_NS6detail31onesweep_scan_histograms_kernelINS1_34wrapped_radix_sort_onesweep_configINS0_14default_configEhN2at4cuda3cub6detail10OpaqueTypeILi8EEEEEmEEvPT0_,"axG",@progbits,_ZN7rocprim17ROCPRIM_304000_NS6detail31onesweep_scan_histograms_kernelINS1_34wrapped_radix_sort_onesweep_configINS0_14default_configEhN2at4cuda3cub6detail10OpaqueTypeILi8EEEEEmEEvPT0_,comdat
.Lfunc_end11:
	.size	_ZN7rocprim17ROCPRIM_304000_NS6detail31onesweep_scan_histograms_kernelINS1_34wrapped_radix_sort_onesweep_configINS0_14default_configEhN2at4cuda3cub6detail10OpaqueTypeILi8EEEEEmEEvPT0_, .Lfunc_end11-_ZN7rocprim17ROCPRIM_304000_NS6detail31onesweep_scan_histograms_kernelINS1_34wrapped_radix_sort_onesweep_configINS0_14default_configEhN2at4cuda3cub6detail10OpaqueTypeILi8EEEEEmEEvPT0_
                                        ; -- End function
	.set _ZN7rocprim17ROCPRIM_304000_NS6detail31onesweep_scan_histograms_kernelINS1_34wrapped_radix_sort_onesweep_configINS0_14default_configEhN2at4cuda3cub6detail10OpaqueTypeILi8EEEEEmEEvPT0_.num_vgpr, 16
	.set _ZN7rocprim17ROCPRIM_304000_NS6detail31onesweep_scan_histograms_kernelINS1_34wrapped_radix_sort_onesweep_configINS0_14default_configEhN2at4cuda3cub6detail10OpaqueTypeILi8EEEEEmEEvPT0_.num_agpr, 0
	.set _ZN7rocprim17ROCPRIM_304000_NS6detail31onesweep_scan_histograms_kernelINS1_34wrapped_radix_sort_onesweep_configINS0_14default_configEhN2at4cuda3cub6detail10OpaqueTypeILi8EEEEEmEEvPT0_.numbered_sgpr, 10
	.set _ZN7rocprim17ROCPRIM_304000_NS6detail31onesweep_scan_histograms_kernelINS1_34wrapped_radix_sort_onesweep_configINS0_14default_configEhN2at4cuda3cub6detail10OpaqueTypeILi8EEEEEmEEvPT0_.num_named_barrier, 0
	.set _ZN7rocprim17ROCPRIM_304000_NS6detail31onesweep_scan_histograms_kernelINS1_34wrapped_radix_sort_onesweep_configINS0_14default_configEhN2at4cuda3cub6detail10OpaqueTypeILi8EEEEEmEEvPT0_.private_seg_size, 0
	.set _ZN7rocprim17ROCPRIM_304000_NS6detail31onesweep_scan_histograms_kernelINS1_34wrapped_radix_sort_onesweep_configINS0_14default_configEhN2at4cuda3cub6detail10OpaqueTypeILi8EEEEEmEEvPT0_.uses_vcc, 1
	.set _ZN7rocprim17ROCPRIM_304000_NS6detail31onesweep_scan_histograms_kernelINS1_34wrapped_radix_sort_onesweep_configINS0_14default_configEhN2at4cuda3cub6detail10OpaqueTypeILi8EEEEEmEEvPT0_.uses_flat_scratch, 0
	.set _ZN7rocprim17ROCPRIM_304000_NS6detail31onesweep_scan_histograms_kernelINS1_34wrapped_radix_sort_onesweep_configINS0_14default_configEhN2at4cuda3cub6detail10OpaqueTypeILi8EEEEEmEEvPT0_.has_dyn_sized_stack, 0
	.set _ZN7rocprim17ROCPRIM_304000_NS6detail31onesweep_scan_histograms_kernelINS1_34wrapped_radix_sort_onesweep_configINS0_14default_configEhN2at4cuda3cub6detail10OpaqueTypeILi8EEEEEmEEvPT0_.has_recursion, 0
	.set _ZN7rocprim17ROCPRIM_304000_NS6detail31onesweep_scan_histograms_kernelINS1_34wrapped_radix_sort_onesweep_configINS0_14default_configEhN2at4cuda3cub6detail10OpaqueTypeILi8EEEEEmEEvPT0_.has_indirect_call, 0
	.section	.AMDGPU.csdata,"",@progbits
; Kernel info:
; codeLenInByte = 920
; TotalNumSgprs: 16
; NumVgprs: 16
; NumAgprs: 0
; TotalNumVgprs: 16
; ScratchSize: 0
; MemoryBound: 0
; FloatMode: 240
; IeeeMode: 1
; LDSByteSize: 64 bytes/workgroup (compile time only)
; SGPRBlocks: 1
; VGPRBlocks: 1
; NumSGPRsForWavesPerEU: 16
; NumVGPRsForWavesPerEU: 16
; AccumOffset: 16
; Occupancy: 8
; WaveLimiterHint : 0
; COMPUTE_PGM_RSRC2:SCRATCH_EN: 0
; COMPUTE_PGM_RSRC2:USER_SGPR: 2
; COMPUTE_PGM_RSRC2:TRAP_HANDLER: 0
; COMPUTE_PGM_RSRC2:TGID_X_EN: 1
; COMPUTE_PGM_RSRC2:TGID_Y_EN: 0
; COMPUTE_PGM_RSRC2:TGID_Z_EN: 0
; COMPUTE_PGM_RSRC2:TIDIG_COMP_CNT: 0
; COMPUTE_PGM_RSRC3_GFX90A:ACCUM_OFFSET: 3
; COMPUTE_PGM_RSRC3_GFX90A:TG_SPLIT: 0
	.section	.text._ZN7rocprim17ROCPRIM_304000_NS6detail16transform_kernelINS1_24wrapped_transform_configINS0_14default_configEhEEhPKhPhNS0_8identityIhEEEEvT1_mT2_T3_,"axG",@progbits,_ZN7rocprim17ROCPRIM_304000_NS6detail16transform_kernelINS1_24wrapped_transform_configINS0_14default_configEhEEhPKhPhNS0_8identityIhEEEEvT1_mT2_T3_,comdat
	.protected	_ZN7rocprim17ROCPRIM_304000_NS6detail16transform_kernelINS1_24wrapped_transform_configINS0_14default_configEhEEhPKhPhNS0_8identityIhEEEEvT1_mT2_T3_ ; -- Begin function _ZN7rocprim17ROCPRIM_304000_NS6detail16transform_kernelINS1_24wrapped_transform_configINS0_14default_configEhEEhPKhPhNS0_8identityIhEEEEvT1_mT2_T3_
	.globl	_ZN7rocprim17ROCPRIM_304000_NS6detail16transform_kernelINS1_24wrapped_transform_configINS0_14default_configEhEEhPKhPhNS0_8identityIhEEEEvT1_mT2_T3_
	.p2align	8
	.type	_ZN7rocprim17ROCPRIM_304000_NS6detail16transform_kernelINS1_24wrapped_transform_configINS0_14default_configEhEEhPKhPhNS0_8identityIhEEEEvT1_mT2_T3_,@function
_ZN7rocprim17ROCPRIM_304000_NS6detail16transform_kernelINS1_24wrapped_transform_configINS0_14default_configEhEEhPKhPhNS0_8identityIhEEEEvT1_mT2_T3_: ; @_ZN7rocprim17ROCPRIM_304000_NS6detail16transform_kernelINS1_24wrapped_transform_configINS0_14default_configEhEEhPKhPhNS0_8identityIhEEEEvT1_mT2_T3_
; %bb.0:
	s_load_dword s3, s[0:1], 0x20
	s_load_dwordx4 s[4:7], s[0:1], 0x0
	s_load_dwordx2 s[14:15], s[0:1], 0x10
	s_lshl_b32 s20, s2, 10
	v_mov_b32_e32 v1, 0
	s_waitcnt lgkmcnt(0)
	s_add_i32 s3, s3, -1
	s_add_u32 s0, s4, s20
	s_addc_u32 s1, s5, 0
	s_cmp_lg_u32 s2, s3
	v_lshl_add_u64 v[2:3], s[0:1], 0, v[0:1]
	s_cbranch_scc0 .LBB12_2
; %bb.1:
	global_load_ubyte v5, v[2:3], off
	global_load_ubyte v8, v[2:3], off offset:128
	global_load_ubyte v9, v[2:3], off offset:256
	;; [unrolled: 1-line block ×7, first 2 shown]
	s_add_u32 s2, s14, s20
	s_addc_u32 s3, s15, 0
	v_lshl_add_u64 v[6:7], s[2:3], 0, v[0:1]
	s_mov_b64 s[16:17], -1
	s_waitcnt vmcnt(7)
	global_store_byte v[6:7], v5, off
	s_waitcnt vmcnt(7)
	global_store_byte v[6:7], v8, off offset:128
	s_waitcnt vmcnt(7)
	global_store_byte v[6:7], v9, off offset:256
	;; [unrolled: 2-line block ×6, first 2 shown]
	s_cbranch_execz .LBB12_3
	s_branch .LBB12_34
.LBB12_2:
	s_mov_b64 s[16:17], 0
                                        ; implicit-def: $vgpr4
.LBB12_3:
	s_sub_i32 s18, s6, s20
	v_cmp_gt_u32_e32 vcc, s18, v0
	v_mov_b32_e32 v12, 0
	v_mov_b32_e32 v13, 0
	;; [unrolled: 1-line block ×7, first 2 shown]
	s_and_saveexec_b64 s[0:1], vcc
	s_cbranch_execz .LBB12_5
; %bb.4:
	global_load_ubyte v13, v[2:3], off
	v_mov_b32_e32 v14, 0
	v_mov_b32_e32 v8, 0
	;; [unrolled: 1-line block ×5, first 2 shown]
.LBB12_5:
	s_or_b64 exec, exec, s[0:1]
	s_waitcnt vmcnt(7)
	v_or_b32_e32 v4, 0x80, v0
	v_cmp_gt_u32_e64 s[0:1], s18, v4
	v_mov_b32_e32 v15, v12
	s_and_saveexec_b64 s[2:3], s[0:1]
	s_cbranch_execz .LBB12_7
; %bb.6:
	global_load_ubyte v15, v[2:3], off offset:128
.LBB12_7:
	s_or_b64 exec, exec, s[2:3]
	v_or_b32_e32 v4, 0x100, v0
	v_cmp_gt_u32_e64 s[2:3], s18, v4
	s_and_saveexec_b64 s[4:5], s[2:3]
	s_cbranch_execz .LBB12_9
; %bb.8:
	global_load_ubyte v12, v[2:3], off offset:256
.LBB12_9:
	s_or_b64 exec, exec, s[4:5]
	v_or_b32_e32 v4, 0x180, v0
	v_cmp_gt_u32_e64 s[4:5], s18, v4
	;; [unrolled: 8-line block ×6, first 2 shown]
	s_and_saveexec_b64 s[18:19], s[12:13]
	s_cbranch_execz .LBB12_19
; %bb.18:
	global_load_ubyte v11, v[2:3], off offset:896
.LBB12_19:
	s_or_b64 exec, exec, s[18:19]
	s_mov_b32 s18, 0xffff
	s_waitcnt vmcnt(0)
	v_and_b32_sdwa v2, s18, v13 dst_sel:DWORD dst_unused:UNUSED_PAD src0_sel:DWORD src1_sel:BYTE_0
	s_add_u32 s18, s14, s20
	s_addc_u32 s19, s15, 0
	v_mov_b32_e32 v5, 0
	v_cndmask_b32_e32 v4, 0, v2, vcc
	v_lshl_add_u64 v[2:3], s[18:19], 0, v[0:1]
	s_and_saveexec_b64 s[18:19], vcc
	s_cbranch_execz .LBB12_21
; %bb.20:
	global_store_byte v[2:3], v4, off
.LBB12_21:
	s_or_b64 exec, exec, s[18:19]
	s_mov_b32 s18, 0xc0c0004
	v_perm_b32 v6, v13, v15, s18
	v_perm_b32 v7, v12, v14, s18
	v_lshl_or_b32 v16, v7, 16, v6
	v_cndmask_b32_e64 v17, v4, v16, s[0:1]
	s_and_saveexec_b64 s[18:19], s[0:1]
	s_cbranch_execz .LBB12_23
; %bb.22:
	v_lshrrev_b32_e32 v6, 8, v17
	global_store_byte v[2:3], v6, off offset:128
.LBB12_23:
	s_or_b64 exec, exec, s[18:19]
	s_movk_i32 s0, 0xff00
	s_mov_b64 vcc, s[2:3]
	v_bitop3_b16 v18, v4, v17, s0 bitop3:0xf8
	v_lshrrev_b64 v[6:7], 24, v[4:5]
	v_mov_b32_e32 v5, 8
	v_lshrrev_b32_sdwa v5, v5, v17 dst_sel:BYTE_1 dst_unused:UNUSED_PAD src0_sel:DWORD src1_sel:DWORD
	v_cndmask_b32_sdwa v7, v18, v16, vcc dst_sel:DWORD dst_unused:UNUSED_PAD src0_sel:WORD_0 src1_sel:DWORD
	s_and_saveexec_b64 s[0:1], s[2:3]
	s_cbranch_execz .LBB12_25
; %bb.24:
	global_store_byte_d16_hi v[2:3], v7, off offset:256
.LBB12_25:
	s_or_b64 exec, exec, s[0:1]
	s_mov_b32 s0, 0xc0c0006
	v_or_b32_e32 v4, v4, v5
	v_perm_b32 v6, v7, v6, s0
	v_and_b32_e32 v4, 0xffff, v4
	s_mov_b32 s0, 0xc0c0004
	v_lshl_or_b32 v4, v6, 16, v4
	v_perm_b32 v5, v13, v15, s0
	v_perm_b32 v6, v12, v14, s0
	v_lshl_or_b32 v5, v6, 16, v5
	v_cndmask_b32_e64 v4, v4, v5, s[4:5]
	v_perm_b32 v5, v8, v9, s0
	v_perm_b32 v6, v10, v11, s0
	v_lshl_or_b32 v5, v6, 16, v5
	s_and_saveexec_b64 s[0:1], s[4:5]
	s_cbranch_execz .LBB12_27
; %bb.26:
	v_lshrrev_b32_e32 v4, 24, v4
	global_store_byte v[2:3], v4, off offset:384
.LBB12_27:
	s_or_b64 exec, exec, s[0:1]
	v_cndmask_b32_e64 v5, 0, v5, s[6:7]
	s_and_saveexec_b64 s[0:1], s[6:7]
	s_cbranch_execz .LBB12_29
; %bb.28:
	global_store_byte v[2:3], v5, off offset:512
.LBB12_29:
	s_or_b64 exec, exec, s[0:1]
	s_mov_b32 s0, 0xc0c0004
	v_perm_b32 v4, v8, v9, s0
	v_perm_b32 v6, v10, v11, s0
	v_lshl_or_b32 v4, v6, 16, v4
	s_mov_b64 vcc, s[8:9]
	v_cndmask_b32_sdwa v4, v5, v4, vcc dst_sel:DWORD dst_unused:UNUSED_PAD src0_sel:BYTE_0 src1_sel:DWORD
	v_lshrrev_b32_e32 v6, 8, v4
	s_and_saveexec_b64 s[0:1], s[8:9]
	s_cbranch_execnz .LBB12_37
; %bb.30:
	s_or_b64 exec, exec, s[0:1]
	s_and_saveexec_b64 s[0:1], s[10:11]
	s_cbranch_execnz .LBB12_38
.LBB12_31:
	s_or_b64 exec, exec, s[0:1]
                                        ; implicit-def: $vgpr4
	s_and_saveexec_b64 s[0:1], s[12:13]
.LBB12_32:
	s_mov_b32 s2, 0xc0c0004
	v_perm_b32 v2, v8, v9, s2
	v_perm_b32 v3, v10, v11, s2
	v_lshl_or_b32 v2, v3, 16, v2
	v_perm_b32 v3, v5, v6, s2
	v_cndmask_b32_e64 v2, v3, v2, s[12:13]
	v_lshrrev_b32_e32 v4, 24, v2
	s_or_b64 s[16:17], s[16:17], exec
.LBB12_33:
	s_or_b64 exec, exec, s[0:1]
.LBB12_34:
	s_and_saveexec_b64 s[0:1], s[16:17]
	s_cbranch_execnz .LBB12_36
; %bb.35:
	s_endpgm
.LBB12_36:
	s_add_u32 s0, s14, s20
	s_addc_u32 s1, s15, 0
	v_lshl_add_u64 v[0:1], s[0:1], 0, v[0:1]
	s_waitcnt vmcnt(7)
	global_store_byte v[0:1], v4, off offset:896
	s_endpgm
.LBB12_37:
	global_store_byte v[2:3], v6, off offset:640
	s_or_b64 exec, exec, s[0:1]
	s_and_saveexec_b64 s[0:1], s[10:11]
	s_cbranch_execz .LBB12_31
.LBB12_38:
	s_mov_b32 s2, 0xc0c0004
	v_perm_b32 v4, v8, v9, s2
	v_perm_b32 v7, v10, v11, s2
	v_lshl_or_b32 v4, v7, 16, v4
	v_perm_b32 v7, v5, v6, s2
	v_cndmask_b32_e64 v4, v7, v4, s[10:11]
	global_store_byte_d16_hi v[2:3], v4, off offset:768
	s_or_b64 exec, exec, s[0:1]
                                        ; implicit-def: $vgpr4
	s_and_saveexec_b64 s[0:1], s[12:13]
	s_cbranch_execnz .LBB12_32
	s_branch .LBB12_33
	.section	.rodata,"a",@progbits
	.p2align	6, 0x0
	.amdhsa_kernel _ZN7rocprim17ROCPRIM_304000_NS6detail16transform_kernelINS1_24wrapped_transform_configINS0_14default_configEhEEhPKhPhNS0_8identityIhEEEEvT1_mT2_T3_
		.amdhsa_group_segment_fixed_size 0
		.amdhsa_private_segment_fixed_size 0
		.amdhsa_kernarg_size 288
		.amdhsa_user_sgpr_count 2
		.amdhsa_user_sgpr_dispatch_ptr 0
		.amdhsa_user_sgpr_queue_ptr 0
		.amdhsa_user_sgpr_kernarg_segment_ptr 1
		.amdhsa_user_sgpr_dispatch_id 0
		.amdhsa_user_sgpr_kernarg_preload_length 0
		.amdhsa_user_sgpr_kernarg_preload_offset 0
		.amdhsa_user_sgpr_private_segment_size 0
		.amdhsa_uses_dynamic_stack 0
		.amdhsa_enable_private_segment 0
		.amdhsa_system_sgpr_workgroup_id_x 1
		.amdhsa_system_sgpr_workgroup_id_y 0
		.amdhsa_system_sgpr_workgroup_id_z 0
		.amdhsa_system_sgpr_workgroup_info 0
		.amdhsa_system_vgpr_workitem_id 0
		.amdhsa_next_free_vgpr 19
		.amdhsa_next_free_sgpr 21
		.amdhsa_accum_offset 20
		.amdhsa_reserve_vcc 1
		.amdhsa_float_round_mode_32 0
		.amdhsa_float_round_mode_16_64 0
		.amdhsa_float_denorm_mode_32 3
		.amdhsa_float_denorm_mode_16_64 3
		.amdhsa_dx10_clamp 1
		.amdhsa_ieee_mode 1
		.amdhsa_fp16_overflow 0
		.amdhsa_tg_split 0
		.amdhsa_exception_fp_ieee_invalid_op 0
		.amdhsa_exception_fp_denorm_src 0
		.amdhsa_exception_fp_ieee_div_zero 0
		.amdhsa_exception_fp_ieee_overflow 0
		.amdhsa_exception_fp_ieee_underflow 0
		.amdhsa_exception_fp_ieee_inexact 0
		.amdhsa_exception_int_div_zero 0
	.end_amdhsa_kernel
	.section	.text._ZN7rocprim17ROCPRIM_304000_NS6detail16transform_kernelINS1_24wrapped_transform_configINS0_14default_configEhEEhPKhPhNS0_8identityIhEEEEvT1_mT2_T3_,"axG",@progbits,_ZN7rocprim17ROCPRIM_304000_NS6detail16transform_kernelINS1_24wrapped_transform_configINS0_14default_configEhEEhPKhPhNS0_8identityIhEEEEvT1_mT2_T3_,comdat
.Lfunc_end12:
	.size	_ZN7rocprim17ROCPRIM_304000_NS6detail16transform_kernelINS1_24wrapped_transform_configINS0_14default_configEhEEhPKhPhNS0_8identityIhEEEEvT1_mT2_T3_, .Lfunc_end12-_ZN7rocprim17ROCPRIM_304000_NS6detail16transform_kernelINS1_24wrapped_transform_configINS0_14default_configEhEEhPKhPhNS0_8identityIhEEEEvT1_mT2_T3_
                                        ; -- End function
	.set _ZN7rocprim17ROCPRIM_304000_NS6detail16transform_kernelINS1_24wrapped_transform_configINS0_14default_configEhEEhPKhPhNS0_8identityIhEEEEvT1_mT2_T3_.num_vgpr, 19
	.set _ZN7rocprim17ROCPRIM_304000_NS6detail16transform_kernelINS1_24wrapped_transform_configINS0_14default_configEhEEhPKhPhNS0_8identityIhEEEEvT1_mT2_T3_.num_agpr, 0
	.set _ZN7rocprim17ROCPRIM_304000_NS6detail16transform_kernelINS1_24wrapped_transform_configINS0_14default_configEhEEhPKhPhNS0_8identityIhEEEEvT1_mT2_T3_.numbered_sgpr, 21
	.set _ZN7rocprim17ROCPRIM_304000_NS6detail16transform_kernelINS1_24wrapped_transform_configINS0_14default_configEhEEhPKhPhNS0_8identityIhEEEEvT1_mT2_T3_.num_named_barrier, 0
	.set _ZN7rocprim17ROCPRIM_304000_NS6detail16transform_kernelINS1_24wrapped_transform_configINS0_14default_configEhEEhPKhPhNS0_8identityIhEEEEvT1_mT2_T3_.private_seg_size, 0
	.set _ZN7rocprim17ROCPRIM_304000_NS6detail16transform_kernelINS1_24wrapped_transform_configINS0_14default_configEhEEhPKhPhNS0_8identityIhEEEEvT1_mT2_T3_.uses_vcc, 1
	.set _ZN7rocprim17ROCPRIM_304000_NS6detail16transform_kernelINS1_24wrapped_transform_configINS0_14default_configEhEEhPKhPhNS0_8identityIhEEEEvT1_mT2_T3_.uses_flat_scratch, 0
	.set _ZN7rocprim17ROCPRIM_304000_NS6detail16transform_kernelINS1_24wrapped_transform_configINS0_14default_configEhEEhPKhPhNS0_8identityIhEEEEvT1_mT2_T3_.has_dyn_sized_stack, 0
	.set _ZN7rocprim17ROCPRIM_304000_NS6detail16transform_kernelINS1_24wrapped_transform_configINS0_14default_configEhEEhPKhPhNS0_8identityIhEEEEvT1_mT2_T3_.has_recursion, 0
	.set _ZN7rocprim17ROCPRIM_304000_NS6detail16transform_kernelINS1_24wrapped_transform_configINS0_14default_configEhEEhPKhPhNS0_8identityIhEEEEvT1_mT2_T3_.has_indirect_call, 0
	.section	.AMDGPU.csdata,"",@progbits
; Kernel info:
; codeLenInByte = 1196
; TotalNumSgprs: 27
; NumVgprs: 19
; NumAgprs: 0
; TotalNumVgprs: 19
; ScratchSize: 0
; MemoryBound: 0
; FloatMode: 240
; IeeeMode: 1
; LDSByteSize: 0 bytes/workgroup (compile time only)
; SGPRBlocks: 3
; VGPRBlocks: 2
; NumSGPRsForWavesPerEU: 27
; NumVGPRsForWavesPerEU: 19
; AccumOffset: 20
; Occupancy: 8
; WaveLimiterHint : 1
; COMPUTE_PGM_RSRC2:SCRATCH_EN: 0
; COMPUTE_PGM_RSRC2:USER_SGPR: 2
; COMPUTE_PGM_RSRC2:TRAP_HANDLER: 0
; COMPUTE_PGM_RSRC2:TGID_X_EN: 1
; COMPUTE_PGM_RSRC2:TGID_Y_EN: 0
; COMPUTE_PGM_RSRC2:TGID_Z_EN: 0
; COMPUTE_PGM_RSRC2:TIDIG_COMP_CNT: 0
; COMPUTE_PGM_RSRC3_GFX90A:ACCUM_OFFSET: 4
; COMPUTE_PGM_RSRC3_GFX90A:TG_SPLIT: 0
	.section	.text._ZN7rocprim17ROCPRIM_304000_NS6detail16transform_kernelINS1_24wrapped_transform_configINS0_14default_configEN2at4cuda3cub6detail10OpaqueTypeILi8EEEEESA_PKSA_PSA_NS0_8identityISA_EEEEvT1_mT2_T3_,"axG",@progbits,_ZN7rocprim17ROCPRIM_304000_NS6detail16transform_kernelINS1_24wrapped_transform_configINS0_14default_configEN2at4cuda3cub6detail10OpaqueTypeILi8EEEEESA_PKSA_PSA_NS0_8identityISA_EEEEvT1_mT2_T3_,comdat
	.protected	_ZN7rocprim17ROCPRIM_304000_NS6detail16transform_kernelINS1_24wrapped_transform_configINS0_14default_configEN2at4cuda3cub6detail10OpaqueTypeILi8EEEEESA_PKSA_PSA_NS0_8identityISA_EEEEvT1_mT2_T3_ ; -- Begin function _ZN7rocprim17ROCPRIM_304000_NS6detail16transform_kernelINS1_24wrapped_transform_configINS0_14default_configEN2at4cuda3cub6detail10OpaqueTypeILi8EEEEESA_PKSA_PSA_NS0_8identityISA_EEEEvT1_mT2_T3_
	.globl	_ZN7rocprim17ROCPRIM_304000_NS6detail16transform_kernelINS1_24wrapped_transform_configINS0_14default_configEN2at4cuda3cub6detail10OpaqueTypeILi8EEEEESA_PKSA_PSA_NS0_8identityISA_EEEEvT1_mT2_T3_
	.p2align	8
	.type	_ZN7rocprim17ROCPRIM_304000_NS6detail16transform_kernelINS1_24wrapped_transform_configINS0_14default_configEN2at4cuda3cub6detail10OpaqueTypeILi8EEEEESA_PKSA_PSA_NS0_8identityISA_EEEEvT1_mT2_T3_,@function
_ZN7rocprim17ROCPRIM_304000_NS6detail16transform_kernelINS1_24wrapped_transform_configINS0_14default_configEN2at4cuda3cub6detail10OpaqueTypeILi8EEEEESA_PKSA_PSA_NS0_8identityISA_EEEEvT1_mT2_T3_: ; @_ZN7rocprim17ROCPRIM_304000_NS6detail16transform_kernelINS1_24wrapped_transform_configINS0_14default_configEN2at4cuda3cub6detail10OpaqueTypeILi8EEEEESA_PKSA_PSA_NS0_8identityISA_EEEEvT1_mT2_T3_
; %bb.0:
	s_load_dword s3, s[0:1], 0x20
	s_load_dwordx4 s[4:7], s[0:1], 0x0
	s_lshl_b32 s8, s2, 7
	s_waitcnt lgkmcnt(0)
	s_add_i32 s3, s3, -1
	s_cmp_lg_u32 s2, s3
	s_cselect_b64 s[2:3], -1, 0
	s_sub_i32 s6, s6, s8
	v_cmp_gt_u32_e32 vcc, s6, v0
	s_or_b64 s[2:3], vcc, s[2:3]
	s_and_saveexec_b64 s[6:7], s[2:3]
	s_cbranch_execz .LBB13_2
; %bb.1:
	s_load_dwordx2 s[0:1], s[0:1], 0x10
	s_mov_b32 s9, 0
	s_lshl_b64 s[2:3], s[8:9], 3
	v_lshlrev_b32_e32 v2, 3, v0
	s_waitcnt lgkmcnt(0)
	s_add_u32 s0, s0, s2
	s_addc_u32 s1, s1, s3
	s_add_u32 s2, s4, s2
	s_addc_u32 s3, s5, s3
	global_load_dwordx2 v[0:1], v2, s[2:3]
	s_waitcnt vmcnt(0)
	global_store_dwordx2 v2, v[0:1], s[0:1]
.LBB13_2:
	s_endpgm
	.section	.rodata,"a",@progbits
	.p2align	6, 0x0
	.amdhsa_kernel _ZN7rocprim17ROCPRIM_304000_NS6detail16transform_kernelINS1_24wrapped_transform_configINS0_14default_configEN2at4cuda3cub6detail10OpaqueTypeILi8EEEEESA_PKSA_PSA_NS0_8identityISA_EEEEvT1_mT2_T3_
		.amdhsa_group_segment_fixed_size 0
		.amdhsa_private_segment_fixed_size 0
		.amdhsa_kernarg_size 288
		.amdhsa_user_sgpr_count 2
		.amdhsa_user_sgpr_dispatch_ptr 0
		.amdhsa_user_sgpr_queue_ptr 0
		.amdhsa_user_sgpr_kernarg_segment_ptr 1
		.amdhsa_user_sgpr_dispatch_id 0
		.amdhsa_user_sgpr_kernarg_preload_length 0
		.amdhsa_user_sgpr_kernarg_preload_offset 0
		.amdhsa_user_sgpr_private_segment_size 0
		.amdhsa_uses_dynamic_stack 0
		.amdhsa_enable_private_segment 0
		.amdhsa_system_sgpr_workgroup_id_x 1
		.amdhsa_system_sgpr_workgroup_id_y 0
		.amdhsa_system_sgpr_workgroup_id_z 0
		.amdhsa_system_sgpr_workgroup_info 0
		.amdhsa_system_vgpr_workitem_id 0
		.amdhsa_next_free_vgpr 3
		.amdhsa_next_free_sgpr 10
		.amdhsa_accum_offset 4
		.amdhsa_reserve_vcc 1
		.amdhsa_float_round_mode_32 0
		.amdhsa_float_round_mode_16_64 0
		.amdhsa_float_denorm_mode_32 3
		.amdhsa_float_denorm_mode_16_64 3
		.amdhsa_dx10_clamp 1
		.amdhsa_ieee_mode 1
		.amdhsa_fp16_overflow 0
		.amdhsa_tg_split 0
		.amdhsa_exception_fp_ieee_invalid_op 0
		.amdhsa_exception_fp_denorm_src 0
		.amdhsa_exception_fp_ieee_div_zero 0
		.amdhsa_exception_fp_ieee_overflow 0
		.amdhsa_exception_fp_ieee_underflow 0
		.amdhsa_exception_fp_ieee_inexact 0
		.amdhsa_exception_int_div_zero 0
	.end_amdhsa_kernel
	.section	.text._ZN7rocprim17ROCPRIM_304000_NS6detail16transform_kernelINS1_24wrapped_transform_configINS0_14default_configEN2at4cuda3cub6detail10OpaqueTypeILi8EEEEESA_PKSA_PSA_NS0_8identityISA_EEEEvT1_mT2_T3_,"axG",@progbits,_ZN7rocprim17ROCPRIM_304000_NS6detail16transform_kernelINS1_24wrapped_transform_configINS0_14default_configEN2at4cuda3cub6detail10OpaqueTypeILi8EEEEESA_PKSA_PSA_NS0_8identityISA_EEEEvT1_mT2_T3_,comdat
.Lfunc_end13:
	.size	_ZN7rocprim17ROCPRIM_304000_NS6detail16transform_kernelINS1_24wrapped_transform_configINS0_14default_configEN2at4cuda3cub6detail10OpaqueTypeILi8EEEEESA_PKSA_PSA_NS0_8identityISA_EEEEvT1_mT2_T3_, .Lfunc_end13-_ZN7rocprim17ROCPRIM_304000_NS6detail16transform_kernelINS1_24wrapped_transform_configINS0_14default_configEN2at4cuda3cub6detail10OpaqueTypeILi8EEEEESA_PKSA_PSA_NS0_8identityISA_EEEEvT1_mT2_T3_
                                        ; -- End function
	.set _ZN7rocprim17ROCPRIM_304000_NS6detail16transform_kernelINS1_24wrapped_transform_configINS0_14default_configEN2at4cuda3cub6detail10OpaqueTypeILi8EEEEESA_PKSA_PSA_NS0_8identityISA_EEEEvT1_mT2_T3_.num_vgpr, 3
	.set _ZN7rocprim17ROCPRIM_304000_NS6detail16transform_kernelINS1_24wrapped_transform_configINS0_14default_configEN2at4cuda3cub6detail10OpaqueTypeILi8EEEEESA_PKSA_PSA_NS0_8identityISA_EEEEvT1_mT2_T3_.num_agpr, 0
	.set _ZN7rocprim17ROCPRIM_304000_NS6detail16transform_kernelINS1_24wrapped_transform_configINS0_14default_configEN2at4cuda3cub6detail10OpaqueTypeILi8EEEEESA_PKSA_PSA_NS0_8identityISA_EEEEvT1_mT2_T3_.numbered_sgpr, 10
	.set _ZN7rocprim17ROCPRIM_304000_NS6detail16transform_kernelINS1_24wrapped_transform_configINS0_14default_configEN2at4cuda3cub6detail10OpaqueTypeILi8EEEEESA_PKSA_PSA_NS0_8identityISA_EEEEvT1_mT2_T3_.num_named_barrier, 0
	.set _ZN7rocprim17ROCPRIM_304000_NS6detail16transform_kernelINS1_24wrapped_transform_configINS0_14default_configEN2at4cuda3cub6detail10OpaqueTypeILi8EEEEESA_PKSA_PSA_NS0_8identityISA_EEEEvT1_mT2_T3_.private_seg_size, 0
	.set _ZN7rocprim17ROCPRIM_304000_NS6detail16transform_kernelINS1_24wrapped_transform_configINS0_14default_configEN2at4cuda3cub6detail10OpaqueTypeILi8EEEEESA_PKSA_PSA_NS0_8identityISA_EEEEvT1_mT2_T3_.uses_vcc, 1
	.set _ZN7rocprim17ROCPRIM_304000_NS6detail16transform_kernelINS1_24wrapped_transform_configINS0_14default_configEN2at4cuda3cub6detail10OpaqueTypeILi8EEEEESA_PKSA_PSA_NS0_8identityISA_EEEEvT1_mT2_T3_.uses_flat_scratch, 0
	.set _ZN7rocprim17ROCPRIM_304000_NS6detail16transform_kernelINS1_24wrapped_transform_configINS0_14default_configEN2at4cuda3cub6detail10OpaqueTypeILi8EEEEESA_PKSA_PSA_NS0_8identityISA_EEEEvT1_mT2_T3_.has_dyn_sized_stack, 0
	.set _ZN7rocprim17ROCPRIM_304000_NS6detail16transform_kernelINS1_24wrapped_transform_configINS0_14default_configEN2at4cuda3cub6detail10OpaqueTypeILi8EEEEESA_PKSA_PSA_NS0_8identityISA_EEEEvT1_mT2_T3_.has_recursion, 0
	.set _ZN7rocprim17ROCPRIM_304000_NS6detail16transform_kernelINS1_24wrapped_transform_configINS0_14default_configEN2at4cuda3cub6detail10OpaqueTypeILi8EEEEESA_PKSA_PSA_NS0_8identityISA_EEEEvT1_mT2_T3_.has_indirect_call, 0
	.section	.AMDGPU.csdata,"",@progbits
; Kernel info:
; codeLenInByte = 120
; TotalNumSgprs: 16
; NumVgprs: 3
; NumAgprs: 0
; TotalNumVgprs: 3
; ScratchSize: 0
; MemoryBound: 0
; FloatMode: 240
; IeeeMode: 1
; LDSByteSize: 0 bytes/workgroup (compile time only)
; SGPRBlocks: 1
; VGPRBlocks: 0
; NumSGPRsForWavesPerEU: 16
; NumVGPRsForWavesPerEU: 3
; AccumOffset: 4
; Occupancy: 8
; WaveLimiterHint : 0
; COMPUTE_PGM_RSRC2:SCRATCH_EN: 0
; COMPUTE_PGM_RSRC2:USER_SGPR: 2
; COMPUTE_PGM_RSRC2:TRAP_HANDLER: 0
; COMPUTE_PGM_RSRC2:TGID_X_EN: 1
; COMPUTE_PGM_RSRC2:TGID_Y_EN: 0
; COMPUTE_PGM_RSRC2:TGID_Z_EN: 0
; COMPUTE_PGM_RSRC2:TIDIG_COMP_CNT: 0
; COMPUTE_PGM_RSRC3_GFX90A:ACCUM_OFFSET: 0
; COMPUTE_PGM_RSRC3_GFX90A:TG_SPLIT: 0
	.section	.text._ZN7rocprim17ROCPRIM_304000_NS6detail25onesweep_iteration_kernelINS1_34wrapped_radix_sort_onesweep_configINS0_14default_configEhN2at4cuda3cub6detail10OpaqueTypeILi8EEEEELb1EPKhPhPKSA_PSA_mNS0_19identity_decomposerEEEvT1_T2_T3_T4_jPT5_SO_PNS1_23onesweep_lookback_stateET6_jjj,"axG",@progbits,_ZN7rocprim17ROCPRIM_304000_NS6detail25onesweep_iteration_kernelINS1_34wrapped_radix_sort_onesweep_configINS0_14default_configEhN2at4cuda3cub6detail10OpaqueTypeILi8EEEEELb1EPKhPhPKSA_PSA_mNS0_19identity_decomposerEEEvT1_T2_T3_T4_jPT5_SO_PNS1_23onesweep_lookback_stateET6_jjj,comdat
	.protected	_ZN7rocprim17ROCPRIM_304000_NS6detail25onesweep_iteration_kernelINS1_34wrapped_radix_sort_onesweep_configINS0_14default_configEhN2at4cuda3cub6detail10OpaqueTypeILi8EEEEELb1EPKhPhPKSA_PSA_mNS0_19identity_decomposerEEEvT1_T2_T3_T4_jPT5_SO_PNS1_23onesweep_lookback_stateET6_jjj ; -- Begin function _ZN7rocprim17ROCPRIM_304000_NS6detail25onesweep_iteration_kernelINS1_34wrapped_radix_sort_onesweep_configINS0_14default_configEhN2at4cuda3cub6detail10OpaqueTypeILi8EEEEELb1EPKhPhPKSA_PSA_mNS0_19identity_decomposerEEEvT1_T2_T3_T4_jPT5_SO_PNS1_23onesweep_lookback_stateET6_jjj
	.globl	_ZN7rocprim17ROCPRIM_304000_NS6detail25onesweep_iteration_kernelINS1_34wrapped_radix_sort_onesweep_configINS0_14default_configEhN2at4cuda3cub6detail10OpaqueTypeILi8EEEEELb1EPKhPhPKSA_PSA_mNS0_19identity_decomposerEEEvT1_T2_T3_T4_jPT5_SO_PNS1_23onesweep_lookback_stateET6_jjj
	.p2align	8
	.type	_ZN7rocprim17ROCPRIM_304000_NS6detail25onesweep_iteration_kernelINS1_34wrapped_radix_sort_onesweep_configINS0_14default_configEhN2at4cuda3cub6detail10OpaqueTypeILi8EEEEELb1EPKhPhPKSA_PSA_mNS0_19identity_decomposerEEEvT1_T2_T3_T4_jPT5_SO_PNS1_23onesweep_lookback_stateET6_jjj,@function
_ZN7rocprim17ROCPRIM_304000_NS6detail25onesweep_iteration_kernelINS1_34wrapped_radix_sort_onesweep_configINS0_14default_configEhN2at4cuda3cub6detail10OpaqueTypeILi8EEEEELb1EPKhPhPKSA_PSA_mNS0_19identity_decomposerEEEvT1_T2_T3_T4_jPT5_SO_PNS1_23onesweep_lookback_stateET6_jjj: ; @_ZN7rocprim17ROCPRIM_304000_NS6detail25onesweep_iteration_kernelINS1_34wrapped_radix_sort_onesweep_configINS0_14default_configEhN2at4cuda3cub6detail10OpaqueTypeILi8EEEEELb1EPKhPhPKSA_PSA_mNS0_19identity_decomposerEEEvT1_T2_T3_T4_jPT5_SO_PNS1_23onesweep_lookback_stateET6_jjj
; %bb.0:
	s_load_dwordx4 s[44:47], s[0:1], 0x44
	s_load_dwordx8 s[36:43], s[0:1], 0x0
	s_load_dwordx4 s[28:31], s[0:1], 0x28
	s_load_dwordx2 s[48:49], s[0:1], 0x38
	s_mov_b64 s[4:5], -1
	s_waitcnt lgkmcnt(0)
	s_cmp_ge_u32 s2, s46
	s_mul_i32 s34, s2, 0xc00
	v_mbcnt_lo_u32_b32 v1, -1, 0
	s_cbranch_scc0 .LBB14_96
; %bb.1:
	s_load_dword s3, s[0:1], 0x20
	s_mul_i32 s33, s46, 0xfffff400
	v_and_b32_e32 v3, 0x1c0, v0
	v_mbcnt_hi_u32_b32 v6, -1, v1
	v_mul_u32_u24_e32 v4, 6, v3
	s_waitcnt lgkmcnt(0)
	s_add_i32 s33, s33, s3
	s_add_u32 s4, s36, s34
	s_addc_u32 s5, s37, 0
	v_mov_b32_e32 v7, 0
	v_lshl_add_u64 v[8:9], s[4:5], 0, v[6:7]
	v_mov_b32_e32 v5, v7
	v_or_b32_e32 v10, v6, v4
	s_mov_b32 s35, 0
	v_lshl_add_u64 v[8:9], v[8:9], 0, v[4:5]
	v_cmp_gt_u32_e32 vcc, s33, v10
	v_mov_b32_e32 v20, v7
	v_mov_b32_e32 v16, v7
	;; [unrolled: 1-line block ×3, first 2 shown]
	s_and_saveexec_b64 s[4:5], vcc
	s_cbranch_execz .LBB14_3
; %bb.2:
	global_load_ubyte v5, v[8:9], off
	v_mov_b32_e32 v20, v7
	v_mov_b32_e32 v16, v7
	;; [unrolled: 1-line block ×3, first 2 shown]
.LBB14_3:
	s_or_b64 exec, exec, s[4:5]
	v_add_u32_e32 v2, 64, v10
	v_cmp_gt_u32_e64 s[26:27], s33, v2
	v_mov_b32_e32 v15, v7
	s_and_saveexec_b64 s[4:5], s[26:27]
	s_cbranch_execz .LBB14_5
; %bb.4:
	global_load_ubyte v15, v[8:9], off offset:64
.LBB14_5:
	s_or_b64 exec, exec, s[4:5]
	v_add_u32_e32 v2, 0x80, v10
	v_cmp_gt_u32_e64 s[4:5], s33, v2
	s_and_saveexec_b64 s[6:7], s[4:5]
	s_cbranch_execz .LBB14_7
; %bb.6:
	global_load_ubyte v7, v[8:9], off offset:128
.LBB14_7:
	s_or_b64 exec, exec, s[6:7]
	v_add_u32_e32 v2, 0xc0, v10
	v_cmp_gt_u32_e64 s[6:7], s33, v2
	;; [unrolled: 8-line block ×3, first 2 shown]
	s_and_saveexec_b64 s[10:11], s[8:9]
	s_cbranch_execz .LBB14_11
; %bb.10:
	global_load_ubyte v16, v[8:9], off offset:256
.LBB14_11:
	s_or_b64 exec, exec, s[10:11]
	v_add_u32_e32 v10, 0x140, v10
	v_and_b32_e32 v2, 0x3ff, v0
	v_cmp_gt_u32_e64 s[10:11], s33, v10
	s_and_saveexec_b64 s[12:13], s[10:11]
	s_cbranch_execz .LBB14_13
; %bb.12:
	global_load_ubyte v13, v[8:9], off offset:320
.LBB14_13:
	s_or_b64 exec, exec, s[12:13]
	s_load_dword s12, s[0:1], 0x5c
	s_load_dword s3, s[0:1], 0x50
	s_add_u32 s13, s0, 0x50
	s_addc_u32 s14, s1, 0
	v_mov_b32_e32 v9, 0
	s_waitcnt lgkmcnt(0)
	s_lshr_b32 s15, s12, 16
	s_cmp_lt_u32 s2, s3
	s_cselect_b32 s12, 12, 18
	s_add_u32 s12, s13, s12
	s_addc_u32 s13, s14, 0
	global_load_ushort v14, v9, s[12:13]
	s_waitcnt vmcnt(1)
	v_xor_b32_e32 v5, -1, v5
	v_lshrrev_b32_sdwa v17, s44, v5 dst_sel:DWORD dst_unused:UNUSED_PAD src0_sel:DWORD src1_sel:BYTE_0
	s_lshl_b32 s12, -1, s45
	v_bfe_u32 v8, v0, 10, 10
	v_bfe_u32 v11, v0, 20, 10
	v_bitop3_b32 v17, v17, s12, v17 bitop3:0x30
	v_mad_u32_u24 v21, v11, s15, v8
	v_and_b32_e32 v8, 1, v17
	v_lshlrev_b32_e32 v11, 30, v17
	v_mov_b32_e32 v10, v9
	v_mov_b32_e32 v22, v9
	s_not_b32 s50, s12
	v_lshlrev_b32_e32 v19, 29, v17
	v_lshlrev_b32_e32 v23, 28, v17
	v_lshl_add_u64 v[32:33], v[8:9], 0, -1
	v_cmp_ne_u32_e64 s[12:13], 0, v8
	v_not_b32_e32 v8, v11
	v_mov_b32_e32 v18, v9
	v_mov_b32_e32 v24, v9
	v_lshlrev_b32_e32 v25, 27, v17
	v_cmp_gt_i64_e64 s[14:15], 0, v[10:11]
	v_not_b32_e32 v10, v19
	v_cmp_gt_i64_e64 s[18:19], 0, v[22:23]
	v_xor_b32_e32 v22, s13, v33
	v_ashrrev_i32_e32 v8, 31, v8
	v_cmp_gt_i64_e64 s[16:17], 0, v[18:19]
	v_not_b32_e32 v11, v23
	v_cmp_gt_i64_e64 s[20:21], 0, v[24:25]
	v_xor_b32_e32 v23, s12, v32
	v_ashrrev_i32_e32 v10, 31, v10
	v_and_b32_e32 v22, exec_hi, v22
	v_xor_b32_e32 v24, s15, v8
	v_mov_b32_e32 v26, v9
	v_mul_u32_u24_e32 v34, 36, v17
	v_lshlrev_b32_e32 v27, 26, v17
	v_lshlrev_b32_e32 v29, 25, v17
	;; [unrolled: 1-line block ×3, first 2 shown]
	v_not_b32_e32 v17, v25
	v_ashrrev_i32_e32 v11, 31, v11
	v_and_b32_e32 v23, exec_lo, v23
	v_xor_b32_e32 v8, s14, v8
	v_xor_b32_e32 v25, s17, v10
	v_and_b32_e32 v22, v22, v24
	v_cmp_gt_i64_e64 s[22:23], 0, v[26:27]
	v_not_b32_e32 v18, v27
	v_ashrrev_i32_e32 v17, 31, v17
	v_xor_b32_e32 v10, s16, v10
	v_xor_b32_e32 v26, s19, v11
	v_and_b32_e32 v8, v23, v8
	v_and_b32_e32 v22, v22, v25
	v_mov_b32_e32 v28, v9
	v_not_b32_e32 v19, v29
	v_ashrrev_i32_e32 v18, 31, v18
	v_xor_b32_e32 v27, s21, v17
	v_and_b32_e32 v8, v8, v10
	v_and_b32_e32 v10, v22, v26
	v_cmp_gt_i64_e64 s[24:25], 0, v[28:29]
	v_ashrrev_i32_e32 v19, 31, v19
	v_xor_b32_e32 v11, s18, v11
	v_xor_b32_e32 v28, s23, v18
	v_and_b32_e32 v10, v10, v27
	v_xor_b32_e32 v17, s20, v17
	v_xor_b32_e32 v29, s25, v19
	v_and_b32_e32 v8, v8, v11
	v_and_b32_e32 v10, v10, v28
	;; [unrolled: 1-line block ×4, first 2 shown]
	v_xor_b32_e32 v18, s22, v18
	v_mov_b32_e32 v30, v9
	v_xor_b32_e32 v19, s24, v19
	v_and_b32_e32 v8, v8, v18
	v_and_b32_e32 v8, v8, v19
	v_mul_u32_u24_e32 v12, 20, v2
	ds_write2_b32 v12, v9, v9 offset0:8 offset1:9
	ds_write2_b32 v12, v9, v9 offset0:10 offset1:11
	ds_write_b32 v12, v9 offset:48
	s_waitcnt lgkmcnt(0)
	s_barrier
	s_waitcnt vmcnt(0)
	; wave barrier
	v_mad_u64_u32 v[10:11], s[12:13], v21, v14, v[2:3]
	v_lshrrev_b32_e32 v10, 4, v10
	v_and_b32_e32 v22, 0xffffffc, v10
	v_not_b32_e32 v10, v31
	v_cmp_gt_i64_e64 s[12:13], 0, v[30:31]
	v_ashrrev_i32_e32 v10, 31, v10
	v_add_u32_e32 v18, v22, v34
	v_xor_b32_e32 v11, s13, v10
	v_xor_b32_e32 v10, s12, v10
	v_and_b32_e32 v10, v8, v10
	v_and_b32_e32 v11, v17, v11
	v_mbcnt_lo_u32_b32 v8, v10, 0
	v_mbcnt_hi_u32_b32 v14, v11, v8
	v_cmp_eq_u32_e64 s[12:13], 0, v14
	v_cmp_ne_u64_e64 s[14:15], 0, v[10:11]
	s_and_b64 s[14:15], s[14:15], s[12:13]
	s_and_saveexec_b64 s[12:13], s[14:15]
; %bb.14:
	v_bcnt_u32_b32 v8, v10, 0
	v_bcnt_u32_b32 v8, v11, v8
	ds_write_b32 v18, v8 offset:32
; %bb.15:
	s_or_b64 exec, exec, s[12:13]
	v_xor_b32_e32 v15, -1, v15
	v_lshrrev_b32_sdwa v8, s44, v15 dst_sel:DWORD dst_unused:UNUSED_PAD src0_sel:DWORD src1_sel:BYTE_0
	v_and_b32_e32 v19, s50, v8
	v_mad_u32_u24 v8, v19, 36, v22
	; wave barrier
	ds_read_b32 v17, v8 offset:32
	v_and_b32_e32 v8, 1, v19
	v_lshl_add_u64 v[10:11], v[8:9], 0, -1
	v_cmp_ne_u32_e64 s[12:13], 0, v8
	v_mul_u32_u24_e32 v21, 36, v19
	s_nop 0
	v_xor_b32_e32 v10, s12, v10
	v_xor_b32_e32 v8, s13, v11
	v_and_b32_e32 v23, exec_lo, v10
	v_lshlrev_b32_e32 v11, 30, v19
	v_mov_b32_e32 v10, v9
	v_cmp_gt_i64_e64 s[12:13], 0, v[10:11]
	v_not_b32_e32 v10, v11
	v_ashrrev_i32_e32 v10, 31, v10
	v_and_b32_e32 v8, exec_hi, v8
	v_xor_b32_e32 v11, s13, v10
	v_xor_b32_e32 v10, s12, v10
	v_and_b32_e32 v8, v8, v11
	v_and_b32_e32 v23, v23, v10
	v_lshlrev_b32_e32 v11, 29, v19
	v_mov_b32_e32 v10, v9
	v_cmp_gt_i64_e64 s[12:13], 0, v[10:11]
	v_not_b32_e32 v10, v11
	v_ashrrev_i32_e32 v10, 31, v10
	v_xor_b32_e32 v11, s13, v10
	v_xor_b32_e32 v10, s12, v10
	v_and_b32_e32 v8, v8, v11
	v_and_b32_e32 v23, v23, v10
	v_lshlrev_b32_e32 v11, 28, v19
	v_mov_b32_e32 v10, v9
	v_cmp_gt_i64_e64 s[12:13], 0, v[10:11]
	v_not_b32_e32 v10, v11
	v_ashrrev_i32_e32 v10, 31, v10
	;; [unrolled: 9-line block ×5, first 2 shown]
	v_xor_b32_e32 v11, s13, v10
	v_xor_b32_e32 v10, s12, v10
	v_and_b32_e32 v8, v8, v11
	v_lshlrev_b32_e32 v11, 24, v19
	v_and_b32_e32 v23, v23, v10
	v_mov_b32_e32 v10, v9
	v_not_b32_e32 v9, v11
	v_cmp_gt_i64_e64 s[12:13], 0, v[10:11]
	v_ashrrev_i32_e32 v9, 31, v9
	; wave barrier
	s_nop 0
	v_xor_b32_e32 v10, s13, v9
	v_xor_b32_e32 v11, s12, v9
	v_and_b32_e32 v9, v8, v10
	v_and_b32_e32 v8, v23, v11
	v_mbcnt_lo_u32_b32 v10, v8, 0
	v_mbcnt_hi_u32_b32 v19, v9, v10
	v_cmp_eq_u32_e64 s[12:13], 0, v19
	v_cmp_ne_u64_e64 s[14:15], 0, v[8:9]
	s_and_b64 s[14:15], s[14:15], s[12:13]
	v_add_u32_e32 v23, v22, v21
	s_and_saveexec_b64 s[12:13], s[14:15]
	s_cbranch_execz .LBB14_17
; %bb.16:
	v_bcnt_u32_b32 v8, v8, 0
	v_bcnt_u32_b32 v8, v9, v8
	s_waitcnt lgkmcnt(0)
	v_add_u32_e32 v8, v17, v8
	ds_write_b32 v23, v8 offset:32
.LBB14_17:
	s_or_b64 exec, exec, s[12:13]
	v_xor_b32_e32 v7, -1, v7
	v_lshrrev_b32_sdwa v8, s44, v7 dst_sel:DWORD dst_unused:UNUSED_PAD src0_sel:DWORD src1_sel:BYTE_0
	v_and_b32_e32 v24, s50, v8
	v_mad_u32_u24 v8, v24, 36, v22
	; wave barrier
	ds_read_b32 v21, v8 offset:32
	v_and_b32_e32 v8, 1, v24
	v_mov_b32_e32 v9, 0
	v_lshl_add_u64 v[10:11], v[8:9], 0, -1
	v_cmp_ne_u32_e64 s[12:13], 0, v8
	v_mul_u32_u24_e32 v25, 36, v24
	s_nop 0
	v_xor_b32_e32 v10, s12, v10
	v_xor_b32_e32 v8, s13, v11
	v_and_b32_e32 v26, exec_lo, v10
	v_lshlrev_b32_e32 v11, 30, v24
	v_mov_b32_e32 v10, v9
	v_cmp_gt_i64_e64 s[12:13], 0, v[10:11]
	v_not_b32_e32 v10, v11
	v_ashrrev_i32_e32 v10, 31, v10
	v_and_b32_e32 v8, exec_hi, v8
	v_xor_b32_e32 v11, s13, v10
	v_xor_b32_e32 v10, s12, v10
	v_and_b32_e32 v8, v8, v11
	v_and_b32_e32 v26, v26, v10
	v_lshlrev_b32_e32 v11, 29, v24
	v_mov_b32_e32 v10, v9
	v_cmp_gt_i64_e64 s[12:13], 0, v[10:11]
	v_not_b32_e32 v10, v11
	v_ashrrev_i32_e32 v10, 31, v10
	v_xor_b32_e32 v11, s13, v10
	v_xor_b32_e32 v10, s12, v10
	v_and_b32_e32 v8, v8, v11
	v_and_b32_e32 v26, v26, v10
	v_lshlrev_b32_e32 v11, 28, v24
	v_mov_b32_e32 v10, v9
	v_cmp_gt_i64_e64 s[12:13], 0, v[10:11]
	v_not_b32_e32 v10, v11
	v_ashrrev_i32_e32 v10, 31, v10
	;; [unrolled: 9-line block ×6, first 2 shown]
	v_xor_b32_e32 v11, s13, v10
	v_xor_b32_e32 v10, s12, v10
	v_and_b32_e32 v10, v26, v10
	v_and_b32_e32 v11, v8, v11
	v_mbcnt_lo_u32_b32 v8, v10, 0
	v_mbcnt_hi_u32_b32 v24, v11, v8
	v_cmp_eq_u32_e64 s[12:13], 0, v24
	v_cmp_ne_u64_e64 s[14:15], 0, v[10:11]
	s_and_b64 s[14:15], s[14:15], s[12:13]
	v_add_u32_e32 v26, v22, v25
	; wave barrier
	s_and_saveexec_b64 s[12:13], s[14:15]
	s_cbranch_execz .LBB14_19
; %bb.18:
	v_bcnt_u32_b32 v8, v10, 0
	v_bcnt_u32_b32 v8, v11, v8
	s_waitcnt lgkmcnt(0)
	v_add_u32_e32 v8, v21, v8
	ds_write_b32 v26, v8 offset:32
.LBB14_19:
	s_or_b64 exec, exec, s[12:13]
	v_xor_b32_e32 v20, -1, v20
	v_lshrrev_b32_sdwa v8, s44, v20 dst_sel:DWORD dst_unused:UNUSED_PAD src0_sel:DWORD src1_sel:BYTE_0
	v_and_b32_e32 v27, s50, v8
	v_mad_u32_u24 v8, v27, 36, v22
	; wave barrier
	ds_read_b32 v25, v8 offset:32
	v_and_b32_e32 v8, 1, v27
	v_lshl_add_u64 v[10:11], v[8:9], 0, -1
	v_cmp_ne_u32_e64 s[12:13], 0, v8
	v_mul_u32_u24_e32 v28, 36, v27
	s_nop 0
	v_xor_b32_e32 v10, s12, v10
	v_xor_b32_e32 v8, s13, v11
	v_and_b32_e32 v29, exec_lo, v10
	v_lshlrev_b32_e32 v11, 30, v27
	v_mov_b32_e32 v10, v9
	v_cmp_gt_i64_e64 s[12:13], 0, v[10:11]
	v_not_b32_e32 v10, v11
	v_ashrrev_i32_e32 v10, 31, v10
	v_and_b32_e32 v8, exec_hi, v8
	v_xor_b32_e32 v11, s13, v10
	v_xor_b32_e32 v10, s12, v10
	v_and_b32_e32 v8, v8, v11
	v_and_b32_e32 v29, v29, v10
	v_lshlrev_b32_e32 v11, 29, v27
	v_mov_b32_e32 v10, v9
	v_cmp_gt_i64_e64 s[12:13], 0, v[10:11]
	v_not_b32_e32 v10, v11
	v_ashrrev_i32_e32 v10, 31, v10
	v_xor_b32_e32 v11, s13, v10
	v_xor_b32_e32 v10, s12, v10
	v_and_b32_e32 v8, v8, v11
	v_and_b32_e32 v29, v29, v10
	v_lshlrev_b32_e32 v11, 28, v27
	v_mov_b32_e32 v10, v9
	v_cmp_gt_i64_e64 s[12:13], 0, v[10:11]
	v_not_b32_e32 v10, v11
	v_ashrrev_i32_e32 v10, 31, v10
	;; [unrolled: 9-line block ×5, first 2 shown]
	v_xor_b32_e32 v11, s13, v10
	v_xor_b32_e32 v10, s12, v10
	v_and_b32_e32 v8, v8, v11
	v_lshlrev_b32_e32 v11, 24, v27
	v_and_b32_e32 v29, v29, v10
	v_mov_b32_e32 v10, v9
	v_not_b32_e32 v9, v11
	v_cmp_gt_i64_e64 s[12:13], 0, v[10:11]
	v_ashrrev_i32_e32 v9, 31, v9
	v_add_u32_e32 v27, v22, v28
	v_xor_b32_e32 v10, s13, v9
	v_xor_b32_e32 v11, s12, v9
	v_and_b32_e32 v9, v8, v10
	v_and_b32_e32 v8, v29, v11
	v_mbcnt_lo_u32_b32 v10, v8, 0
	v_mbcnt_hi_u32_b32 v29, v9, v10
	v_cmp_eq_u32_e64 s[12:13], 0, v29
	v_cmp_ne_u64_e64 s[14:15], 0, v[8:9]
	s_and_b64 s[14:15], s[14:15], s[12:13]
	; wave barrier
	s_and_saveexec_b64 s[12:13], s[14:15]
	s_cbranch_execz .LBB14_21
; %bb.20:
	v_bcnt_u32_b32 v8, v8, 0
	v_bcnt_u32_b32 v8, v9, v8
	s_waitcnt lgkmcnt(0)
	v_add_u32_e32 v8, v25, v8
	ds_write_b32 v27, v8 offset:32
.LBB14_21:
	s_or_b64 exec, exec, s[12:13]
	v_xor_b32_e32 v16, -1, v16
	v_lshrrev_b32_sdwa v8, s44, v16 dst_sel:DWORD dst_unused:UNUSED_PAD src0_sel:DWORD src1_sel:BYTE_0
	v_and_b32_e32 v28, s50, v8
	v_mad_u32_u24 v8, v28, 36, v22
	; wave barrier
	ds_read_b32 v30, v8 offset:32
	v_and_b32_e32 v8, 1, v28
	v_mov_b32_e32 v9, 0
	v_lshl_add_u64 v[10:11], v[8:9], 0, -1
	v_cmp_ne_u32_e64 s[12:13], 0, v8
	v_mul_u32_u24_e32 v32, 36, v28
	s_nop 0
	v_xor_b32_e32 v10, s12, v10
	v_xor_b32_e32 v8, s13, v11
	v_and_b32_e32 v31, exec_lo, v10
	v_lshlrev_b32_e32 v11, 30, v28
	v_mov_b32_e32 v10, v9
	v_cmp_gt_i64_e64 s[12:13], 0, v[10:11]
	v_not_b32_e32 v10, v11
	v_ashrrev_i32_e32 v10, 31, v10
	v_and_b32_e32 v8, exec_hi, v8
	v_xor_b32_e32 v11, s13, v10
	v_xor_b32_e32 v10, s12, v10
	v_and_b32_e32 v8, v8, v11
	v_and_b32_e32 v31, v31, v10
	v_lshlrev_b32_e32 v11, 29, v28
	v_mov_b32_e32 v10, v9
	v_cmp_gt_i64_e64 s[12:13], 0, v[10:11]
	v_not_b32_e32 v10, v11
	v_ashrrev_i32_e32 v10, 31, v10
	v_xor_b32_e32 v11, s13, v10
	v_xor_b32_e32 v10, s12, v10
	v_and_b32_e32 v8, v8, v11
	v_and_b32_e32 v31, v31, v10
	v_lshlrev_b32_e32 v11, 28, v28
	v_mov_b32_e32 v10, v9
	v_cmp_gt_i64_e64 s[12:13], 0, v[10:11]
	v_not_b32_e32 v10, v11
	v_ashrrev_i32_e32 v10, 31, v10
	;; [unrolled: 9-line block ×6, first 2 shown]
	v_xor_b32_e32 v11, s13, v10
	v_xor_b32_e32 v10, s12, v10
	v_and_b32_e32 v10, v31, v10
	v_and_b32_e32 v11, v8, v11
	v_mbcnt_lo_u32_b32 v8, v10, 0
	v_mbcnt_hi_u32_b32 v31, v11, v8
	v_cmp_eq_u32_e64 s[12:13], 0, v31
	v_cmp_ne_u64_e64 s[14:15], 0, v[10:11]
	s_and_b64 s[14:15], s[14:15], s[12:13]
	v_add_u32_e32 v28, v22, v32
	; wave barrier
	s_and_saveexec_b64 s[12:13], s[14:15]
	s_cbranch_execz .LBB14_23
; %bb.22:
	v_bcnt_u32_b32 v8, v10, 0
	v_bcnt_u32_b32 v8, v11, v8
	s_waitcnt lgkmcnt(0)
	v_add_u32_e32 v8, v30, v8
	ds_write_b32 v28, v8 offset:32
.LBB14_23:
	s_or_b64 exec, exec, s[12:13]
	v_xor_b32_e32 v13, -1, v13
	v_lshrrev_b32_sdwa v8, s44, v13 dst_sel:DWORD dst_unused:UNUSED_PAD src0_sel:DWORD src1_sel:BYTE_0
	v_and_b32_e32 v33, s50, v8
	v_mad_u32_u24 v8, v33, 36, v22
	; wave barrier
	ds_read_b32 v32, v8 offset:32
	v_and_b32_e32 v8, 1, v33
	v_lshl_add_u64 v[10:11], v[8:9], 0, -1
	v_cmp_ne_u32_e64 s[12:13], 0, v8
	v_mul_u32_u24_e32 v34, 36, v33
	v_add_u32_e32 v22, v22, v34
	v_xor_b32_e32 v10, s12, v10
	v_xor_b32_e32 v8, s13, v11
	v_and_b32_e32 v35, exec_lo, v10
	v_lshlrev_b32_e32 v11, 30, v33
	v_mov_b32_e32 v10, v9
	v_cmp_gt_i64_e64 s[12:13], 0, v[10:11]
	v_not_b32_e32 v10, v11
	v_ashrrev_i32_e32 v10, 31, v10
	v_and_b32_e32 v8, exec_hi, v8
	v_xor_b32_e32 v11, s13, v10
	v_xor_b32_e32 v10, s12, v10
	v_and_b32_e32 v8, v8, v11
	v_and_b32_e32 v35, v35, v10
	v_lshlrev_b32_e32 v11, 29, v33
	v_mov_b32_e32 v10, v9
	v_cmp_gt_i64_e64 s[12:13], 0, v[10:11]
	v_not_b32_e32 v10, v11
	v_ashrrev_i32_e32 v10, 31, v10
	v_xor_b32_e32 v11, s13, v10
	v_xor_b32_e32 v10, s12, v10
	v_and_b32_e32 v8, v8, v11
	v_and_b32_e32 v35, v35, v10
	v_lshlrev_b32_e32 v11, 28, v33
	v_mov_b32_e32 v10, v9
	v_cmp_gt_i64_e64 s[12:13], 0, v[10:11]
	v_not_b32_e32 v10, v11
	v_ashrrev_i32_e32 v10, 31, v10
	;; [unrolled: 9-line block ×5, first 2 shown]
	v_xor_b32_e32 v11, s13, v10
	v_xor_b32_e32 v10, s12, v10
	v_and_b32_e32 v8, v8, v11
	v_lshlrev_b32_e32 v11, 24, v33
	v_and_b32_e32 v35, v35, v10
	v_mov_b32_e32 v10, v9
	v_not_b32_e32 v9, v11
	v_cmp_gt_i64_e64 s[12:13], 0, v[10:11]
	v_ashrrev_i32_e32 v9, 31, v9
	s_nop 0
	v_xor_b32_e32 v10, s13, v9
	v_xor_b32_e32 v11, s12, v9
	v_and_b32_e32 v9, v8, v10
	v_and_b32_e32 v8, v35, v11
	v_mbcnt_lo_u32_b32 v10, v8, 0
	v_mbcnt_hi_u32_b32 v33, v9, v10
	v_cmp_eq_u32_e64 s[12:13], 0, v33
	v_cmp_ne_u64_e64 s[14:15], 0, v[8:9]
	s_and_b64 s[14:15], s[14:15], s[12:13]
	; wave barrier
	s_and_saveexec_b64 s[12:13], s[14:15]
	s_cbranch_execz .LBB14_25
; %bb.24:
	v_bcnt_u32_b32 v8, v8, 0
	v_bcnt_u32_b32 v8, v9, v8
	s_waitcnt lgkmcnt(0)
	v_add_u32_e32 v8, v32, v8
	ds_write_b32 v22, v8 offset:32
.LBB14_25:
	s_or_b64 exec, exec, s[12:13]
	; wave barrier
	s_waitcnt lgkmcnt(0)
	s_barrier
	ds_read2_b32 v[10:11], v12 offset0:8 offset1:9
	ds_read2_b32 v[8:9], v12 offset0:10 offset1:11
	ds_read_b32 v34, v12 offset:48
	v_min_u32_e32 v3, 0x1c0, v3
	v_or_b32_e32 v3, 63, v3
	s_waitcnt lgkmcnt(1)
	v_add3_u32 v35, v11, v10, v8
	s_waitcnt lgkmcnt(0)
	v_add3_u32 v34, v35, v9, v34
	v_and_b32_e32 v35, 15, v6
	v_cmp_ne_u32_e64 s[12:13], 0, v35
	v_mov_b32_dpp v36, v34 row_shr:1 row_mask:0xf bank_mask:0xf
	s_nop 0
	v_cndmask_b32_e64 v36, 0, v36, s[12:13]
	v_add_u32_e32 v34, v36, v34
	v_cmp_lt_u32_e64 s[12:13], 1, v35
	s_nop 0
	v_mov_b32_dpp v36, v34 row_shr:2 row_mask:0xf bank_mask:0xf
	v_cndmask_b32_e64 v36, 0, v36, s[12:13]
	v_add_u32_e32 v34, v34, v36
	v_cmp_lt_u32_e64 s[12:13], 3, v35
	s_nop 0
	v_mov_b32_dpp v36, v34 row_shr:4 row_mask:0xf bank_mask:0xf
	;; [unrolled: 5-line block ×3, first 2 shown]
	v_cndmask_b32_e64 v35, 0, v36, s[12:13]
	v_add_u32_e32 v34, v34, v35
	v_bfe_i32 v36, v6, 4, 1
	v_cmp_lt_u32_e64 s[12:13], 31, v6
	v_mov_b32_dpp v35, v34 row_bcast:15 row_mask:0xf bank_mask:0xf
	v_and_b32_e32 v35, v36, v35
	v_add_u32_e32 v34, v34, v35
	s_nop 1
	v_mov_b32_dpp v35, v34 row_bcast:31 row_mask:0xf bank_mask:0xf
	v_cndmask_b32_e64 v35, 0, v35, s[12:13]
	v_add_u32_e32 v34, v34, v35
	v_lshrrev_b32_e32 v35, 6, v2
	v_cmp_eq_u32_e64 s[12:13], v2, v3
	s_and_saveexec_b64 s[14:15], s[12:13]
; %bb.26:
	v_lshlrev_b32_e32 v3, 2, v35
	ds_write_b32 v3, v34
; %bb.27:
	s_or_b64 exec, exec, s[14:15]
	v_cmp_gt_u32_e64 s[12:13], 8, v2
	s_waitcnt lgkmcnt(0)
	s_barrier
	s_and_saveexec_b64 s[14:15], s[12:13]
	s_cbranch_execz .LBB14_29
; %bb.28:
	v_lshlrev_b32_e32 v3, 2, v2
	ds_read_b32 v36, v3
	v_and_b32_e32 v37, 7, v6
	v_cmp_ne_u32_e64 s[12:13], 0, v37
	s_waitcnt lgkmcnt(0)
	v_mov_b32_dpp v38, v36 row_shr:1 row_mask:0xf bank_mask:0xf
	v_cndmask_b32_e64 v38, 0, v38, s[12:13]
	v_add_u32_e32 v36, v38, v36
	v_cmp_lt_u32_e64 s[12:13], 1, v37
	s_nop 0
	v_mov_b32_dpp v38, v36 row_shr:2 row_mask:0xf bank_mask:0xf
	v_cndmask_b32_e64 v38, 0, v38, s[12:13]
	v_add_u32_e32 v36, v36, v38
	v_cmp_lt_u32_e64 s[12:13], 3, v37
	s_nop 0
	v_mov_b32_dpp v38, v36 row_shr:4 row_mask:0xf bank_mask:0xf
	v_cndmask_b32_e64 v37, 0, v38, s[12:13]
	v_add_u32_e32 v36, v36, v37
	ds_write_b32 v3, v36
.LBB14_29:
	s_or_b64 exec, exec, s[14:15]
	v_cmp_lt_u32_e64 s[12:13], 63, v2
	v_mov_b32_e32 v3, 0
	s_waitcnt lgkmcnt(0)
	s_barrier
	s_and_saveexec_b64 s[14:15], s[12:13]
; %bb.30:
	v_lshl_add_u32 v3, v35, 2, -4
	ds_read_b32 v3, v3
; %bb.31:
	s_or_b64 exec, exec, s[14:15]
	v_add_u32_e32 v35, -1, v6
	v_and_b32_e32 v36, 64, v6
	v_cmp_lt_i32_e64 s[12:13], v35, v36
	s_waitcnt lgkmcnt(0)
	v_add_u32_e32 v34, v3, v34
	s_movk_i32 s16, 0x100
	v_cndmask_b32_e64 v35, v35, v6, s[12:13]
	v_lshlrev_b32_e32 v35, 2, v35
	ds_bpermute_b32 v34, v35, v34
	v_cmp_eq_u32_e64 s[12:13], 0, v6
	v_cmp_gt_u32_e64 s[14:15], s16, v2
	s_waitcnt lgkmcnt(0)
	v_cndmask_b32_e64 v3, v34, v3, s[12:13]
	v_cmp_ne_u32_e64 s[12:13], 0, v2
	s_nop 1
	v_cndmask_b32_e64 v3, 0, v3, s[12:13]
	v_add_u32_e32 v10, v3, v10
	v_add_u32_e32 v11, v10, v11
	;; [unrolled: 1-line block ×4, first 2 shown]
	ds_write2_b32 v12, v3, v10 offset0:8 offset1:9
	ds_write2_b32 v12, v11, v8 offset0:10 offset1:11
	ds_write_b32 v12, v9 offset:48
	s_waitcnt lgkmcnt(0)
	s_barrier
	ds_read_b32 v3, v18 offset:32
	ds_read_b32 v11, v23 offset:32
	;; [unrolled: 1-line block ×6, first 2 shown]
	s_movk_i32 s12, 0xff
	v_cmp_lt_u32_e64 s[12:13], s12, v2
	v_mov_b64_e32 v[8:9], 0
                                        ; implicit-def: $vgpr10
	s_and_saveexec_b64 s[18:19], s[14:15]
	s_cbranch_execz .LBB14_35
; %bb.32:
	v_mul_u32_u24_e32 v8, 36, v2
	ds_read_b32 v8, v8 offset:32
	v_add_u32_e32 v10, 1, v2
	v_cmp_ne_u32_e64 s[16:17], s16, v10
	v_mov_b32_e32 v9, 0xc00
	s_and_saveexec_b64 s[20:21], s[16:17]
; %bb.33:
	v_mul_u32_u24_e32 v9, 36, v10
	ds_read_b32 v9, v9 offset:32
; %bb.34:
	s_or_b64 exec, exec, s[20:21]
	s_waitcnt lgkmcnt(0)
	v_sub_u32_e32 v10, v9, v8
	v_mov_b32_e32 v9, 0
.LBB14_35:
	s_or_b64 exec, exec, s[18:19]
	s_waitcnt lgkmcnt(5)
	v_add_u32_e32 v28, v3, v14
	s_waitcnt lgkmcnt(4)
	v_add3_u32 v27, v19, v17, v11
	s_waitcnt lgkmcnt(3)
	v_add3_u32 v26, v24, v21, v12
	;; [unrolled: 2-line block ×5, first 2 shown]
	s_barrier
	ds_write_b8 v28, v5 offset:2048
	ds_write_b8 v27, v15 offset:2048
	;; [unrolled: 1-line block ×6, first 2 shown]
	v_mov_b32_e32 v13, 0
	v_mov_b32_e32 v3, v13
	v_lshlrev_b32_e32 v11, 3, v2
	s_waitcnt lgkmcnt(0)
	s_barrier
	s_and_saveexec_b64 s[16:17], s[14:15]
	s_cbranch_execz .LBB14_45
; %bb.36:
	v_lshl_add_u32 v12, s2, 8, v2
	v_lshl_add_u64 v[14:15], v[12:13], 2, s[48:49]
	v_or_b32_e32 v5, 2.0, v10
	global_store_dword v[14:15], v5, off sc1
	s_mov_b64 s[18:19], 0
	s_brev_b32 s24, -4
	s_mov_b32 s25, s2
	v_mov_b32_e32 v5, 0
                                        ; implicit-def: $sgpr14_sgpr15
	s_branch .LBB14_39
.LBB14_37:                              ;   in Loop: Header=BB14_39 Depth=1
	s_or_b64 exec, exec, s[22:23]
.LBB14_38:                              ;   in Loop: Header=BB14_39 Depth=1
	s_or_b64 exec, exec, s[20:21]
	v_and_b32_e32 v12, 0x3fffffff, v7
	v_add_u32_e32 v5, v12, v5
	v_cmp_gt_i32_e64 s[14:15], -2.0, v7
	s_and_b64 s[20:21], exec, s[14:15]
	s_or_b64 s[18:19], s[20:21], s[18:19]
	s_andn2_b64 exec, exec, s[18:19]
	s_cbranch_execz .LBB14_44
.LBB14_39:                              ; =>This Loop Header: Depth=1
                                        ;     Child Loop BB14_42 Depth 2
	s_or_b64 s[14:15], s[14:15], exec
	s_cmp_eq_u32 s25, 0
	s_cbranch_scc1 .LBB14_43
; %bb.40:                               ;   in Loop: Header=BB14_39 Depth=1
	s_add_i32 s25, s25, -1
	v_lshl_or_b32 v12, s25, 8, v2
	v_lshl_add_u64 v[16:17], v[12:13], 2, s[48:49]
	global_load_dword v7, v[16:17], off sc1
	s_waitcnt vmcnt(0)
	v_cmp_gt_u32_e64 s[14:15], 2.0, v7
	s_and_saveexec_b64 s[20:21], s[14:15]
	s_cbranch_execz .LBB14_38
; %bb.41:                               ;   in Loop: Header=BB14_39 Depth=1
	s_mov_b64 s[22:23], 0
.LBB14_42:                              ;   Parent Loop BB14_39 Depth=1
                                        ; =>  This Inner Loop Header: Depth=2
	global_load_dword v7, v[16:17], off sc1
	s_waitcnt vmcnt(0)
	v_cmp_lt_u32_e64 s[14:15], s24, v7
	s_or_b64 s[22:23], s[14:15], s[22:23]
	s_andn2_b64 exec, exec, s[22:23]
	s_cbranch_execnz .LBB14_42
	s_branch .LBB14_37
.LBB14_43:                              ;   in Loop: Header=BB14_39 Depth=1
                                        ; implicit-def: $sgpr25
	s_and_b64 s[20:21], exec, s[14:15]
	s_or_b64 s[18:19], s[20:21], s[18:19]
	s_andn2_b64 exec, exec, s[18:19]
	s_cbranch_execnz .LBB14_39
.LBB14_44:
	s_or_b64 exec, exec, s[18:19]
	v_add_u32_e32 v12, v5, v10
	v_or_b32_e32 v12, 0x80000000, v12
	v_lshlrev_b32_e32 v7, 3, v2
	global_store_dword v[14:15], v12, off sc1
	global_load_dwordx2 v[12:13], v7, s[28:29]
	v_sub_co_u32_e64 v14, s[14:15], v5, v8
	s_nop 1
	v_subb_co_u32_e64 v15, s[14:15], 0, v9, s[14:15]
	s_waitcnt vmcnt(0)
	v_lshl_add_u64 v[12:13], v[14:15], 0, v[12:13]
	ds_write_b64 v11, v[12:13]
.LBB14_45:
	s_or_b64 exec, exec, s[16:17]
	v_cmp_gt_u32_e64 s[14:15], s33, v2
	s_waitcnt lgkmcnt(0)
	s_barrier
	s_and_saveexec_b64 s[16:17], s[14:15]
	s_cbranch_execz .LBB14_47
; %bb.46:
	ds_read_u8 v5, v2 offset:2048
	s_waitcnt lgkmcnt(0)
	v_lshrrev_b32_sdwa v7, s44, v5 dst_sel:DWORD dst_unused:UNUSED_PAD src0_sel:DWORD src1_sel:BYTE_0
	v_and_b32_e32 v7, s50, v7
	v_lshlrev_b32_e32 v7, 3, v7
	ds_read_b64 v[12:13], v7
	v_xor_b32_e32 v5, -1, v5
	s_waitcnt lgkmcnt(0)
	v_lshl_add_u64 v[12:13], s[38:39], 0, v[12:13]
	v_lshl_add_u64 v[12:13], v[12:13], 0, v[2:3]
	global_store_byte v[12:13], v5, off
.LBB14_47:
	s_or_b64 exec, exec, s[16:17]
	v_add_u32_e32 v25, 0x200, v2
	v_cmp_gt_u32_e64 s[16:17], s33, v25
	s_and_saveexec_b64 s[18:19], s[16:17]
	s_cbranch_execz .LBB14_49
; %bb.48:
	ds_read_u8 v5, v2 offset:2560
	s_waitcnt lgkmcnt(0)
	v_lshrrev_b32_sdwa v7, s44, v5 dst_sel:DWORD dst_unused:UNUSED_PAD src0_sel:DWORD src1_sel:BYTE_0
	v_and_b32_e32 v7, s50, v7
	v_lshlrev_b32_e32 v7, 3, v7
	ds_read_b64 v[12:13], v7
	v_xor_b32_e32 v5, -1, v5
	s_waitcnt lgkmcnt(0)
	v_lshl_add_u64 v[12:13], s[38:39], 0, v[12:13]
	v_lshl_add_u64 v[12:13], v[12:13], 0, v[2:3]
	global_store_byte v[12:13], v5, off offset:512
.LBB14_49:
	s_or_b64 exec, exec, s[18:19]
	v_or_b32_e32 v29, 0x400, v2
	v_cmp_gt_u32_e64 s[18:19], s33, v29
	s_and_saveexec_b64 s[20:21], s[18:19]
	s_cbranch_execz .LBB14_51
; %bb.50:
	ds_read_u8 v5, v2 offset:3072
	s_waitcnt lgkmcnt(0)
	v_lshrrev_b32_sdwa v7, s44, v5 dst_sel:DWORD dst_unused:UNUSED_PAD src0_sel:DWORD src1_sel:BYTE_0
	v_and_b32_e32 v7, s50, v7
	v_lshlrev_b32_e32 v7, 3, v7
	ds_read_b64 v[12:13], v7
	v_xor_b32_e32 v5, -1, v5
	s_waitcnt lgkmcnt(0)
	v_lshl_add_u64 v[12:13], s[38:39], 0, v[12:13]
	v_lshl_add_u64 v[12:13], v[12:13], 0, v[2:3]
	global_store_byte v[12:13], v5, off offset:1024
.LBB14_51:
	s_or_b64 exec, exec, s[20:21]
	v_add_u32_e32 v30, 0x600, v2
	v_cmp_gt_u32_e64 s[20:21], s33, v30
	s_and_saveexec_b64 s[22:23], s[20:21]
	s_cbranch_execz .LBB14_53
; %bb.52:
	ds_read_u8 v5, v2 offset:3584
	s_waitcnt lgkmcnt(0)
	v_lshrrev_b32_sdwa v7, s44, v5 dst_sel:DWORD dst_unused:UNUSED_PAD src0_sel:DWORD src1_sel:BYTE_0
	v_and_b32_e32 v7, s50, v7
	v_lshlrev_b32_e32 v7, 3, v7
	ds_read_b64 v[12:13], v7
	v_xor_b32_e32 v5, -1, v5
	s_waitcnt lgkmcnt(0)
	v_lshl_add_u64 v[12:13], s[38:39], 0, v[12:13]
	v_lshl_add_u64 v[12:13], v[12:13], 0, v[2:3]
	global_store_byte v[12:13], v5, off offset:1536
.LBB14_53:
	s_or_b64 exec, exec, s[22:23]
	v_or_b32_e32 v31, 0x800, v2
	v_cmp_gt_u32_e64 s[22:23], s33, v31
	s_and_saveexec_b64 s[24:25], s[22:23]
	s_cbranch_execz .LBB14_55
; %bb.54:
	ds_read_u8 v5, v2 offset:4096
	s_waitcnt lgkmcnt(0)
	v_lshrrev_b32_sdwa v7, s44, v5 dst_sel:DWORD dst_unused:UNUSED_PAD src0_sel:DWORD src1_sel:BYTE_0
	v_and_b32_e32 v7, s50, v7
	v_lshlrev_b32_e32 v7, 3, v7
	ds_read_b64 v[12:13], v7
	v_xor_b32_e32 v5, -1, v5
	s_waitcnt lgkmcnt(0)
	v_lshl_add_u64 v[12:13], s[38:39], 0, v[12:13]
	v_lshl_add_u64 v[12:13], v[12:13], 0, v[2:3]
	global_store_byte v[12:13], v5, off offset:2048
.LBB14_55:
	s_or_b64 exec, exec, s[24:25]
	v_add_u32_e32 v32, 0xa00, v2
	v_cmp_gt_u32_e64 s[24:25], s33, v32
	s_and_saveexec_b64 s[46:47], s[24:25]
	s_cbranch_execz .LBB14_57
; %bb.56:
	ds_read_u8 v5, v2 offset:4608
	s_waitcnt lgkmcnt(0)
	v_lshrrev_b32_sdwa v7, s44, v5 dst_sel:DWORD dst_unused:UNUSED_PAD src0_sel:DWORD src1_sel:BYTE_0
	v_and_b32_e32 v7, s50, v7
	v_lshlrev_b32_e32 v7, 3, v7
	ds_read_b64 v[12:13], v7
	v_xor_b32_e32 v5, -1, v5
	s_waitcnt lgkmcnt(0)
	v_lshl_add_u64 v[12:13], s[38:39], 0, v[12:13]
	v_lshl_add_u64 v[12:13], v[12:13], 0, v[2:3]
	global_store_byte v[12:13], v5, off offset:2560
.LBB14_57:
	s_or_b64 exec, exec, s[46:47]
	s_lshl_b64 s[46:47], s[34:35], 3
	s_add_u32 s46, s40, s46
	s_addc_u32 s47, s41, s47
	v_lshlrev_b32_e32 v6, 3, v6
	v_mov_b32_e32 v7, 0
	v_lshl_add_u64 v[12:13], s[46:47], 0, v[6:7]
	v_lshlrev_b32_e32 v6, 3, v4
	v_lshl_add_u64 v[20:21], v[12:13], 0, v[6:7]
                                        ; implicit-def: $vgpr4_vgpr5
	s_and_saveexec_b64 s[46:47], vcc
	s_xor_b64 s[46:47], exec, s[46:47]
	s_cbranch_execz .LBB14_63
; %bb.58:
	global_load_dwordx2 v[4:5], v[20:21], off
	s_or_b64 exec, exec, s[46:47]
                                        ; implicit-def: $vgpr6_vgpr7
	s_and_saveexec_b64 s[46:47], s[26:27]
	s_cbranch_execnz .LBB14_64
.LBB14_59:
	s_or_b64 exec, exec, s[46:47]
                                        ; implicit-def: $vgpr12_vgpr13
	s_and_saveexec_b64 s[26:27], s[4:5]
	s_cbranch_execz .LBB14_65
.LBB14_60:
	global_load_dwordx2 v[12:13], v[20:21], off offset:1024
	s_or_b64 exec, exec, s[26:27]
                                        ; implicit-def: $vgpr14_vgpr15
	s_and_saveexec_b64 s[4:5], s[6:7]
	s_cbranch_execnz .LBB14_66
.LBB14_61:
	s_or_b64 exec, exec, s[4:5]
                                        ; implicit-def: $vgpr16_vgpr17
	s_and_saveexec_b64 s[4:5], s[8:9]
	s_cbranch_execz .LBB14_67
.LBB14_62:
	global_load_dwordx2 v[16:17], v[20:21], off offset:2048
	s_or_b64 exec, exec, s[4:5]
                                        ; implicit-def: $vgpr18_vgpr19
	s_and_saveexec_b64 s[4:5], s[10:11]
	s_cbranch_execnz .LBB14_68
	s_branch .LBB14_69
.LBB14_63:
	s_or_b64 exec, exec, s[46:47]
                                        ; implicit-def: $vgpr6_vgpr7
	s_and_saveexec_b64 s[46:47], s[26:27]
	s_cbranch_execz .LBB14_59
.LBB14_64:
	global_load_dwordx2 v[6:7], v[20:21], off offset:512
	s_or_b64 exec, exec, s[46:47]
                                        ; implicit-def: $vgpr12_vgpr13
	s_and_saveexec_b64 s[26:27], s[4:5]
	s_cbranch_execnz .LBB14_60
.LBB14_65:
	s_or_b64 exec, exec, s[26:27]
                                        ; implicit-def: $vgpr14_vgpr15
	s_and_saveexec_b64 s[4:5], s[6:7]
	s_cbranch_execz .LBB14_61
.LBB14_66:
	global_load_dwordx2 v[14:15], v[20:21], off offset:1536
	s_or_b64 exec, exec, s[4:5]
                                        ; implicit-def: $vgpr16_vgpr17
	s_and_saveexec_b64 s[4:5], s[8:9]
	s_cbranch_execnz .LBB14_62
.LBB14_67:
	s_or_b64 exec, exec, s[4:5]
                                        ; implicit-def: $vgpr18_vgpr19
	s_and_saveexec_b64 s[4:5], s[10:11]
	s_cbranch_execz .LBB14_69
.LBB14_68:
	global_load_dwordx2 v[18:19], v[20:21], off offset:2560
.LBB14_69:
	s_or_b64 exec, exec, s[4:5]
	v_mov_b32_e32 v34, 0
	v_mov_b32_e32 v3, 0
	s_and_saveexec_b64 s[4:5], s[14:15]
	s_cbranch_execz .LBB14_71
; %bb.70:
	ds_read_u8 v3, v2 offset:2048
	s_waitcnt lgkmcnt(0)
	v_lshrrev_b32_e32 v3, s44, v3
	v_and_b32_e32 v3, s50, v3
.LBB14_71:
	s_or_b64 exec, exec, s[4:5]
	s_and_saveexec_b64 s[4:5], s[16:17]
	s_cbranch_execz .LBB14_73
; %bb.72:
	ds_read_u8 v20, v2 offset:2560
	s_waitcnt lgkmcnt(0)
	v_lshrrev_b32_e32 v20, s44, v20
	v_and_b32_e32 v34, s50, v20
.LBB14_73:
	s_or_b64 exec, exec, s[4:5]
	v_mov_b32_e32 v21, 0
	v_mov_b32_e32 v35, 0
	s_and_saveexec_b64 s[4:5], s[18:19]
	s_cbranch_execz .LBB14_75
; %bb.74:
	ds_read_u8 v20, v2 offset:3072
	s_waitcnt lgkmcnt(0)
	v_lshrrev_b32_e32 v20, s44, v20
	v_and_b32_e32 v35, s50, v20
.LBB14_75:
	s_or_b64 exec, exec, s[4:5]
	s_and_saveexec_b64 s[4:5], s[20:21]
	s_cbranch_execz .LBB14_77
; %bb.76:
	ds_read_u8 v20, v2 offset:3584
	s_waitcnt lgkmcnt(0)
	v_lshrrev_b32_e32 v20, s44, v20
	v_and_b32_e32 v21, s50, v20
.LBB14_77:
	;; [unrolled: 20-line block ×3, first 2 shown]
	s_or_b64 exec, exec, s[4:5]
	v_lshlrev_b32_e32 v28, 3, v28
	s_barrier
	s_waitcnt vmcnt(0)
	ds_write_b64 v28, v[4:5] offset:2048
	v_lshlrev_b32_e32 v4, 3, v27
	ds_write_b64 v4, v[6:7] offset:2048
	v_lshlrev_b32_e32 v4, 3, v26
	;; [unrolled: 2-line block ×5, first 2 shown]
	v_lshlrev_b32_e32 v2, 3, v2
	ds_write_b64 v4, v[18:19] offset:2048
	s_waitcnt lgkmcnt(0)
	s_barrier
	s_and_saveexec_b64 s[4:5], s[14:15]
	s_cbranch_execz .LBB14_87
; %bb.82:
	v_lshlrev_b32_e32 v3, 3, v3
	ds_read_b64 v[4:5], v3
	ds_read_b64 v[6:7], v11 offset:2048
	v_mov_b32_e32 v3, 0
	s_waitcnt lgkmcnt(1)
	v_lshl_add_u64 v[4:5], v[4:5], 3, s[42:43]
	v_lshl_add_u64 v[4:5], v[4:5], 0, v[2:3]
	s_waitcnt lgkmcnt(0)
	global_store_dwordx2 v[4:5], v[6:7], off
	s_or_b64 exec, exec, s[4:5]
	s_and_saveexec_b64 s[4:5], s[16:17]
	s_cbranch_execnz .LBB14_88
.LBB14_83:
	s_or_b64 exec, exec, s[4:5]
	s_and_saveexec_b64 s[4:5], s[18:19]
	s_cbranch_execz .LBB14_89
.LBB14_84:
	v_lshlrev_b32_e32 v3, 3, v35
	ds_read_b64 v[4:5], v3
	ds_read_b64 v[6:7], v11 offset:10240
	v_lshlrev_b32_e32 v12, 3, v29
	v_mov_b32_e32 v13, 0
	s_waitcnt lgkmcnt(1)
	v_lshl_add_u64 v[4:5], v[4:5], 3, s[42:43]
	v_lshl_add_u64 v[4:5], v[4:5], 0, v[12:13]
	s_waitcnt lgkmcnt(0)
	global_store_dwordx2 v[4:5], v[6:7], off
	s_or_b64 exec, exec, s[4:5]
	s_and_saveexec_b64 s[4:5], s[20:21]
	s_cbranch_execnz .LBB14_90
.LBB14_85:
	s_or_b64 exec, exec, s[4:5]
	s_and_saveexec_b64 s[4:5], s[22:23]
	s_cbranch_execz .LBB14_91
.LBB14_86:
	v_lshlrev_b32_e32 v3, 3, v33
	ds_read_b64 v[4:5], v3
	ds_read_b64 v[6:7], v11 offset:18432
	v_lshlrev_b32_e32 v12, 3, v31
	v_mov_b32_e32 v13, 0
	s_waitcnt lgkmcnt(1)
	v_lshl_add_u64 v[4:5], v[4:5], 3, s[42:43]
	v_lshl_add_u64 v[4:5], v[4:5], 0, v[12:13]
	s_waitcnt lgkmcnt(0)
	global_store_dwordx2 v[4:5], v[6:7], off
	s_or_b64 exec, exec, s[4:5]
	s_and_saveexec_b64 s[4:5], s[24:25]
	s_cbranch_execnz .LBB14_92
	s_branch .LBB14_93
.LBB14_87:
	s_or_b64 exec, exec, s[4:5]
	s_and_saveexec_b64 s[4:5], s[16:17]
	s_cbranch_execz .LBB14_83
.LBB14_88:
	v_lshlrev_b32_e32 v3, 3, v34
	ds_read_b64 v[4:5], v3
	ds_read_b64 v[6:7], v11 offset:6144
	v_lshlrev_b32_e32 v12, 3, v25
	v_mov_b32_e32 v13, 0
	s_waitcnt lgkmcnt(1)
	v_lshl_add_u64 v[4:5], v[4:5], 3, s[42:43]
	v_lshl_add_u64 v[4:5], v[4:5], 0, v[12:13]
	s_waitcnt lgkmcnt(0)
	global_store_dwordx2 v[4:5], v[6:7], off
	s_or_b64 exec, exec, s[4:5]
	s_and_saveexec_b64 s[4:5], s[18:19]
	s_cbranch_execnz .LBB14_84
.LBB14_89:
	s_or_b64 exec, exec, s[4:5]
	s_and_saveexec_b64 s[4:5], s[20:21]
	s_cbranch_execz .LBB14_85
.LBB14_90:
	v_lshlrev_b32_e32 v3, 3, v21
	ds_read_b64 v[4:5], v3
	ds_read_b64 v[6:7], v11 offset:14336
	v_lshlrev_b32_e32 v12, 3, v30
	v_mov_b32_e32 v13, 0
	s_waitcnt lgkmcnt(1)
	v_lshl_add_u64 v[4:5], v[4:5], 3, s[42:43]
	v_lshl_add_u64 v[4:5], v[4:5], 0, v[12:13]
	s_waitcnt lgkmcnt(0)
	global_store_dwordx2 v[4:5], v[6:7], off
	s_or_b64 exec, exec, s[4:5]
	s_and_saveexec_b64 s[4:5], s[22:23]
	s_cbranch_execnz .LBB14_86
.LBB14_91:
	s_or_b64 exec, exec, s[4:5]
	s_and_saveexec_b64 s[4:5], s[24:25]
	s_cbranch_execz .LBB14_93
.LBB14_92:
	v_lshlrev_b32_e32 v3, 3, v20
	ds_read_b64 v[4:5], v3
	ds_read_b64 v[6:7], v11 offset:22528
	v_lshlrev_b32_e32 v12, 3, v32
	v_mov_b32_e32 v13, 0
	s_waitcnt lgkmcnt(1)
	v_lshl_add_u64 v[4:5], v[4:5], 3, s[42:43]
	v_lshl_add_u64 v[4:5], v[4:5], 0, v[12:13]
	s_waitcnt lgkmcnt(0)
	global_store_dwordx2 v[4:5], v[6:7], off
.LBB14_93:
	s_or_b64 exec, exec, s[4:5]
	s_add_i32 s3, s3, -1
	s_cmp_eq_u32 s2, s3
	s_cselect_b64 s[4:5], -1, 0
	s_xor_b64 s[6:7], s[12:13], -1
	s_and_b64 s[6:7], s[6:7], s[4:5]
	s_and_saveexec_b64 s[4:5], s[6:7]
	s_cbranch_execz .LBB14_95
; %bb.94:
	ds_read_b64 v[4:5], v11
	v_mov_b32_e32 v11, 0
	v_lshl_add_u64 v[6:7], v[8:9], 0, v[10:11]
	s_waitcnt lgkmcnt(0)
	v_lshl_add_u64 v[4:5], v[6:7], 0, v[4:5]
	global_store_dwordx2 v2, v[4:5], s[30:31]
.LBB14_95:
	s_or_b64 exec, exec, s[4:5]
	s_mov_b64 s[4:5], 0
.LBB14_96:
	s_and_b64 vcc, exec, s[4:5]
	s_cbranch_vccz .LBB14_131
; %bb.97:
	s_add_u32 s4, s36, s34
	s_addc_u32 s5, s37, 0
	v_mbcnt_hi_u32_b32 v6, -1, v1
	v_and_b32_e32 v10, 0x1c0, v0
	v_mov_b32_e32 v7, 0
	v_mul_u32_u24_e32 v4, 6, v10
	v_lshl_add_u64 v[2:3], s[4:5], 0, v[6:7]
	v_mov_b32_e32 v5, v7
	v_lshl_add_u64 v[12:13], v[2:3], 0, v[4:5]
	global_load_ubyte v5, v[12:13], off
	s_load_dword s4, s[0:1], 0x5c
	s_load_dword s3, s[0:1], 0x50
	s_add_u32 s0, s0, 0x50
	s_addc_u32 s1, s1, 0
	v_and_b32_e32 v2, 0x3ff, v0
	s_waitcnt lgkmcnt(0)
	s_lshr_b32 s4, s4, 16
	s_cmp_lt_u32 s2, s3
	s_cselect_b32 s5, 12, 18
	s_add_u32 s0, s0, s5
	s_addc_u32 s1, s1, 0
	global_load_ushort v11, v7, s[0:1]
	v_mul_u32_u24_e32 v3, 20, v2
	ds_write2_b32 v3, v7, v7 offset0:8 offset1:9
	ds_write2_b32 v3, v7, v7 offset0:10 offset1:11
	ds_write_b32 v3, v7 offset:48
	global_load_ubyte v9, v[12:13], off offset:64
	global_load_ubyte v8, v[12:13], off offset:128
	global_load_ubyte v21, v[12:13], off offset:192
	global_load_ubyte v24, v[12:13], off offset:256
	global_load_ubyte v19, v[12:13], off offset:320
	v_bfe_u32 v15, v0, 10, 10
	v_bfe_u32 v0, v0, 20, 10
	v_mad_u32_u24 v18, v0, s4, v15
	s_lshl_b32 s0, -1, s45
	v_mov_b32_e32 v1, v7
	v_mov_b32_e32 v14, v7
	v_mov_b32_e32 v16, v7
	v_mov_b32_e32 v22, v7
	s_not_b32 s12, s0
	v_mov_b32_e32 v26, v7
	v_mov_b32_e32 v28, v7
	s_mov_b32 s35, 0
	s_waitcnt lgkmcnt(0)
	s_barrier
	s_waitcnt vmcnt(6)
	; wave barrier
	v_xor_b32_e32 v5, 0xff, v5
	v_lshrrev_b32_e32 v0, s44, v5
	v_bitop3_b32 v20, v0, s0, v0 bitop3:0x30
	v_and_b32_e32 v0, 1, v20
	v_lshlrev_b32_e32 v15, 30, v20
	v_lshlrev_b32_e32 v17, 29, v20
	;; [unrolled: 1-line block ×3, first 2 shown]
	v_lshl_add_u64 v[12:13], v[0:1], 0, -1
	v_cmp_ne_u32_e32 vcc, 0, v0
	v_not_b32_e32 v0, v15
	v_not_b32_e32 v1, v17
	v_cmp_gt_i64_e64 s[0:1], 0, v[14:15]
	v_cmp_gt_i64_e64 s[4:5], 0, v[16:17]
	;; [unrolled: 1-line block ×3, first 2 shown]
	v_xor_b32_e32 v13, vcc_hi, v13
	v_xor_b32_e32 v12, vcc_lo, v12
	v_ashrrev_i32_e32 v17, 31, v0
	v_ashrrev_i32_e32 v22, 31, v1
	s_waitcnt vmcnt(5)
	v_mad_u64_u32 v[0:1], s[14:15], v18, v11, v[2:3]
	v_lshlrev_b32_e32 v27, 27, v20
	v_not_b32_e32 v14, v23
	v_and_b32_e32 v1, exec_hi, v13
	v_and_b32_e32 v11, exec_lo, v12
	v_xor_b32_e32 v12, s1, v17
	v_xor_b32_e32 v13, s0, v17
	v_lshlrev_b32_e32 v29, 26, v20
	v_not_b32_e32 v15, v27
	v_ashrrev_i32_e32 v14, 31, v14
	v_xor_b32_e32 v18, s5, v22
	v_xor_b32_e32 v22, s4, v22
	v_lshrrev_b32_e32 v0, 4, v0
	v_and_b32_e32 v1, v1, v12
	v_and_b32_e32 v11, v11, v13
	v_cmp_gt_i64_e64 s[8:9], 0, v[26:27]
	v_not_b32_e32 v16, v29
	v_ashrrev_i32_e32 v15, 31, v15
	v_xor_b32_e32 v23, s7, v14
	v_xor_b32_e32 v14, s6, v14
	v_and_b32_e32 v17, 0xffffffc, v0
	v_and_b32_e32 v0, v1, v18
	;; [unrolled: 1-line block ×3, first 2 shown]
	v_cmp_gt_i64_e64 s[10:11], 0, v[28:29]
	v_xor_b32_e32 v26, s9, v15
	v_xor_b32_e32 v15, s8, v15
	v_and_b32_e32 v0, v0, v23
	v_and_b32_e32 v1, v1, v14
	v_ashrrev_i32_e32 v11, 31, v16
	v_and_b32_e32 v0, v0, v26
	v_and_b32_e32 v1, v1, v15
	v_xor_b32_e32 v12, s11, v11
	v_xor_b32_e32 v11, s10, v11
	v_and_b32_e32 v12, v0, v12
	v_and_b32_e32 v11, v1, v11
	v_lshlrev_b32_e32 v1, 25, v20
	v_mov_b32_e32 v0, v7
	v_cmp_gt_i64_e32 vcc, 0, v[0:1]
	v_not_b32_e32 v0, v1
	v_ashrrev_i32_e32 v0, 31, v0
	v_xor_b32_e32 v1, vcc_hi, v0
	v_xor_b32_e32 v0, vcc_lo, v0
	v_and_b32_e32 v12, v12, v1
	v_and_b32_e32 v11, v11, v0
	v_lshlrev_b32_e32 v1, 24, v20
	v_mov_b32_e32 v0, v7
	v_cmp_gt_i64_e32 vcc, 0, v[0:1]
	v_not_b32_e32 v0, v1
	v_ashrrev_i32_e32 v0, 31, v0
	v_xor_b32_e32 v1, vcc_hi, v0
	v_xor_b32_e32 v0, vcc_lo, v0
	v_and_b32_e32 v0, v11, v0
	v_and_b32_e32 v1, v12, v1
	v_mbcnt_lo_u32_b32 v11, v0, 0
	v_mbcnt_hi_u32_b32 v11, v1, v11
	v_mul_u32_u24_e32 v25, 36, v20
	v_cmp_eq_u32_e32 vcc, 0, v11
	v_cmp_ne_u64_e64 s[0:1], 0, v[0:1]
	s_and_b64 s[4:5], s[0:1], vcc
	v_add_u32_e32 v14, v17, v25
	s_and_saveexec_b64 s[0:1], s[4:5]
; %bb.98:
	v_bcnt_u32_b32 v0, v0, 0
	v_bcnt_u32_b32 v0, v1, v0
	ds_write_b32 v14, v0 offset:32
; %bb.99:
	s_or_b64 exec, exec, s[0:1]
	s_waitcnt vmcnt(4)
	v_xor_b32_e32 v12, -1, v9
	v_lshrrev_b32_sdwa v0, s44, v12 dst_sel:DWORD dst_unused:UNUSED_PAD src0_sel:DWORD src1_sel:BYTE_0
	v_and_b32_e32 v9, s12, v0
	v_mad_u32_u24 v0, v9, 36, v17
	; wave barrier
	ds_read_b32 v13, v0 offset:32
	v_and_b32_e32 v0, 1, v9
	v_mov_b32_e32 v1, v7
	v_lshl_add_u64 v[22:23], v[0:1], 0, -1
	v_cmp_ne_u32_e32 vcc, 0, v0
	v_mul_u32_u24_e32 v15, 36, v9
	s_nop 0
	v_xor_b32_e32 v0, vcc_hi, v23
	v_xor_b32_e32 v1, vcc_lo, v22
	v_and_b32_e32 v16, exec_hi, v0
	v_and_b32_e32 v18, exec_lo, v1
	v_lshlrev_b32_e32 v1, 30, v9
	v_mov_b32_e32 v0, v7
	v_cmp_gt_i64_e32 vcc, 0, v[0:1]
	v_not_b32_e32 v0, v1
	v_ashrrev_i32_e32 v0, 31, v0
	v_xor_b32_e32 v1, vcc_hi, v0
	v_xor_b32_e32 v0, vcc_lo, v0
	v_and_b32_e32 v16, v16, v1
	v_and_b32_e32 v18, v18, v0
	v_lshlrev_b32_e32 v1, 29, v9
	v_mov_b32_e32 v0, v7
	v_cmp_gt_i64_e32 vcc, 0, v[0:1]
	v_not_b32_e32 v0, v1
	v_ashrrev_i32_e32 v0, 31, v0
	v_xor_b32_e32 v1, vcc_hi, v0
	v_xor_b32_e32 v0, vcc_lo, v0
	v_and_b32_e32 v16, v16, v1
	v_and_b32_e32 v18, v18, v0
	;; [unrolled: 9-line block ×7, first 2 shown]
	v_mbcnt_lo_u32_b32 v7, v0, 0
	v_mbcnt_hi_u32_b32 v7, v1, v7
	v_cmp_eq_u32_e32 vcc, 0, v7
	v_cmp_ne_u64_e64 s[0:1], 0, v[0:1]
	s_and_b64 s[4:5], s[0:1], vcc
	v_add_u32_e32 v18, v17, v15
	; wave barrier
	s_and_saveexec_b64 s[0:1], s[4:5]
	s_cbranch_execz .LBB14_101
; %bb.100:
	v_bcnt_u32_b32 v0, v0, 0
	v_bcnt_u32_b32 v0, v1, v0
	s_waitcnt lgkmcnt(0)
	v_add_u32_e32 v0, v13, v0
	ds_write_b32 v18, v0 offset:32
.LBB14_101:
	s_or_b64 exec, exec, s[0:1]
	s_waitcnt vmcnt(3)
	v_xor_b32_e32 v15, -1, v8
	v_lshrrev_b32_sdwa v0, s44, v15 dst_sel:DWORD dst_unused:UNUSED_PAD src0_sel:DWORD src1_sel:BYTE_0
	v_and_b32_e32 v20, s12, v0
	v_mad_u32_u24 v0, v20, 36, v17
	; wave barrier
	ds_read_b32 v16, v0 offset:32
	v_and_b32_e32 v0, 1, v20
	v_mov_b32_e32 v1, 0
	v_lshl_add_u64 v[8:9], v[0:1], 0, -1
	v_cmp_ne_u32_e32 vcc, 0, v0
	v_mul_u32_u24_e32 v22, 36, v20
	s_nop 0
	v_xor_b32_e32 v8, vcc_lo, v8
	v_xor_b32_e32 v0, vcc_hi, v9
	v_and_b32_e32 v23, exec_lo, v8
	v_lshlrev_b32_e32 v9, 30, v20
	v_mov_b32_e32 v8, v1
	v_cmp_gt_i64_e32 vcc, 0, v[8:9]
	v_not_b32_e32 v8, v9
	v_ashrrev_i32_e32 v8, 31, v8
	v_and_b32_e32 v0, exec_hi, v0
	v_xor_b32_e32 v9, vcc_hi, v8
	v_xor_b32_e32 v8, vcc_lo, v8
	v_and_b32_e32 v0, v0, v9
	v_and_b32_e32 v23, v23, v8
	v_lshlrev_b32_e32 v9, 29, v20
	v_mov_b32_e32 v8, v1
	v_cmp_gt_i64_e32 vcc, 0, v[8:9]
	v_not_b32_e32 v8, v9
	v_ashrrev_i32_e32 v8, 31, v8
	v_xor_b32_e32 v9, vcc_hi, v8
	v_xor_b32_e32 v8, vcc_lo, v8
	v_and_b32_e32 v0, v0, v9
	v_and_b32_e32 v23, v23, v8
	v_lshlrev_b32_e32 v9, 28, v20
	v_mov_b32_e32 v8, v1
	v_cmp_gt_i64_e32 vcc, 0, v[8:9]
	v_not_b32_e32 v8, v9
	v_ashrrev_i32_e32 v8, 31, v8
	;; [unrolled: 9-line block ×6, first 2 shown]
	v_xor_b32_e32 v9, vcc_hi, v8
	v_xor_b32_e32 v8, vcc_lo, v8
	v_and_b32_e32 v8, v23, v8
	v_and_b32_e32 v9, v0, v9
	v_mbcnt_lo_u32_b32 v0, v8, 0
	v_mbcnt_hi_u32_b32 v20, v9, v0
	v_cmp_eq_u32_e32 vcc, 0, v20
	v_cmp_ne_u64_e64 s[0:1], 0, v[8:9]
	s_and_b64 s[4:5], s[0:1], vcc
	v_add_u32_e32 v23, v17, v22
	; wave barrier
	s_and_saveexec_b64 s[0:1], s[4:5]
	s_cbranch_execz .LBB14_103
; %bb.102:
	v_bcnt_u32_b32 v0, v8, 0
	v_bcnt_u32_b32 v0, v9, v0
	s_waitcnt lgkmcnt(0)
	v_add_u32_e32 v0, v16, v0
	ds_write_b32 v23, v0 offset:32
.LBB14_103:
	s_or_b64 exec, exec, s[0:1]
	s_waitcnt vmcnt(2)
	v_xor_b32_e32 v21, -1, v21
	v_lshrrev_b32_sdwa v0, s44, v21 dst_sel:DWORD dst_unused:UNUSED_PAD src0_sel:DWORD src1_sel:BYTE_0
	v_and_b32_e32 v25, s12, v0
	v_mad_u32_u24 v0, v25, 36, v17
	; wave barrier
	ds_read_b32 v22, v0 offset:32
	v_and_b32_e32 v0, 1, v25
	v_lshl_add_u64 v[8:9], v[0:1], 0, -1
	v_cmp_ne_u32_e32 vcc, 0, v0
	v_mul_u32_u24_e32 v26, 36, v25
	s_nop 0
	v_xor_b32_e32 v8, vcc_lo, v8
	v_xor_b32_e32 v0, vcc_hi, v9
	v_and_b32_e32 v27, exec_lo, v8
	v_lshlrev_b32_e32 v9, 30, v25
	v_mov_b32_e32 v8, v1
	v_cmp_gt_i64_e32 vcc, 0, v[8:9]
	v_not_b32_e32 v8, v9
	v_ashrrev_i32_e32 v8, 31, v8
	v_and_b32_e32 v0, exec_hi, v0
	v_xor_b32_e32 v9, vcc_hi, v8
	v_xor_b32_e32 v8, vcc_lo, v8
	v_and_b32_e32 v0, v0, v9
	v_and_b32_e32 v27, v27, v8
	v_lshlrev_b32_e32 v9, 29, v25
	v_mov_b32_e32 v8, v1
	v_cmp_gt_i64_e32 vcc, 0, v[8:9]
	v_not_b32_e32 v8, v9
	v_ashrrev_i32_e32 v8, 31, v8
	v_xor_b32_e32 v9, vcc_hi, v8
	v_xor_b32_e32 v8, vcc_lo, v8
	v_and_b32_e32 v0, v0, v9
	v_and_b32_e32 v27, v27, v8
	v_lshlrev_b32_e32 v9, 28, v25
	v_mov_b32_e32 v8, v1
	v_cmp_gt_i64_e32 vcc, 0, v[8:9]
	v_not_b32_e32 v8, v9
	v_ashrrev_i32_e32 v8, 31, v8
	;; [unrolled: 9-line block ×5, first 2 shown]
	v_xor_b32_e32 v9, vcc_hi, v8
	v_xor_b32_e32 v8, vcc_lo, v8
	v_and_b32_e32 v0, v0, v9
	v_lshlrev_b32_e32 v9, 24, v25
	v_and_b32_e32 v27, v27, v8
	v_mov_b32_e32 v8, v1
	v_not_b32_e32 v1, v9
	v_cmp_gt_i64_e32 vcc, 0, v[8:9]
	v_ashrrev_i32_e32 v1, 31, v1
	; wave barrier
	s_nop 0
	v_xor_b32_e32 v8, vcc_hi, v1
	v_xor_b32_e32 v9, vcc_lo, v1
	v_and_b32_e32 v1, v0, v8
	v_and_b32_e32 v0, v27, v9
	v_mbcnt_lo_u32_b32 v8, v0, 0
	v_mbcnt_hi_u32_b32 v25, v1, v8
	v_cmp_eq_u32_e32 vcc, 0, v25
	v_cmp_ne_u64_e64 s[0:1], 0, v[0:1]
	s_and_b64 s[4:5], s[0:1], vcc
	v_add_u32_e32 v27, v17, v26
	s_and_saveexec_b64 s[0:1], s[4:5]
	s_cbranch_execz .LBB14_105
; %bb.104:
	v_bcnt_u32_b32 v0, v0, 0
	v_bcnt_u32_b32 v0, v1, v0
	s_waitcnt lgkmcnt(0)
	v_add_u32_e32 v0, v22, v0
	ds_write_b32 v27, v0 offset:32
.LBB14_105:
	s_or_b64 exec, exec, s[0:1]
	s_waitcnt vmcnt(1)
	v_xor_b32_e32 v24, -1, v24
	v_lshrrev_b32_sdwa v0, s44, v24 dst_sel:DWORD dst_unused:UNUSED_PAD src0_sel:DWORD src1_sel:BYTE_0
	v_and_b32_e32 v28, s12, v0
	v_mad_u32_u24 v0, v28, 36, v17
	; wave barrier
	ds_read_b32 v26, v0 offset:32
	v_and_b32_e32 v0, 1, v28
	v_mov_b32_e32 v1, 0
	v_lshl_add_u64 v[8:9], v[0:1], 0, -1
	v_cmp_ne_u32_e32 vcc, 0, v0
	v_mul_u32_u24_e32 v29, 36, v28
	s_nop 0
	v_xor_b32_e32 v8, vcc_lo, v8
	v_xor_b32_e32 v0, vcc_hi, v9
	v_and_b32_e32 v30, exec_lo, v8
	v_lshlrev_b32_e32 v9, 30, v28
	v_mov_b32_e32 v8, v1
	v_cmp_gt_i64_e32 vcc, 0, v[8:9]
	v_not_b32_e32 v8, v9
	v_ashrrev_i32_e32 v8, 31, v8
	v_and_b32_e32 v0, exec_hi, v0
	v_xor_b32_e32 v9, vcc_hi, v8
	v_xor_b32_e32 v8, vcc_lo, v8
	v_and_b32_e32 v0, v0, v9
	v_and_b32_e32 v30, v30, v8
	v_lshlrev_b32_e32 v9, 29, v28
	v_mov_b32_e32 v8, v1
	v_cmp_gt_i64_e32 vcc, 0, v[8:9]
	v_not_b32_e32 v8, v9
	v_ashrrev_i32_e32 v8, 31, v8
	v_xor_b32_e32 v9, vcc_hi, v8
	v_xor_b32_e32 v8, vcc_lo, v8
	v_and_b32_e32 v0, v0, v9
	v_and_b32_e32 v30, v30, v8
	v_lshlrev_b32_e32 v9, 28, v28
	v_mov_b32_e32 v8, v1
	v_cmp_gt_i64_e32 vcc, 0, v[8:9]
	v_not_b32_e32 v8, v9
	v_ashrrev_i32_e32 v8, 31, v8
	;; [unrolled: 9-line block ×6, first 2 shown]
	v_xor_b32_e32 v9, vcc_hi, v8
	v_xor_b32_e32 v8, vcc_lo, v8
	v_and_b32_e32 v8, v30, v8
	v_and_b32_e32 v9, v0, v9
	v_mbcnt_lo_u32_b32 v0, v8, 0
	v_mbcnt_hi_u32_b32 v28, v9, v0
	v_cmp_eq_u32_e32 vcc, 0, v28
	v_cmp_ne_u64_e64 s[0:1], 0, v[8:9]
	s_and_b64 s[4:5], s[0:1], vcc
	v_add_u32_e32 v30, v17, v29
	; wave barrier
	s_and_saveexec_b64 s[0:1], s[4:5]
	s_cbranch_execz .LBB14_107
; %bb.106:
	v_bcnt_u32_b32 v0, v8, 0
	v_bcnt_u32_b32 v0, v9, v0
	s_waitcnt lgkmcnt(0)
	v_add_u32_e32 v0, v26, v0
	ds_write_b32 v30, v0 offset:32
.LBB14_107:
	s_or_b64 exec, exec, s[0:1]
	s_waitcnt vmcnt(0)
	v_xor_b32_e32 v19, -1, v19
	v_lshrrev_b32_sdwa v0, s44, v19 dst_sel:DWORD dst_unused:UNUSED_PAD src0_sel:DWORD src1_sel:BYTE_0
	v_and_b32_e32 v31, s12, v0
	v_mad_u32_u24 v0, v31, 36, v17
	; wave barrier
	ds_read_b32 v29, v0 offset:32
	v_and_b32_e32 v0, 1, v31
	v_lshl_add_u64 v[8:9], v[0:1], 0, -1
	v_cmp_ne_u32_e32 vcc, 0, v0
	v_mul_u32_u24_e32 v32, 36, v31
	v_add_u32_e32 v17, v17, v32
	v_xor_b32_e32 v8, vcc_lo, v8
	v_xor_b32_e32 v0, vcc_hi, v9
	v_and_b32_e32 v33, exec_lo, v8
	v_lshlrev_b32_e32 v9, 30, v31
	v_mov_b32_e32 v8, v1
	v_cmp_gt_i64_e32 vcc, 0, v[8:9]
	v_not_b32_e32 v8, v9
	v_ashrrev_i32_e32 v8, 31, v8
	v_and_b32_e32 v0, exec_hi, v0
	v_xor_b32_e32 v9, vcc_hi, v8
	v_xor_b32_e32 v8, vcc_lo, v8
	v_and_b32_e32 v0, v0, v9
	v_and_b32_e32 v33, v33, v8
	v_lshlrev_b32_e32 v9, 29, v31
	v_mov_b32_e32 v8, v1
	v_cmp_gt_i64_e32 vcc, 0, v[8:9]
	v_not_b32_e32 v8, v9
	v_ashrrev_i32_e32 v8, 31, v8
	v_xor_b32_e32 v9, vcc_hi, v8
	v_xor_b32_e32 v8, vcc_lo, v8
	v_and_b32_e32 v0, v0, v9
	v_and_b32_e32 v33, v33, v8
	v_lshlrev_b32_e32 v9, 28, v31
	v_mov_b32_e32 v8, v1
	v_cmp_gt_i64_e32 vcc, 0, v[8:9]
	v_not_b32_e32 v8, v9
	v_ashrrev_i32_e32 v8, 31, v8
	;; [unrolled: 9-line block ×5, first 2 shown]
	v_xor_b32_e32 v9, vcc_hi, v8
	v_xor_b32_e32 v8, vcc_lo, v8
	v_and_b32_e32 v0, v0, v9
	v_lshlrev_b32_e32 v9, 24, v31
	v_and_b32_e32 v33, v33, v8
	v_mov_b32_e32 v8, v1
	v_not_b32_e32 v1, v9
	v_cmp_gt_i64_e32 vcc, 0, v[8:9]
	v_ashrrev_i32_e32 v1, 31, v1
	s_nop 0
	v_xor_b32_e32 v8, vcc_hi, v1
	v_xor_b32_e32 v9, vcc_lo, v1
	v_and_b32_e32 v1, v0, v8
	v_and_b32_e32 v0, v33, v9
	v_mbcnt_lo_u32_b32 v8, v0, 0
	v_mbcnt_hi_u32_b32 v31, v1, v8
	v_cmp_eq_u32_e32 vcc, 0, v31
	v_cmp_ne_u64_e64 s[0:1], 0, v[0:1]
	s_and_b64 s[4:5], s[0:1], vcc
	; wave barrier
	s_and_saveexec_b64 s[0:1], s[4:5]
	s_cbranch_execz .LBB14_109
; %bb.108:
	v_bcnt_u32_b32 v0, v0, 0
	v_bcnt_u32_b32 v0, v1, v0
	s_waitcnt lgkmcnt(0)
	v_add_u32_e32 v0, v29, v0
	ds_write_b32 v17, v0 offset:32
.LBB14_109:
	s_or_b64 exec, exec, s[0:1]
	; wave barrier
	s_waitcnt lgkmcnt(0)
	s_barrier
	ds_read2_b32 v[8:9], v3 offset0:8 offset1:9
	ds_read2_b32 v[0:1], v3 offset0:10 offset1:11
	ds_read_b32 v32, v3 offset:48
	v_min_u32_e32 v10, 0x1c0, v10
	v_or_b32_e32 v10, 63, v10
	s_waitcnt lgkmcnt(1)
	v_add3_u32 v33, v9, v8, v0
	s_waitcnt lgkmcnt(0)
	v_add3_u32 v32, v33, v1, v32
	v_and_b32_e32 v33, 15, v6
	v_cmp_ne_u32_e32 vcc, 0, v33
	v_mov_b32_dpp v34, v32 row_shr:1 row_mask:0xf bank_mask:0xf
	s_nop 0
	v_cndmask_b32_e32 v34, 0, v34, vcc
	v_add_u32_e32 v32, v34, v32
	v_cmp_lt_u32_e32 vcc, 1, v33
	s_nop 0
	v_mov_b32_dpp v34, v32 row_shr:2 row_mask:0xf bank_mask:0xf
	v_cndmask_b32_e32 v34, 0, v34, vcc
	v_add_u32_e32 v32, v32, v34
	v_cmp_lt_u32_e32 vcc, 3, v33
	s_nop 0
	v_mov_b32_dpp v34, v32 row_shr:4 row_mask:0xf bank_mask:0xf
	;; [unrolled: 5-line block ×3, first 2 shown]
	v_cndmask_b32_e32 v33, 0, v34, vcc
	v_add_u32_e32 v32, v32, v33
	v_bfe_i32 v34, v6, 4, 1
	v_cmp_lt_u32_e32 vcc, 31, v6
	v_mov_b32_dpp v33, v32 row_bcast:15 row_mask:0xf bank_mask:0xf
	v_and_b32_e32 v33, v34, v33
	v_add_u32_e32 v32, v32, v33
	s_nop 1
	v_mov_b32_dpp v33, v32 row_bcast:31 row_mask:0xf bank_mask:0xf
	v_cndmask_b32_e32 v33, 0, v33, vcc
	v_add_u32_e32 v32, v32, v33
	v_lshrrev_b32_e32 v33, 6, v2
	v_cmp_eq_u32_e32 vcc, v2, v10
	s_and_saveexec_b64 s[0:1], vcc
; %bb.110:
	v_lshlrev_b32_e32 v10, 2, v33
	ds_write_b32 v10, v32
; %bb.111:
	s_or_b64 exec, exec, s[0:1]
	v_cmp_gt_u32_e32 vcc, 8, v2
	s_waitcnt lgkmcnt(0)
	s_barrier
	s_and_saveexec_b64 s[0:1], vcc
	s_cbranch_execz .LBB14_113
; %bb.112:
	v_lshlrev_b32_e32 v10, 2, v2
	ds_read_b32 v34, v10
	v_and_b32_e32 v35, 7, v6
	v_cmp_ne_u32_e32 vcc, 0, v35
	s_waitcnt lgkmcnt(0)
	v_mov_b32_dpp v36, v34 row_shr:1 row_mask:0xf bank_mask:0xf
	v_cndmask_b32_e32 v36, 0, v36, vcc
	v_add_u32_e32 v34, v36, v34
	v_cmp_lt_u32_e32 vcc, 1, v35
	s_nop 0
	v_mov_b32_dpp v36, v34 row_shr:2 row_mask:0xf bank_mask:0xf
	v_cndmask_b32_e32 v36, 0, v36, vcc
	v_add_u32_e32 v34, v34, v36
	v_cmp_lt_u32_e32 vcc, 3, v35
	s_nop 0
	v_mov_b32_dpp v36, v34 row_shr:4 row_mask:0xf bank_mask:0xf
	v_cndmask_b32_e32 v35, 0, v36, vcc
	v_add_u32_e32 v34, v34, v35
	ds_write_b32 v10, v34
.LBB14_113:
	s_or_b64 exec, exec, s[0:1]
	v_cmp_lt_u32_e32 vcc, 63, v2
	v_mov_b32_e32 v10, 0
	s_waitcnt lgkmcnt(0)
	s_barrier
	s_and_saveexec_b64 s[0:1], vcc
; %bb.114:
	v_lshl_add_u32 v10, v33, 2, -4
	ds_read_b32 v10, v10
; %bb.115:
	s_or_b64 exec, exec, s[0:1]
	v_add_u32_e32 v33, -1, v6
	v_and_b32_e32 v34, 64, v6
	v_cmp_lt_i32_e32 vcc, v33, v34
	s_waitcnt lgkmcnt(0)
	v_add_u32_e32 v32, v10, v32
	s_movk_i32 s0, 0xff
	v_cndmask_b32_e32 v33, v33, v6, vcc
	v_lshlrev_b32_e32 v33, 2, v33
	ds_bpermute_b32 v32, v33, v32
	v_cmp_eq_u32_e32 vcc, 0, v6
	s_movk_i32 s4, 0x100
	s_waitcnt lgkmcnt(0)
	v_cndmask_b32_e32 v10, v32, v10, vcc
	v_cmp_ne_u32_e32 vcc, 0, v2
	s_nop 1
	v_cndmask_b32_e32 v10, 0, v10, vcc
	v_add_u32_e32 v8, v10, v8
	v_add_u32_e32 v9, v8, v9
	;; [unrolled: 1-line block ×4, first 2 shown]
	ds_write2_b32 v3, v10, v8 offset0:8 offset1:9
	ds_write2_b32 v3, v9, v0 offset0:10 offset1:11
	ds_write_b32 v3, v1 offset:48
	s_waitcnt lgkmcnt(0)
	s_barrier
	ds_read_b32 v3, v14 offset:32
	ds_read_b32 v9, v18 offset:32
	;; [unrolled: 1-line block ×6, first 2 shown]
	v_cmp_lt_u32_e32 vcc, s0, v2
	v_cmp_gt_u32_e64 s[0:1], s4, v2
	v_mov_b64_e32 v[0:1], 0
                                        ; implicit-def: $vgpr8
	s_and_saveexec_b64 s[6:7], s[0:1]
	s_cbranch_execz .LBB14_119
; %bb.116:
	v_mul_u32_u24_e32 v0, 36, v2
	ds_read_b32 v0, v0 offset:32
	v_add_u32_e32 v8, 1, v2
	v_cmp_ne_u32_e64 s[4:5], s4, v8
	v_mov_b32_e32 v1, 0xc00
	s_and_saveexec_b64 s[8:9], s[4:5]
; %bb.117:
	v_mul_u32_u24_e32 v1, 36, v8
	ds_read_b32 v1, v1 offset:32
; %bb.118:
	s_or_b64 exec, exec, s[8:9]
	s_waitcnt lgkmcnt(0)
	v_sub_u32_e32 v8, v1, v0
	v_mov_b32_e32 v1, 0
.LBB14_119:
	s_or_b64 exec, exec, s[6:7]
	s_waitcnt lgkmcnt(5)
	v_add_u32_e32 v27, v3, v11
	v_mov_b32_e32 v11, 0
	s_waitcnt lgkmcnt(4)
	v_add3_u32 v23, v7, v13, v9
	s_waitcnt lgkmcnt(3)
	v_add3_u32 v18, v20, v16, v10
	;; [unrolled: 2-line block ×5, first 2 shown]
	s_barrier
	ds_write_b8 v27, v5 offset:2048
	ds_write_b8 v23, v12 offset:2048
	;; [unrolled: 1-line block ×6, first 2 shown]
	v_mov_b32_e32 v3, v11
	v_lshlrev_b32_e32 v5, 3, v2
	s_waitcnt lgkmcnt(0)
	s_barrier
	s_and_saveexec_b64 s[4:5], s[0:1]
	s_cbranch_execz .LBB14_129
; %bb.120:
	v_lshl_add_u32 v10, s2, 8, v2
	v_lshl_add_u64 v[12:13], v[10:11], 2, s[48:49]
	v_or_b32_e32 v7, 2.0, v8
	global_store_dword v[12:13], v7, off sc1
	s_mov_b64 s[6:7], 0
	s_brev_b32 s13, -4
	s_mov_b32 s14, s2
	v_mov_b32_e32 v7, 0
                                        ; implicit-def: $sgpr0_sgpr1
	s_branch .LBB14_123
.LBB14_121:                             ;   in Loop: Header=BB14_123 Depth=1
	s_or_b64 exec, exec, s[10:11]
.LBB14_122:                             ;   in Loop: Header=BB14_123 Depth=1
	s_or_b64 exec, exec, s[8:9]
	v_and_b32_e32 v14, 0x3fffffff, v10
	v_add_u32_e32 v7, v14, v7
	v_cmp_gt_i32_e64 s[0:1], -2.0, v10
	s_and_b64 s[8:9], exec, s[0:1]
	s_or_b64 s[6:7], s[8:9], s[6:7]
	s_andn2_b64 exec, exec, s[6:7]
	s_cbranch_execz .LBB14_128
.LBB14_123:                             ; =>This Loop Header: Depth=1
                                        ;     Child Loop BB14_126 Depth 2
	s_or_b64 s[0:1], s[0:1], exec
	s_cmp_eq_u32 s14, 0
	s_cbranch_scc1 .LBB14_127
; %bb.124:                              ;   in Loop: Header=BB14_123 Depth=1
	s_add_i32 s14, s14, -1
	v_lshl_or_b32 v10, s14, 8, v2
	v_lshl_add_u64 v[14:15], v[10:11], 2, s[48:49]
	global_load_dword v10, v[14:15], off sc1
	s_waitcnt vmcnt(0)
	v_cmp_gt_u32_e64 s[0:1], 2.0, v10
	s_and_saveexec_b64 s[8:9], s[0:1]
	s_cbranch_execz .LBB14_122
; %bb.125:                              ;   in Loop: Header=BB14_123 Depth=1
	s_mov_b64 s[10:11], 0
.LBB14_126:                             ;   Parent Loop BB14_123 Depth=1
                                        ; =>  This Inner Loop Header: Depth=2
	global_load_dword v10, v[14:15], off sc1
	s_waitcnt vmcnt(0)
	v_cmp_lt_u32_e64 s[0:1], s13, v10
	s_or_b64 s[10:11], s[0:1], s[10:11]
	s_andn2_b64 exec, exec, s[10:11]
	s_cbranch_execnz .LBB14_126
	s_branch .LBB14_121
.LBB14_127:                             ;   in Loop: Header=BB14_123 Depth=1
                                        ; implicit-def: $sgpr14
	s_and_b64 s[8:9], exec, s[0:1]
	s_or_b64 s[6:7], s[8:9], s[6:7]
	s_andn2_b64 exec, exec, s[6:7]
	s_cbranch_execnz .LBB14_123
.LBB14_128:
	s_or_b64 exec, exec, s[6:7]
	v_add_u32_e32 v11, v7, v8
	v_or_b32_e32 v11, 0x80000000, v11
	v_lshlrev_b32_e32 v10, 3, v2
	global_store_dword v[12:13], v11, off sc1
	global_load_dwordx2 v[10:11], v10, s[28:29]
	v_sub_co_u32_e64 v12, s[0:1], v7, v0
	s_nop 1
	v_subb_co_u32_e64 v13, s[0:1], 0, v1, s[0:1]
	s_waitcnt vmcnt(0)
	v_lshl_add_u64 v[10:11], v[12:13], 0, v[10:11]
	ds_write_b64 v5, v[10:11]
.LBB14_129:
	s_or_b64 exec, exec, s[4:5]
	s_waitcnt lgkmcnt(0)
	s_barrier
	ds_read_u8 v7, v2 offset:4096
	ds_read_u8 v19, v2 offset:3072
	;; [unrolled: 1-line block ×5, first 2 shown]
	s_waitcnt lgkmcnt(4)
	v_lshrrev_b32_sdwa v10, s44, v7 dst_sel:DWORD dst_unused:UNUSED_PAD src0_sel:DWORD src1_sel:BYTE_0
	v_and_b32_e32 v10, s12, v10
	v_lshlrev_b32_e32 v32, 3, v10
	s_waitcnt lgkmcnt(1)
	v_lshrrev_b32_sdwa v10, s44, v26 dst_sel:DWORD dst_unused:UNUSED_PAD src0_sel:DWORD src1_sel:BYTE_0
	v_and_b32_e32 v10, s12, v10
	v_lshlrev_b32_e32 v33, 3, v10
	ds_read_u8 v30, v2 offset:2560
	ds_read_b64 v[10:11], v32
	ds_read_b64 v[12:13], v33
	s_waitcnt lgkmcnt(3)
	v_lshrrev_b32_sdwa v15, s44, v14 dst_sel:DWORD dst_unused:UNUSED_PAD src0_sel:DWORD src1_sel:BYTE_0
	v_and_b32_e32 v15, s12, v15
	s_waitcnt lgkmcnt(2)
	v_lshrrev_b32_sdwa v20, s44, v30 dst_sel:DWORD dst_unused:UNUSED_PAD src0_sel:DWORD src1_sel:BYTE_0
	v_lshlrev_b32_e32 v34, 3, v15
	v_and_b32_e32 v20, s12, v20
	v_xor_b32_e32 v31, -1, v14
	ds_read_b64 v[14:15], v34
	v_lshlrev_b32_e32 v35, 3, v20
	v_lshrrev_b32_sdwa v20, s44, v19 dst_sel:DWORD dst_unused:UNUSED_PAD src0_sel:DWORD src1_sel:BYTE_0
	v_and_b32_e32 v20, s12, v20
	v_lshlrev_b32_e32 v36, 3, v20
	v_lshrrev_b32_sdwa v20, s44, v22 dst_sel:DWORD dst_unused:UNUSED_PAD src0_sel:DWORD src1_sel:BYTE_0
	v_and_b32_e32 v20, s12, v20
	v_lshlrev_b32_e32 v37, 3, v20
	ds_read_b64 v[20:21], v35
	ds_read_b64 v[24:25], v36
	;; [unrolled: 1-line block ×3, first 2 shown]
	s_waitcnt lgkmcnt(3)
	v_lshl_add_u64 v[14:15], s[38:39], 0, v[14:15]
	v_lshl_add_u64 v[14:15], v[14:15], 0, v[2:3]
	global_store_byte v[14:15], v31, off
	s_waitcnt lgkmcnt(2)
	v_lshl_add_u64 v[14:15], s[38:39], 0, v[20:21]
	v_xor_b32_e32 v30, -1, v30
	v_lshl_add_u64 v[14:15], v[14:15], 0, v[2:3]
	global_store_byte v[14:15], v30, off offset:512
	s_waitcnt lgkmcnt(1)
	v_lshl_add_u64 v[14:15], s[38:39], 0, v[24:25]
	v_xor_b32_e32 v19, -1, v19
	v_lshl_add_u64 v[14:15], v[14:15], 0, v[2:3]
	global_store_byte v[14:15], v19, off offset:1024
	s_waitcnt lgkmcnt(0)
	v_lshl_add_u64 v[14:15], s[38:39], 0, v[28:29]
	v_lshl_add_u64 v[10:11], s[38:39], 0, v[10:11]
	v_xor_b32_e32 v19, -1, v22
	v_lshl_add_u64 v[14:15], v[14:15], 0, v[2:3]
	v_xor_b32_e32 v7, -1, v7
	v_lshl_add_u64 v[10:11], v[10:11], 0, v[2:3]
	global_store_byte v[14:15], v19, off offset:1536
	global_store_byte v[10:11], v7, off offset:2048
	v_lshl_add_u64 v[10:11], s[38:39], 0, v[12:13]
	s_lshl_b64 s[0:1], s[34:35], 3
	v_xor_b32_e32 v7, -1, v26
	v_lshl_add_u64 v[10:11], v[10:11], 0, v[2:3]
	s_add_u32 s0, s40, s0
	global_store_byte v[10:11], v7, off offset:2560
	s_addc_u32 s1, s41, s1
	v_lshlrev_b32_e32 v6, 3, v6
	v_mov_b32_e32 v7, 0
	v_lshl_add_u64 v[10:11], s[0:1], 0, v[6:7]
	v_lshlrev_b32_e32 v6, 3, v4
	v_lshl_add_u64 v[10:11], v[10:11], 0, v[6:7]
	global_load_dwordx2 v[12:13], v[10:11], off
	global_load_dwordx2 v[14:15], v[10:11], off offset:512
	global_load_dwordx2 v[20:21], v[10:11], off offset:1024
	;; [unrolled: 1-line block ×5, first 2 shown]
	v_lshlrev_b32_e32 v3, 3, v27
	v_lshlrev_b32_e32 v10, 3, v18
	;; [unrolled: 1-line block ×4, first 2 shown]
	v_mad_u32_u24 v38, v2, 7, v2
	v_lshlrev_b32_e32 v4, 3, v23
	v_lshlrev_b32_e32 v9, 3, v9
	;; [unrolled: 1-line block ×3, first 2 shown]
	s_barrier
	v_add_u32_e32 v18, 0x1000, v5
	v_or_b32_e32 v22, 0x2000, v5
	v_mov_b32_e32 v19, v7
	v_mov_b32_e32 v23, v7
	s_add_i32 s3, s3, -1
	s_cmp_eq_u32 s2, s3
	s_cselect_b64 s[0:1], -1, 0
	s_xor_b64 s[2:3], vcc, -1
	s_and_b64 s[0:1], s[2:3], s[0:1]
	s_waitcnt vmcnt(5)
	ds_write_b64 v3, v[12:13] offset:2048
	s_waitcnt vmcnt(4)
	ds_write_b64 v4, v[14:15] offset:2048
	s_waitcnt vmcnt(3)
	ds_write_b64 v10, v[20:21] offset:2048
	s_waitcnt vmcnt(2)
	ds_write_b64 v11, v[24:25] offset:2048
	s_waitcnt vmcnt(1)
	ds_write_b64 v16, v[28:29] offset:2048
	s_waitcnt vmcnt(0)
	ds_write_b64 v9, v[30:31] offset:2048
	s_waitcnt lgkmcnt(0)
	s_barrier
	ds_read2st64_b64 v[10:13], v38 offset0:4 offset1:12
	ds_read_b64 v[2:3], v34
	ds_read_b64 v[20:21], v35
	;; [unrolled: 1-line block ×3, first 2 shown]
	ds_read2st64_b64 v[14:17], v38 offset0:20 offset1:28
	ds_read_b64 v[26:27], v37
	s_waitcnt lgkmcnt(4)
	v_lshl_add_u64 v[2:3], v[2:3], 3, s[42:43]
	s_waitcnt lgkmcnt(3)
	v_lshl_add_u64 v[20:21], v[20:21], 3, s[42:43]
	;; [unrolled: 2-line block ×3, first 2 shown]
	v_lshl_add_u64 v[2:3], v[2:3], 0, v[6:7]
	v_lshl_add_u64 v[18:19], v[20:21], 0, v[18:19]
	global_store_dwordx2 v[2:3], v[10:11], off
	global_store_dwordx2 v[18:19], v[12:13], off
	v_lshl_add_u64 v[2:3], v[24:25], 0, v[22:23]
	s_waitcnt lgkmcnt(1)
	global_store_dwordx2 v[2:3], v[14:15], off
	s_waitcnt lgkmcnt(0)
	v_lshl_add_u64 v[2:3], v[26:27], 3, s[42:43]
	v_add_u32_e32 v10, 0x3000, v5
	v_mov_b32_e32 v11, v7
	ds_read_b64 v[14:15], v32
	v_lshl_add_u64 v[2:3], v[2:3], 0, v[10:11]
	global_store_dwordx2 v[2:3], v[16:17], off
	ds_read2st64_b64 v[10:13], v38 offset0:36 offset1:44
	ds_read_b64 v[2:3], v33
	v_or_b32_e32 v16, 0x4000, v5
	s_waitcnt lgkmcnt(2)
	v_lshl_add_u64 v[14:15], v[14:15], 3, s[42:43]
	v_mov_b32_e32 v17, v7
	v_lshl_add_u64 v[14:15], v[14:15], 0, v[16:17]
	s_waitcnt lgkmcnt(1)
	global_store_dwordx2 v[14:15], v[10:11], off
	s_waitcnt lgkmcnt(0)
	v_lshl_add_u64 v[2:3], v[2:3], 3, s[42:43]
	v_add_u32_e32 v10, 0x5000, v5
	v_mov_b32_e32 v11, v7
	v_lshl_add_u64 v[2:3], v[2:3], 0, v[10:11]
	global_store_dwordx2 v[2:3], v[12:13], off
	s_and_saveexec_b64 s[2:3], s[0:1]
	s_cbranch_execz .LBB14_131
; %bb.130:
	ds_read_b64 v[2:3], v5
	v_mov_b32_e32 v9, v7
	v_lshl_add_u64 v[0:1], v[0:1], 0, v[8:9]
	s_waitcnt lgkmcnt(0)
	v_lshl_add_u64 v[0:1], v[0:1], 0, v[2:3]
	global_store_dwordx2 v6, v[0:1], s[30:31]
.LBB14_131:
	s_endpgm
	.section	.rodata,"a",@progbits
	.p2align	6, 0x0
	.amdhsa_kernel _ZN7rocprim17ROCPRIM_304000_NS6detail25onesweep_iteration_kernelINS1_34wrapped_radix_sort_onesweep_configINS0_14default_configEhN2at4cuda3cub6detail10OpaqueTypeILi8EEEEELb1EPKhPhPKSA_PSA_mNS0_19identity_decomposerEEEvT1_T2_T3_T4_jPT5_SO_PNS1_23onesweep_lookback_stateET6_jjj
		.amdhsa_group_segment_fixed_size 26624
		.amdhsa_private_segment_fixed_size 0
		.amdhsa_kernarg_size 336
		.amdhsa_user_sgpr_count 2
		.amdhsa_user_sgpr_dispatch_ptr 0
		.amdhsa_user_sgpr_queue_ptr 0
		.amdhsa_user_sgpr_kernarg_segment_ptr 1
		.amdhsa_user_sgpr_dispatch_id 0
		.amdhsa_user_sgpr_kernarg_preload_length 0
		.amdhsa_user_sgpr_kernarg_preload_offset 0
		.amdhsa_user_sgpr_private_segment_size 0
		.amdhsa_uses_dynamic_stack 0
		.amdhsa_enable_private_segment 0
		.amdhsa_system_sgpr_workgroup_id_x 1
		.amdhsa_system_sgpr_workgroup_id_y 0
		.amdhsa_system_sgpr_workgroup_id_z 0
		.amdhsa_system_sgpr_workgroup_info 0
		.amdhsa_system_vgpr_workitem_id 2
		.amdhsa_next_free_vgpr 39
		.amdhsa_next_free_sgpr 51
		.amdhsa_accum_offset 40
		.amdhsa_reserve_vcc 1
		.amdhsa_float_round_mode_32 0
		.amdhsa_float_round_mode_16_64 0
		.amdhsa_float_denorm_mode_32 3
		.amdhsa_float_denorm_mode_16_64 3
		.amdhsa_dx10_clamp 1
		.amdhsa_ieee_mode 1
		.amdhsa_fp16_overflow 0
		.amdhsa_tg_split 0
		.amdhsa_exception_fp_ieee_invalid_op 0
		.amdhsa_exception_fp_denorm_src 0
		.amdhsa_exception_fp_ieee_div_zero 0
		.amdhsa_exception_fp_ieee_overflow 0
		.amdhsa_exception_fp_ieee_underflow 0
		.amdhsa_exception_fp_ieee_inexact 0
		.amdhsa_exception_int_div_zero 0
	.end_amdhsa_kernel
	.section	.text._ZN7rocprim17ROCPRIM_304000_NS6detail25onesweep_iteration_kernelINS1_34wrapped_radix_sort_onesweep_configINS0_14default_configEhN2at4cuda3cub6detail10OpaqueTypeILi8EEEEELb1EPKhPhPKSA_PSA_mNS0_19identity_decomposerEEEvT1_T2_T3_T4_jPT5_SO_PNS1_23onesweep_lookback_stateET6_jjj,"axG",@progbits,_ZN7rocprim17ROCPRIM_304000_NS6detail25onesweep_iteration_kernelINS1_34wrapped_radix_sort_onesweep_configINS0_14default_configEhN2at4cuda3cub6detail10OpaqueTypeILi8EEEEELb1EPKhPhPKSA_PSA_mNS0_19identity_decomposerEEEvT1_T2_T3_T4_jPT5_SO_PNS1_23onesweep_lookback_stateET6_jjj,comdat
.Lfunc_end14:
	.size	_ZN7rocprim17ROCPRIM_304000_NS6detail25onesweep_iteration_kernelINS1_34wrapped_radix_sort_onesweep_configINS0_14default_configEhN2at4cuda3cub6detail10OpaqueTypeILi8EEEEELb1EPKhPhPKSA_PSA_mNS0_19identity_decomposerEEEvT1_T2_T3_T4_jPT5_SO_PNS1_23onesweep_lookback_stateET6_jjj, .Lfunc_end14-_ZN7rocprim17ROCPRIM_304000_NS6detail25onesweep_iteration_kernelINS1_34wrapped_radix_sort_onesweep_configINS0_14default_configEhN2at4cuda3cub6detail10OpaqueTypeILi8EEEEELb1EPKhPhPKSA_PSA_mNS0_19identity_decomposerEEEvT1_T2_T3_T4_jPT5_SO_PNS1_23onesweep_lookback_stateET6_jjj
                                        ; -- End function
	.set _ZN7rocprim17ROCPRIM_304000_NS6detail25onesweep_iteration_kernelINS1_34wrapped_radix_sort_onesweep_configINS0_14default_configEhN2at4cuda3cub6detail10OpaqueTypeILi8EEEEELb1EPKhPhPKSA_PSA_mNS0_19identity_decomposerEEEvT1_T2_T3_T4_jPT5_SO_PNS1_23onesweep_lookback_stateET6_jjj.num_vgpr, 39
	.set _ZN7rocprim17ROCPRIM_304000_NS6detail25onesweep_iteration_kernelINS1_34wrapped_radix_sort_onesweep_configINS0_14default_configEhN2at4cuda3cub6detail10OpaqueTypeILi8EEEEELb1EPKhPhPKSA_PSA_mNS0_19identity_decomposerEEEvT1_T2_T3_T4_jPT5_SO_PNS1_23onesweep_lookback_stateET6_jjj.num_agpr, 0
	.set _ZN7rocprim17ROCPRIM_304000_NS6detail25onesweep_iteration_kernelINS1_34wrapped_radix_sort_onesweep_configINS0_14default_configEhN2at4cuda3cub6detail10OpaqueTypeILi8EEEEELb1EPKhPhPKSA_PSA_mNS0_19identity_decomposerEEEvT1_T2_T3_T4_jPT5_SO_PNS1_23onesweep_lookback_stateET6_jjj.numbered_sgpr, 51
	.set _ZN7rocprim17ROCPRIM_304000_NS6detail25onesweep_iteration_kernelINS1_34wrapped_radix_sort_onesweep_configINS0_14default_configEhN2at4cuda3cub6detail10OpaqueTypeILi8EEEEELb1EPKhPhPKSA_PSA_mNS0_19identity_decomposerEEEvT1_T2_T3_T4_jPT5_SO_PNS1_23onesweep_lookback_stateET6_jjj.num_named_barrier, 0
	.set _ZN7rocprim17ROCPRIM_304000_NS6detail25onesweep_iteration_kernelINS1_34wrapped_radix_sort_onesweep_configINS0_14default_configEhN2at4cuda3cub6detail10OpaqueTypeILi8EEEEELb1EPKhPhPKSA_PSA_mNS0_19identity_decomposerEEEvT1_T2_T3_T4_jPT5_SO_PNS1_23onesweep_lookback_stateET6_jjj.private_seg_size, 0
	.set _ZN7rocprim17ROCPRIM_304000_NS6detail25onesweep_iteration_kernelINS1_34wrapped_radix_sort_onesweep_configINS0_14default_configEhN2at4cuda3cub6detail10OpaqueTypeILi8EEEEELb1EPKhPhPKSA_PSA_mNS0_19identity_decomposerEEEvT1_T2_T3_T4_jPT5_SO_PNS1_23onesweep_lookback_stateET6_jjj.uses_vcc, 1
	.set _ZN7rocprim17ROCPRIM_304000_NS6detail25onesweep_iteration_kernelINS1_34wrapped_radix_sort_onesweep_configINS0_14default_configEhN2at4cuda3cub6detail10OpaqueTypeILi8EEEEELb1EPKhPhPKSA_PSA_mNS0_19identity_decomposerEEEvT1_T2_T3_T4_jPT5_SO_PNS1_23onesweep_lookback_stateET6_jjj.uses_flat_scratch, 0
	.set _ZN7rocprim17ROCPRIM_304000_NS6detail25onesweep_iteration_kernelINS1_34wrapped_radix_sort_onesweep_configINS0_14default_configEhN2at4cuda3cub6detail10OpaqueTypeILi8EEEEELb1EPKhPhPKSA_PSA_mNS0_19identity_decomposerEEEvT1_T2_T3_T4_jPT5_SO_PNS1_23onesweep_lookback_stateET6_jjj.has_dyn_sized_stack, 0
	.set _ZN7rocprim17ROCPRIM_304000_NS6detail25onesweep_iteration_kernelINS1_34wrapped_radix_sort_onesweep_configINS0_14default_configEhN2at4cuda3cub6detail10OpaqueTypeILi8EEEEELb1EPKhPhPKSA_PSA_mNS0_19identity_decomposerEEEvT1_T2_T3_T4_jPT5_SO_PNS1_23onesweep_lookback_stateET6_jjj.has_recursion, 0
	.set _ZN7rocprim17ROCPRIM_304000_NS6detail25onesweep_iteration_kernelINS1_34wrapped_radix_sort_onesweep_configINS0_14default_configEhN2at4cuda3cub6detail10OpaqueTypeILi8EEEEELb1EPKhPhPKSA_PSA_mNS0_19identity_decomposerEEEvT1_T2_T3_T4_jPT5_SO_PNS1_23onesweep_lookback_stateET6_jjj.has_indirect_call, 0
	.section	.AMDGPU.csdata,"",@progbits
; Kernel info:
; codeLenInByte = 10864
; TotalNumSgprs: 57
; NumVgprs: 39
; NumAgprs: 0
; TotalNumVgprs: 39
; ScratchSize: 0
; MemoryBound: 0
; FloatMode: 240
; IeeeMode: 1
; LDSByteSize: 26624 bytes/workgroup (compile time only)
; SGPRBlocks: 7
; VGPRBlocks: 4
; NumSGPRsForWavesPerEU: 57
; NumVGPRsForWavesPerEU: 39
; AccumOffset: 40
; Occupancy: 8
; WaveLimiterHint : 1
; COMPUTE_PGM_RSRC2:SCRATCH_EN: 0
; COMPUTE_PGM_RSRC2:USER_SGPR: 2
; COMPUTE_PGM_RSRC2:TRAP_HANDLER: 0
; COMPUTE_PGM_RSRC2:TGID_X_EN: 1
; COMPUTE_PGM_RSRC2:TGID_Y_EN: 0
; COMPUTE_PGM_RSRC2:TGID_Z_EN: 0
; COMPUTE_PGM_RSRC2:TIDIG_COMP_CNT: 2
; COMPUTE_PGM_RSRC3_GFX90A:ACCUM_OFFSET: 9
; COMPUTE_PGM_RSRC3_GFX90A:TG_SPLIT: 0
	.section	.text._ZN7rocprim17ROCPRIM_304000_NS6detail25onesweep_iteration_kernelINS1_34wrapped_radix_sort_onesweep_configINS0_14default_configEhN2at4cuda3cub6detail10OpaqueTypeILi8EEEEELb1EPhSC_PSA_SD_mNS0_19identity_decomposerEEEvT1_T2_T3_T4_jPT5_SK_PNS1_23onesweep_lookback_stateET6_jjj,"axG",@progbits,_ZN7rocprim17ROCPRIM_304000_NS6detail25onesweep_iteration_kernelINS1_34wrapped_radix_sort_onesweep_configINS0_14default_configEhN2at4cuda3cub6detail10OpaqueTypeILi8EEEEELb1EPhSC_PSA_SD_mNS0_19identity_decomposerEEEvT1_T2_T3_T4_jPT5_SK_PNS1_23onesweep_lookback_stateET6_jjj,comdat
	.protected	_ZN7rocprim17ROCPRIM_304000_NS6detail25onesweep_iteration_kernelINS1_34wrapped_radix_sort_onesweep_configINS0_14default_configEhN2at4cuda3cub6detail10OpaqueTypeILi8EEEEELb1EPhSC_PSA_SD_mNS0_19identity_decomposerEEEvT1_T2_T3_T4_jPT5_SK_PNS1_23onesweep_lookback_stateET6_jjj ; -- Begin function _ZN7rocprim17ROCPRIM_304000_NS6detail25onesweep_iteration_kernelINS1_34wrapped_radix_sort_onesweep_configINS0_14default_configEhN2at4cuda3cub6detail10OpaqueTypeILi8EEEEELb1EPhSC_PSA_SD_mNS0_19identity_decomposerEEEvT1_T2_T3_T4_jPT5_SK_PNS1_23onesweep_lookback_stateET6_jjj
	.globl	_ZN7rocprim17ROCPRIM_304000_NS6detail25onesweep_iteration_kernelINS1_34wrapped_radix_sort_onesweep_configINS0_14default_configEhN2at4cuda3cub6detail10OpaqueTypeILi8EEEEELb1EPhSC_PSA_SD_mNS0_19identity_decomposerEEEvT1_T2_T3_T4_jPT5_SK_PNS1_23onesweep_lookback_stateET6_jjj
	.p2align	8
	.type	_ZN7rocprim17ROCPRIM_304000_NS6detail25onesweep_iteration_kernelINS1_34wrapped_radix_sort_onesweep_configINS0_14default_configEhN2at4cuda3cub6detail10OpaqueTypeILi8EEEEELb1EPhSC_PSA_SD_mNS0_19identity_decomposerEEEvT1_T2_T3_T4_jPT5_SK_PNS1_23onesweep_lookback_stateET6_jjj,@function
_ZN7rocprim17ROCPRIM_304000_NS6detail25onesweep_iteration_kernelINS1_34wrapped_radix_sort_onesweep_configINS0_14default_configEhN2at4cuda3cub6detail10OpaqueTypeILi8EEEEELb1EPhSC_PSA_SD_mNS0_19identity_decomposerEEEvT1_T2_T3_T4_jPT5_SK_PNS1_23onesweep_lookback_stateET6_jjj: ; @_ZN7rocprim17ROCPRIM_304000_NS6detail25onesweep_iteration_kernelINS1_34wrapped_radix_sort_onesweep_configINS0_14default_configEhN2at4cuda3cub6detail10OpaqueTypeILi8EEEEELb1EPhSC_PSA_SD_mNS0_19identity_decomposerEEEvT1_T2_T3_T4_jPT5_SK_PNS1_23onesweep_lookback_stateET6_jjj
; %bb.0:
	s_load_dwordx4 s[44:47], s[0:1], 0x44
	s_load_dwordx8 s[36:43], s[0:1], 0x0
	s_load_dwordx4 s[28:31], s[0:1], 0x28
	s_load_dwordx2 s[48:49], s[0:1], 0x38
	s_mov_b64 s[4:5], -1
	s_waitcnt lgkmcnt(0)
	s_cmp_ge_u32 s2, s46
	s_mul_i32 s34, s2, 0xc00
	v_mbcnt_lo_u32_b32 v1, -1, 0
	s_cbranch_scc0 .LBB15_96
; %bb.1:
	s_load_dword s3, s[0:1], 0x20
	s_mul_i32 s33, s46, 0xfffff400
	v_and_b32_e32 v3, 0x1c0, v0
	v_mbcnt_hi_u32_b32 v6, -1, v1
	v_mul_u32_u24_e32 v4, 6, v3
	s_waitcnt lgkmcnt(0)
	s_add_i32 s33, s33, s3
	s_add_u32 s4, s36, s34
	s_addc_u32 s5, s37, 0
	v_mov_b32_e32 v7, 0
	v_lshl_add_u64 v[8:9], s[4:5], 0, v[6:7]
	v_mov_b32_e32 v5, v7
	v_or_b32_e32 v10, v6, v4
	s_mov_b32 s35, 0
	v_lshl_add_u64 v[8:9], v[8:9], 0, v[4:5]
	v_cmp_gt_u32_e32 vcc, s33, v10
	v_mov_b32_e32 v20, v7
	v_mov_b32_e32 v16, v7
	;; [unrolled: 1-line block ×3, first 2 shown]
	s_and_saveexec_b64 s[4:5], vcc
	s_cbranch_execz .LBB15_3
; %bb.2:
	global_load_ubyte v5, v[8:9], off
	v_mov_b32_e32 v20, v7
	v_mov_b32_e32 v16, v7
	;; [unrolled: 1-line block ×3, first 2 shown]
.LBB15_3:
	s_or_b64 exec, exec, s[4:5]
	v_add_u32_e32 v2, 64, v10
	v_cmp_gt_u32_e64 s[26:27], s33, v2
	v_mov_b32_e32 v15, v7
	s_and_saveexec_b64 s[4:5], s[26:27]
	s_cbranch_execz .LBB15_5
; %bb.4:
	global_load_ubyte v15, v[8:9], off offset:64
.LBB15_5:
	s_or_b64 exec, exec, s[4:5]
	v_add_u32_e32 v2, 0x80, v10
	v_cmp_gt_u32_e64 s[4:5], s33, v2
	s_and_saveexec_b64 s[6:7], s[4:5]
	s_cbranch_execz .LBB15_7
; %bb.6:
	global_load_ubyte v7, v[8:9], off offset:128
.LBB15_7:
	s_or_b64 exec, exec, s[6:7]
	v_add_u32_e32 v2, 0xc0, v10
	v_cmp_gt_u32_e64 s[6:7], s33, v2
	;; [unrolled: 8-line block ×3, first 2 shown]
	s_and_saveexec_b64 s[10:11], s[8:9]
	s_cbranch_execz .LBB15_11
; %bb.10:
	global_load_ubyte v16, v[8:9], off offset:256
.LBB15_11:
	s_or_b64 exec, exec, s[10:11]
	v_add_u32_e32 v10, 0x140, v10
	v_and_b32_e32 v2, 0x3ff, v0
	v_cmp_gt_u32_e64 s[10:11], s33, v10
	s_and_saveexec_b64 s[12:13], s[10:11]
	s_cbranch_execz .LBB15_13
; %bb.12:
	global_load_ubyte v13, v[8:9], off offset:320
.LBB15_13:
	s_or_b64 exec, exec, s[12:13]
	s_load_dword s12, s[0:1], 0x5c
	s_load_dword s3, s[0:1], 0x50
	s_add_u32 s13, s0, 0x50
	s_addc_u32 s14, s1, 0
	v_mov_b32_e32 v9, 0
	s_waitcnt lgkmcnt(0)
	s_lshr_b32 s15, s12, 16
	s_cmp_lt_u32 s2, s3
	s_cselect_b32 s12, 12, 18
	s_add_u32 s12, s13, s12
	s_addc_u32 s13, s14, 0
	global_load_ushort v14, v9, s[12:13]
	s_waitcnt vmcnt(1)
	v_xor_b32_e32 v5, -1, v5
	v_lshrrev_b32_sdwa v17, s44, v5 dst_sel:DWORD dst_unused:UNUSED_PAD src0_sel:DWORD src1_sel:BYTE_0
	s_lshl_b32 s12, -1, s45
	v_bfe_u32 v8, v0, 10, 10
	v_bfe_u32 v11, v0, 20, 10
	v_bitop3_b32 v17, v17, s12, v17 bitop3:0x30
	v_mad_u32_u24 v21, v11, s15, v8
	v_and_b32_e32 v8, 1, v17
	v_lshlrev_b32_e32 v11, 30, v17
	v_mov_b32_e32 v10, v9
	v_mov_b32_e32 v22, v9
	s_not_b32 s50, s12
	v_lshlrev_b32_e32 v19, 29, v17
	v_lshlrev_b32_e32 v23, 28, v17
	v_lshl_add_u64 v[32:33], v[8:9], 0, -1
	v_cmp_ne_u32_e64 s[12:13], 0, v8
	v_not_b32_e32 v8, v11
	v_mov_b32_e32 v18, v9
	v_mov_b32_e32 v24, v9
	v_lshlrev_b32_e32 v25, 27, v17
	v_cmp_gt_i64_e64 s[14:15], 0, v[10:11]
	v_not_b32_e32 v10, v19
	v_cmp_gt_i64_e64 s[18:19], 0, v[22:23]
	v_xor_b32_e32 v22, s13, v33
	v_ashrrev_i32_e32 v8, 31, v8
	v_cmp_gt_i64_e64 s[16:17], 0, v[18:19]
	v_not_b32_e32 v11, v23
	v_cmp_gt_i64_e64 s[20:21], 0, v[24:25]
	v_xor_b32_e32 v23, s12, v32
	v_ashrrev_i32_e32 v10, 31, v10
	v_and_b32_e32 v22, exec_hi, v22
	v_xor_b32_e32 v24, s15, v8
	v_mov_b32_e32 v26, v9
	v_mul_u32_u24_e32 v34, 36, v17
	v_lshlrev_b32_e32 v27, 26, v17
	v_lshlrev_b32_e32 v29, 25, v17
	;; [unrolled: 1-line block ×3, first 2 shown]
	v_not_b32_e32 v17, v25
	v_ashrrev_i32_e32 v11, 31, v11
	v_and_b32_e32 v23, exec_lo, v23
	v_xor_b32_e32 v8, s14, v8
	v_xor_b32_e32 v25, s17, v10
	v_and_b32_e32 v22, v22, v24
	v_cmp_gt_i64_e64 s[22:23], 0, v[26:27]
	v_not_b32_e32 v18, v27
	v_ashrrev_i32_e32 v17, 31, v17
	v_xor_b32_e32 v10, s16, v10
	v_xor_b32_e32 v26, s19, v11
	v_and_b32_e32 v8, v23, v8
	v_and_b32_e32 v22, v22, v25
	v_mov_b32_e32 v28, v9
	v_not_b32_e32 v19, v29
	v_ashrrev_i32_e32 v18, 31, v18
	v_xor_b32_e32 v27, s21, v17
	v_and_b32_e32 v8, v8, v10
	v_and_b32_e32 v10, v22, v26
	v_cmp_gt_i64_e64 s[24:25], 0, v[28:29]
	v_ashrrev_i32_e32 v19, 31, v19
	v_xor_b32_e32 v11, s18, v11
	v_xor_b32_e32 v28, s23, v18
	v_and_b32_e32 v10, v10, v27
	v_xor_b32_e32 v17, s20, v17
	v_xor_b32_e32 v29, s25, v19
	v_and_b32_e32 v8, v8, v11
	v_and_b32_e32 v10, v10, v28
	;; [unrolled: 1-line block ×4, first 2 shown]
	v_xor_b32_e32 v18, s22, v18
	v_mov_b32_e32 v30, v9
	v_xor_b32_e32 v19, s24, v19
	v_and_b32_e32 v8, v8, v18
	v_and_b32_e32 v8, v8, v19
	v_mul_u32_u24_e32 v12, 20, v2
	ds_write2_b32 v12, v9, v9 offset0:8 offset1:9
	ds_write2_b32 v12, v9, v9 offset0:10 offset1:11
	ds_write_b32 v12, v9 offset:48
	s_waitcnt lgkmcnt(0)
	s_barrier
	s_waitcnt vmcnt(0)
	; wave barrier
	v_mad_u64_u32 v[10:11], s[12:13], v21, v14, v[2:3]
	v_lshrrev_b32_e32 v10, 4, v10
	v_and_b32_e32 v22, 0xffffffc, v10
	v_not_b32_e32 v10, v31
	v_cmp_gt_i64_e64 s[12:13], 0, v[30:31]
	v_ashrrev_i32_e32 v10, 31, v10
	v_add_u32_e32 v18, v22, v34
	v_xor_b32_e32 v11, s13, v10
	v_xor_b32_e32 v10, s12, v10
	v_and_b32_e32 v10, v8, v10
	v_and_b32_e32 v11, v17, v11
	v_mbcnt_lo_u32_b32 v8, v10, 0
	v_mbcnt_hi_u32_b32 v14, v11, v8
	v_cmp_eq_u32_e64 s[12:13], 0, v14
	v_cmp_ne_u64_e64 s[14:15], 0, v[10:11]
	s_and_b64 s[14:15], s[14:15], s[12:13]
	s_and_saveexec_b64 s[12:13], s[14:15]
; %bb.14:
	v_bcnt_u32_b32 v8, v10, 0
	v_bcnt_u32_b32 v8, v11, v8
	ds_write_b32 v18, v8 offset:32
; %bb.15:
	s_or_b64 exec, exec, s[12:13]
	v_xor_b32_e32 v15, -1, v15
	v_lshrrev_b32_sdwa v8, s44, v15 dst_sel:DWORD dst_unused:UNUSED_PAD src0_sel:DWORD src1_sel:BYTE_0
	v_and_b32_e32 v19, s50, v8
	v_mad_u32_u24 v8, v19, 36, v22
	; wave barrier
	ds_read_b32 v17, v8 offset:32
	v_and_b32_e32 v8, 1, v19
	v_lshl_add_u64 v[10:11], v[8:9], 0, -1
	v_cmp_ne_u32_e64 s[12:13], 0, v8
	v_mul_u32_u24_e32 v21, 36, v19
	s_nop 0
	v_xor_b32_e32 v10, s12, v10
	v_xor_b32_e32 v8, s13, v11
	v_and_b32_e32 v23, exec_lo, v10
	v_lshlrev_b32_e32 v11, 30, v19
	v_mov_b32_e32 v10, v9
	v_cmp_gt_i64_e64 s[12:13], 0, v[10:11]
	v_not_b32_e32 v10, v11
	v_ashrrev_i32_e32 v10, 31, v10
	v_and_b32_e32 v8, exec_hi, v8
	v_xor_b32_e32 v11, s13, v10
	v_xor_b32_e32 v10, s12, v10
	v_and_b32_e32 v8, v8, v11
	v_and_b32_e32 v23, v23, v10
	v_lshlrev_b32_e32 v11, 29, v19
	v_mov_b32_e32 v10, v9
	v_cmp_gt_i64_e64 s[12:13], 0, v[10:11]
	v_not_b32_e32 v10, v11
	v_ashrrev_i32_e32 v10, 31, v10
	v_xor_b32_e32 v11, s13, v10
	v_xor_b32_e32 v10, s12, v10
	v_and_b32_e32 v8, v8, v11
	v_and_b32_e32 v23, v23, v10
	v_lshlrev_b32_e32 v11, 28, v19
	v_mov_b32_e32 v10, v9
	v_cmp_gt_i64_e64 s[12:13], 0, v[10:11]
	v_not_b32_e32 v10, v11
	v_ashrrev_i32_e32 v10, 31, v10
	;; [unrolled: 9-line block ×5, first 2 shown]
	v_xor_b32_e32 v11, s13, v10
	v_xor_b32_e32 v10, s12, v10
	v_and_b32_e32 v8, v8, v11
	v_lshlrev_b32_e32 v11, 24, v19
	v_and_b32_e32 v23, v23, v10
	v_mov_b32_e32 v10, v9
	v_not_b32_e32 v9, v11
	v_cmp_gt_i64_e64 s[12:13], 0, v[10:11]
	v_ashrrev_i32_e32 v9, 31, v9
	; wave barrier
	s_nop 0
	v_xor_b32_e32 v10, s13, v9
	v_xor_b32_e32 v11, s12, v9
	v_and_b32_e32 v9, v8, v10
	v_and_b32_e32 v8, v23, v11
	v_mbcnt_lo_u32_b32 v10, v8, 0
	v_mbcnt_hi_u32_b32 v19, v9, v10
	v_cmp_eq_u32_e64 s[12:13], 0, v19
	v_cmp_ne_u64_e64 s[14:15], 0, v[8:9]
	s_and_b64 s[14:15], s[14:15], s[12:13]
	v_add_u32_e32 v23, v22, v21
	s_and_saveexec_b64 s[12:13], s[14:15]
	s_cbranch_execz .LBB15_17
; %bb.16:
	v_bcnt_u32_b32 v8, v8, 0
	v_bcnt_u32_b32 v8, v9, v8
	s_waitcnt lgkmcnt(0)
	v_add_u32_e32 v8, v17, v8
	ds_write_b32 v23, v8 offset:32
.LBB15_17:
	s_or_b64 exec, exec, s[12:13]
	v_xor_b32_e32 v7, -1, v7
	v_lshrrev_b32_sdwa v8, s44, v7 dst_sel:DWORD dst_unused:UNUSED_PAD src0_sel:DWORD src1_sel:BYTE_0
	v_and_b32_e32 v24, s50, v8
	v_mad_u32_u24 v8, v24, 36, v22
	; wave barrier
	ds_read_b32 v21, v8 offset:32
	v_and_b32_e32 v8, 1, v24
	v_mov_b32_e32 v9, 0
	v_lshl_add_u64 v[10:11], v[8:9], 0, -1
	v_cmp_ne_u32_e64 s[12:13], 0, v8
	v_mul_u32_u24_e32 v25, 36, v24
	s_nop 0
	v_xor_b32_e32 v10, s12, v10
	v_xor_b32_e32 v8, s13, v11
	v_and_b32_e32 v26, exec_lo, v10
	v_lshlrev_b32_e32 v11, 30, v24
	v_mov_b32_e32 v10, v9
	v_cmp_gt_i64_e64 s[12:13], 0, v[10:11]
	v_not_b32_e32 v10, v11
	v_ashrrev_i32_e32 v10, 31, v10
	v_and_b32_e32 v8, exec_hi, v8
	v_xor_b32_e32 v11, s13, v10
	v_xor_b32_e32 v10, s12, v10
	v_and_b32_e32 v8, v8, v11
	v_and_b32_e32 v26, v26, v10
	v_lshlrev_b32_e32 v11, 29, v24
	v_mov_b32_e32 v10, v9
	v_cmp_gt_i64_e64 s[12:13], 0, v[10:11]
	v_not_b32_e32 v10, v11
	v_ashrrev_i32_e32 v10, 31, v10
	v_xor_b32_e32 v11, s13, v10
	v_xor_b32_e32 v10, s12, v10
	v_and_b32_e32 v8, v8, v11
	v_and_b32_e32 v26, v26, v10
	v_lshlrev_b32_e32 v11, 28, v24
	v_mov_b32_e32 v10, v9
	v_cmp_gt_i64_e64 s[12:13], 0, v[10:11]
	v_not_b32_e32 v10, v11
	v_ashrrev_i32_e32 v10, 31, v10
	v_xor_b32_e32 v11, s13, v10
	v_xor_b32_e32 v10, s12, v10
	v_and_b32_e32 v8, v8, v11
	v_and_b32_e32 v26, v26, v10
	v_lshlrev_b32_e32 v11, 27, v24
	v_mov_b32_e32 v10, v9
	v_cmp_gt_i64_e64 s[12:13], 0, v[10:11]
	v_not_b32_e32 v10, v11
	v_ashrrev_i32_e32 v10, 31, v10
	v_xor_b32_e32 v11, s13, v10
	v_xor_b32_e32 v10, s12, v10
	v_and_b32_e32 v8, v8, v11
	v_and_b32_e32 v26, v26, v10
	v_lshlrev_b32_e32 v11, 26, v24
	v_mov_b32_e32 v10, v9
	v_cmp_gt_i64_e64 s[12:13], 0, v[10:11]
	v_not_b32_e32 v10, v11
	v_ashrrev_i32_e32 v10, 31, v10
	v_xor_b32_e32 v11, s13, v10
	v_xor_b32_e32 v10, s12, v10
	v_and_b32_e32 v8, v8, v11
	v_and_b32_e32 v26, v26, v10
	v_lshlrev_b32_e32 v11, 25, v24
	v_mov_b32_e32 v10, v9
	v_cmp_gt_i64_e64 s[12:13], 0, v[10:11]
	v_not_b32_e32 v10, v11
	v_ashrrev_i32_e32 v10, 31, v10
	v_xor_b32_e32 v11, s13, v10
	v_xor_b32_e32 v10, s12, v10
	v_and_b32_e32 v8, v8, v11
	v_and_b32_e32 v26, v26, v10
	v_lshlrev_b32_e32 v11, 24, v24
	v_mov_b32_e32 v10, v9
	v_cmp_gt_i64_e64 s[12:13], 0, v[10:11]
	v_not_b32_e32 v10, v11
	v_ashrrev_i32_e32 v10, 31, v10
	v_xor_b32_e32 v11, s13, v10
	v_xor_b32_e32 v10, s12, v10
	v_and_b32_e32 v10, v26, v10
	v_and_b32_e32 v11, v8, v11
	v_mbcnt_lo_u32_b32 v8, v10, 0
	v_mbcnt_hi_u32_b32 v24, v11, v8
	v_cmp_eq_u32_e64 s[12:13], 0, v24
	v_cmp_ne_u64_e64 s[14:15], 0, v[10:11]
	s_and_b64 s[14:15], s[14:15], s[12:13]
	v_add_u32_e32 v26, v22, v25
	; wave barrier
	s_and_saveexec_b64 s[12:13], s[14:15]
	s_cbranch_execz .LBB15_19
; %bb.18:
	v_bcnt_u32_b32 v8, v10, 0
	v_bcnt_u32_b32 v8, v11, v8
	s_waitcnt lgkmcnt(0)
	v_add_u32_e32 v8, v21, v8
	ds_write_b32 v26, v8 offset:32
.LBB15_19:
	s_or_b64 exec, exec, s[12:13]
	v_xor_b32_e32 v20, -1, v20
	v_lshrrev_b32_sdwa v8, s44, v20 dst_sel:DWORD dst_unused:UNUSED_PAD src0_sel:DWORD src1_sel:BYTE_0
	v_and_b32_e32 v27, s50, v8
	v_mad_u32_u24 v8, v27, 36, v22
	; wave barrier
	ds_read_b32 v25, v8 offset:32
	v_and_b32_e32 v8, 1, v27
	v_lshl_add_u64 v[10:11], v[8:9], 0, -1
	v_cmp_ne_u32_e64 s[12:13], 0, v8
	v_mul_u32_u24_e32 v28, 36, v27
	s_nop 0
	v_xor_b32_e32 v10, s12, v10
	v_xor_b32_e32 v8, s13, v11
	v_and_b32_e32 v29, exec_lo, v10
	v_lshlrev_b32_e32 v11, 30, v27
	v_mov_b32_e32 v10, v9
	v_cmp_gt_i64_e64 s[12:13], 0, v[10:11]
	v_not_b32_e32 v10, v11
	v_ashrrev_i32_e32 v10, 31, v10
	v_and_b32_e32 v8, exec_hi, v8
	v_xor_b32_e32 v11, s13, v10
	v_xor_b32_e32 v10, s12, v10
	v_and_b32_e32 v8, v8, v11
	v_and_b32_e32 v29, v29, v10
	v_lshlrev_b32_e32 v11, 29, v27
	v_mov_b32_e32 v10, v9
	v_cmp_gt_i64_e64 s[12:13], 0, v[10:11]
	v_not_b32_e32 v10, v11
	v_ashrrev_i32_e32 v10, 31, v10
	v_xor_b32_e32 v11, s13, v10
	v_xor_b32_e32 v10, s12, v10
	v_and_b32_e32 v8, v8, v11
	v_and_b32_e32 v29, v29, v10
	v_lshlrev_b32_e32 v11, 28, v27
	v_mov_b32_e32 v10, v9
	v_cmp_gt_i64_e64 s[12:13], 0, v[10:11]
	v_not_b32_e32 v10, v11
	v_ashrrev_i32_e32 v10, 31, v10
	;; [unrolled: 9-line block ×5, first 2 shown]
	v_xor_b32_e32 v11, s13, v10
	v_xor_b32_e32 v10, s12, v10
	v_and_b32_e32 v8, v8, v11
	v_lshlrev_b32_e32 v11, 24, v27
	v_and_b32_e32 v29, v29, v10
	v_mov_b32_e32 v10, v9
	v_not_b32_e32 v9, v11
	v_cmp_gt_i64_e64 s[12:13], 0, v[10:11]
	v_ashrrev_i32_e32 v9, 31, v9
	v_add_u32_e32 v27, v22, v28
	v_xor_b32_e32 v10, s13, v9
	v_xor_b32_e32 v11, s12, v9
	v_and_b32_e32 v9, v8, v10
	v_and_b32_e32 v8, v29, v11
	v_mbcnt_lo_u32_b32 v10, v8, 0
	v_mbcnt_hi_u32_b32 v29, v9, v10
	v_cmp_eq_u32_e64 s[12:13], 0, v29
	v_cmp_ne_u64_e64 s[14:15], 0, v[8:9]
	s_and_b64 s[14:15], s[14:15], s[12:13]
	; wave barrier
	s_and_saveexec_b64 s[12:13], s[14:15]
	s_cbranch_execz .LBB15_21
; %bb.20:
	v_bcnt_u32_b32 v8, v8, 0
	v_bcnt_u32_b32 v8, v9, v8
	s_waitcnt lgkmcnt(0)
	v_add_u32_e32 v8, v25, v8
	ds_write_b32 v27, v8 offset:32
.LBB15_21:
	s_or_b64 exec, exec, s[12:13]
	v_xor_b32_e32 v16, -1, v16
	v_lshrrev_b32_sdwa v8, s44, v16 dst_sel:DWORD dst_unused:UNUSED_PAD src0_sel:DWORD src1_sel:BYTE_0
	v_and_b32_e32 v28, s50, v8
	v_mad_u32_u24 v8, v28, 36, v22
	; wave barrier
	ds_read_b32 v30, v8 offset:32
	v_and_b32_e32 v8, 1, v28
	v_mov_b32_e32 v9, 0
	v_lshl_add_u64 v[10:11], v[8:9], 0, -1
	v_cmp_ne_u32_e64 s[12:13], 0, v8
	v_mul_u32_u24_e32 v32, 36, v28
	s_nop 0
	v_xor_b32_e32 v10, s12, v10
	v_xor_b32_e32 v8, s13, v11
	v_and_b32_e32 v31, exec_lo, v10
	v_lshlrev_b32_e32 v11, 30, v28
	v_mov_b32_e32 v10, v9
	v_cmp_gt_i64_e64 s[12:13], 0, v[10:11]
	v_not_b32_e32 v10, v11
	v_ashrrev_i32_e32 v10, 31, v10
	v_and_b32_e32 v8, exec_hi, v8
	v_xor_b32_e32 v11, s13, v10
	v_xor_b32_e32 v10, s12, v10
	v_and_b32_e32 v8, v8, v11
	v_and_b32_e32 v31, v31, v10
	v_lshlrev_b32_e32 v11, 29, v28
	v_mov_b32_e32 v10, v9
	v_cmp_gt_i64_e64 s[12:13], 0, v[10:11]
	v_not_b32_e32 v10, v11
	v_ashrrev_i32_e32 v10, 31, v10
	v_xor_b32_e32 v11, s13, v10
	v_xor_b32_e32 v10, s12, v10
	v_and_b32_e32 v8, v8, v11
	v_and_b32_e32 v31, v31, v10
	v_lshlrev_b32_e32 v11, 28, v28
	v_mov_b32_e32 v10, v9
	v_cmp_gt_i64_e64 s[12:13], 0, v[10:11]
	v_not_b32_e32 v10, v11
	v_ashrrev_i32_e32 v10, 31, v10
	;; [unrolled: 9-line block ×6, first 2 shown]
	v_xor_b32_e32 v11, s13, v10
	v_xor_b32_e32 v10, s12, v10
	v_and_b32_e32 v10, v31, v10
	v_and_b32_e32 v11, v8, v11
	v_mbcnt_lo_u32_b32 v8, v10, 0
	v_mbcnt_hi_u32_b32 v31, v11, v8
	v_cmp_eq_u32_e64 s[12:13], 0, v31
	v_cmp_ne_u64_e64 s[14:15], 0, v[10:11]
	s_and_b64 s[14:15], s[14:15], s[12:13]
	v_add_u32_e32 v28, v22, v32
	; wave barrier
	s_and_saveexec_b64 s[12:13], s[14:15]
	s_cbranch_execz .LBB15_23
; %bb.22:
	v_bcnt_u32_b32 v8, v10, 0
	v_bcnt_u32_b32 v8, v11, v8
	s_waitcnt lgkmcnt(0)
	v_add_u32_e32 v8, v30, v8
	ds_write_b32 v28, v8 offset:32
.LBB15_23:
	s_or_b64 exec, exec, s[12:13]
	v_xor_b32_e32 v13, -1, v13
	v_lshrrev_b32_sdwa v8, s44, v13 dst_sel:DWORD dst_unused:UNUSED_PAD src0_sel:DWORD src1_sel:BYTE_0
	v_and_b32_e32 v33, s50, v8
	v_mad_u32_u24 v8, v33, 36, v22
	; wave barrier
	ds_read_b32 v32, v8 offset:32
	v_and_b32_e32 v8, 1, v33
	v_lshl_add_u64 v[10:11], v[8:9], 0, -1
	v_cmp_ne_u32_e64 s[12:13], 0, v8
	v_mul_u32_u24_e32 v34, 36, v33
	v_add_u32_e32 v22, v22, v34
	v_xor_b32_e32 v10, s12, v10
	v_xor_b32_e32 v8, s13, v11
	v_and_b32_e32 v35, exec_lo, v10
	v_lshlrev_b32_e32 v11, 30, v33
	v_mov_b32_e32 v10, v9
	v_cmp_gt_i64_e64 s[12:13], 0, v[10:11]
	v_not_b32_e32 v10, v11
	v_ashrrev_i32_e32 v10, 31, v10
	v_and_b32_e32 v8, exec_hi, v8
	v_xor_b32_e32 v11, s13, v10
	v_xor_b32_e32 v10, s12, v10
	v_and_b32_e32 v8, v8, v11
	v_and_b32_e32 v35, v35, v10
	v_lshlrev_b32_e32 v11, 29, v33
	v_mov_b32_e32 v10, v9
	v_cmp_gt_i64_e64 s[12:13], 0, v[10:11]
	v_not_b32_e32 v10, v11
	v_ashrrev_i32_e32 v10, 31, v10
	v_xor_b32_e32 v11, s13, v10
	v_xor_b32_e32 v10, s12, v10
	v_and_b32_e32 v8, v8, v11
	v_and_b32_e32 v35, v35, v10
	v_lshlrev_b32_e32 v11, 28, v33
	v_mov_b32_e32 v10, v9
	v_cmp_gt_i64_e64 s[12:13], 0, v[10:11]
	v_not_b32_e32 v10, v11
	v_ashrrev_i32_e32 v10, 31, v10
	;; [unrolled: 9-line block ×5, first 2 shown]
	v_xor_b32_e32 v11, s13, v10
	v_xor_b32_e32 v10, s12, v10
	v_and_b32_e32 v8, v8, v11
	v_lshlrev_b32_e32 v11, 24, v33
	v_and_b32_e32 v35, v35, v10
	v_mov_b32_e32 v10, v9
	v_not_b32_e32 v9, v11
	v_cmp_gt_i64_e64 s[12:13], 0, v[10:11]
	v_ashrrev_i32_e32 v9, 31, v9
	s_nop 0
	v_xor_b32_e32 v10, s13, v9
	v_xor_b32_e32 v11, s12, v9
	v_and_b32_e32 v9, v8, v10
	v_and_b32_e32 v8, v35, v11
	v_mbcnt_lo_u32_b32 v10, v8, 0
	v_mbcnt_hi_u32_b32 v33, v9, v10
	v_cmp_eq_u32_e64 s[12:13], 0, v33
	v_cmp_ne_u64_e64 s[14:15], 0, v[8:9]
	s_and_b64 s[14:15], s[14:15], s[12:13]
	; wave barrier
	s_and_saveexec_b64 s[12:13], s[14:15]
	s_cbranch_execz .LBB15_25
; %bb.24:
	v_bcnt_u32_b32 v8, v8, 0
	v_bcnt_u32_b32 v8, v9, v8
	s_waitcnt lgkmcnt(0)
	v_add_u32_e32 v8, v32, v8
	ds_write_b32 v22, v8 offset:32
.LBB15_25:
	s_or_b64 exec, exec, s[12:13]
	; wave barrier
	s_waitcnt lgkmcnt(0)
	s_barrier
	ds_read2_b32 v[10:11], v12 offset0:8 offset1:9
	ds_read2_b32 v[8:9], v12 offset0:10 offset1:11
	ds_read_b32 v34, v12 offset:48
	v_min_u32_e32 v3, 0x1c0, v3
	v_or_b32_e32 v3, 63, v3
	s_waitcnt lgkmcnt(1)
	v_add3_u32 v35, v11, v10, v8
	s_waitcnt lgkmcnt(0)
	v_add3_u32 v34, v35, v9, v34
	v_and_b32_e32 v35, 15, v6
	v_cmp_ne_u32_e64 s[12:13], 0, v35
	v_mov_b32_dpp v36, v34 row_shr:1 row_mask:0xf bank_mask:0xf
	s_nop 0
	v_cndmask_b32_e64 v36, 0, v36, s[12:13]
	v_add_u32_e32 v34, v36, v34
	v_cmp_lt_u32_e64 s[12:13], 1, v35
	s_nop 0
	v_mov_b32_dpp v36, v34 row_shr:2 row_mask:0xf bank_mask:0xf
	v_cndmask_b32_e64 v36, 0, v36, s[12:13]
	v_add_u32_e32 v34, v34, v36
	v_cmp_lt_u32_e64 s[12:13], 3, v35
	s_nop 0
	v_mov_b32_dpp v36, v34 row_shr:4 row_mask:0xf bank_mask:0xf
	;; [unrolled: 5-line block ×3, first 2 shown]
	v_cndmask_b32_e64 v35, 0, v36, s[12:13]
	v_add_u32_e32 v34, v34, v35
	v_bfe_i32 v36, v6, 4, 1
	v_cmp_lt_u32_e64 s[12:13], 31, v6
	v_mov_b32_dpp v35, v34 row_bcast:15 row_mask:0xf bank_mask:0xf
	v_and_b32_e32 v35, v36, v35
	v_add_u32_e32 v34, v34, v35
	s_nop 1
	v_mov_b32_dpp v35, v34 row_bcast:31 row_mask:0xf bank_mask:0xf
	v_cndmask_b32_e64 v35, 0, v35, s[12:13]
	v_add_u32_e32 v34, v34, v35
	v_lshrrev_b32_e32 v35, 6, v2
	v_cmp_eq_u32_e64 s[12:13], v2, v3
	s_and_saveexec_b64 s[14:15], s[12:13]
; %bb.26:
	v_lshlrev_b32_e32 v3, 2, v35
	ds_write_b32 v3, v34
; %bb.27:
	s_or_b64 exec, exec, s[14:15]
	v_cmp_gt_u32_e64 s[12:13], 8, v2
	s_waitcnt lgkmcnt(0)
	s_barrier
	s_and_saveexec_b64 s[14:15], s[12:13]
	s_cbranch_execz .LBB15_29
; %bb.28:
	v_lshlrev_b32_e32 v3, 2, v2
	ds_read_b32 v36, v3
	v_and_b32_e32 v37, 7, v6
	v_cmp_ne_u32_e64 s[12:13], 0, v37
	s_waitcnt lgkmcnt(0)
	v_mov_b32_dpp v38, v36 row_shr:1 row_mask:0xf bank_mask:0xf
	v_cndmask_b32_e64 v38, 0, v38, s[12:13]
	v_add_u32_e32 v36, v38, v36
	v_cmp_lt_u32_e64 s[12:13], 1, v37
	s_nop 0
	v_mov_b32_dpp v38, v36 row_shr:2 row_mask:0xf bank_mask:0xf
	v_cndmask_b32_e64 v38, 0, v38, s[12:13]
	v_add_u32_e32 v36, v36, v38
	v_cmp_lt_u32_e64 s[12:13], 3, v37
	s_nop 0
	v_mov_b32_dpp v38, v36 row_shr:4 row_mask:0xf bank_mask:0xf
	v_cndmask_b32_e64 v37, 0, v38, s[12:13]
	v_add_u32_e32 v36, v36, v37
	ds_write_b32 v3, v36
.LBB15_29:
	s_or_b64 exec, exec, s[14:15]
	v_cmp_lt_u32_e64 s[12:13], 63, v2
	v_mov_b32_e32 v3, 0
	s_waitcnt lgkmcnt(0)
	s_barrier
	s_and_saveexec_b64 s[14:15], s[12:13]
; %bb.30:
	v_lshl_add_u32 v3, v35, 2, -4
	ds_read_b32 v3, v3
; %bb.31:
	s_or_b64 exec, exec, s[14:15]
	v_add_u32_e32 v35, -1, v6
	v_and_b32_e32 v36, 64, v6
	v_cmp_lt_i32_e64 s[12:13], v35, v36
	s_waitcnt lgkmcnt(0)
	v_add_u32_e32 v34, v3, v34
	s_movk_i32 s16, 0x100
	v_cndmask_b32_e64 v35, v35, v6, s[12:13]
	v_lshlrev_b32_e32 v35, 2, v35
	ds_bpermute_b32 v34, v35, v34
	v_cmp_eq_u32_e64 s[12:13], 0, v6
	v_cmp_gt_u32_e64 s[14:15], s16, v2
	s_waitcnt lgkmcnt(0)
	v_cndmask_b32_e64 v3, v34, v3, s[12:13]
	v_cmp_ne_u32_e64 s[12:13], 0, v2
	s_nop 1
	v_cndmask_b32_e64 v3, 0, v3, s[12:13]
	v_add_u32_e32 v10, v3, v10
	v_add_u32_e32 v11, v10, v11
	;; [unrolled: 1-line block ×4, first 2 shown]
	ds_write2_b32 v12, v3, v10 offset0:8 offset1:9
	ds_write2_b32 v12, v11, v8 offset0:10 offset1:11
	ds_write_b32 v12, v9 offset:48
	s_waitcnt lgkmcnt(0)
	s_barrier
	ds_read_b32 v3, v18 offset:32
	ds_read_b32 v11, v23 offset:32
	;; [unrolled: 1-line block ×6, first 2 shown]
	s_movk_i32 s12, 0xff
	v_cmp_lt_u32_e64 s[12:13], s12, v2
	v_mov_b64_e32 v[8:9], 0
                                        ; implicit-def: $vgpr10
	s_and_saveexec_b64 s[18:19], s[14:15]
	s_cbranch_execz .LBB15_35
; %bb.32:
	v_mul_u32_u24_e32 v8, 36, v2
	ds_read_b32 v8, v8 offset:32
	v_add_u32_e32 v10, 1, v2
	v_cmp_ne_u32_e64 s[16:17], s16, v10
	v_mov_b32_e32 v9, 0xc00
	s_and_saveexec_b64 s[20:21], s[16:17]
; %bb.33:
	v_mul_u32_u24_e32 v9, 36, v10
	ds_read_b32 v9, v9 offset:32
; %bb.34:
	s_or_b64 exec, exec, s[20:21]
	s_waitcnt lgkmcnt(0)
	v_sub_u32_e32 v10, v9, v8
	v_mov_b32_e32 v9, 0
.LBB15_35:
	s_or_b64 exec, exec, s[18:19]
	s_waitcnt lgkmcnt(5)
	v_add_u32_e32 v28, v3, v14
	s_waitcnt lgkmcnt(4)
	v_add3_u32 v27, v19, v17, v11
	s_waitcnt lgkmcnt(3)
	v_add3_u32 v26, v24, v21, v12
	;; [unrolled: 2-line block ×5, first 2 shown]
	s_barrier
	ds_write_b8 v28, v5 offset:2048
	ds_write_b8 v27, v15 offset:2048
	ds_write_b8 v26, v7 offset:2048
	ds_write_b8 v24, v20 offset:2048
	ds_write_b8 v23, v16 offset:2048
	ds_write_b8 v22, v13 offset:2048
	v_mov_b32_e32 v13, 0
	v_mov_b32_e32 v3, v13
	v_lshlrev_b32_e32 v11, 3, v2
	s_waitcnt lgkmcnt(0)
	s_barrier
	s_and_saveexec_b64 s[16:17], s[14:15]
	s_cbranch_execz .LBB15_45
; %bb.36:
	v_lshl_add_u32 v12, s2, 8, v2
	v_lshl_add_u64 v[14:15], v[12:13], 2, s[48:49]
	v_or_b32_e32 v5, 2.0, v10
	global_store_dword v[14:15], v5, off sc1
	s_mov_b64 s[18:19], 0
	s_brev_b32 s24, -4
	s_mov_b32 s25, s2
	v_mov_b32_e32 v5, 0
                                        ; implicit-def: $sgpr14_sgpr15
	s_branch .LBB15_39
.LBB15_37:                              ;   in Loop: Header=BB15_39 Depth=1
	s_or_b64 exec, exec, s[22:23]
.LBB15_38:                              ;   in Loop: Header=BB15_39 Depth=1
	s_or_b64 exec, exec, s[20:21]
	v_and_b32_e32 v12, 0x3fffffff, v7
	v_add_u32_e32 v5, v12, v5
	v_cmp_gt_i32_e64 s[14:15], -2.0, v7
	s_and_b64 s[20:21], exec, s[14:15]
	s_or_b64 s[18:19], s[20:21], s[18:19]
	s_andn2_b64 exec, exec, s[18:19]
	s_cbranch_execz .LBB15_44
.LBB15_39:                              ; =>This Loop Header: Depth=1
                                        ;     Child Loop BB15_42 Depth 2
	s_or_b64 s[14:15], s[14:15], exec
	s_cmp_eq_u32 s25, 0
	s_cbranch_scc1 .LBB15_43
; %bb.40:                               ;   in Loop: Header=BB15_39 Depth=1
	s_add_i32 s25, s25, -1
	v_lshl_or_b32 v12, s25, 8, v2
	v_lshl_add_u64 v[16:17], v[12:13], 2, s[48:49]
	global_load_dword v7, v[16:17], off sc1
	s_waitcnt vmcnt(0)
	v_cmp_gt_u32_e64 s[14:15], 2.0, v7
	s_and_saveexec_b64 s[20:21], s[14:15]
	s_cbranch_execz .LBB15_38
; %bb.41:                               ;   in Loop: Header=BB15_39 Depth=1
	s_mov_b64 s[22:23], 0
.LBB15_42:                              ;   Parent Loop BB15_39 Depth=1
                                        ; =>  This Inner Loop Header: Depth=2
	global_load_dword v7, v[16:17], off sc1
	s_waitcnt vmcnt(0)
	v_cmp_lt_u32_e64 s[14:15], s24, v7
	s_or_b64 s[22:23], s[14:15], s[22:23]
	s_andn2_b64 exec, exec, s[22:23]
	s_cbranch_execnz .LBB15_42
	s_branch .LBB15_37
.LBB15_43:                              ;   in Loop: Header=BB15_39 Depth=1
                                        ; implicit-def: $sgpr25
	s_and_b64 s[20:21], exec, s[14:15]
	s_or_b64 s[18:19], s[20:21], s[18:19]
	s_andn2_b64 exec, exec, s[18:19]
	s_cbranch_execnz .LBB15_39
.LBB15_44:
	s_or_b64 exec, exec, s[18:19]
	v_add_u32_e32 v12, v5, v10
	v_or_b32_e32 v12, 0x80000000, v12
	v_lshlrev_b32_e32 v7, 3, v2
	global_store_dword v[14:15], v12, off sc1
	global_load_dwordx2 v[12:13], v7, s[28:29]
	v_sub_co_u32_e64 v14, s[14:15], v5, v8
	s_nop 1
	v_subb_co_u32_e64 v15, s[14:15], 0, v9, s[14:15]
	s_waitcnt vmcnt(0)
	v_lshl_add_u64 v[12:13], v[14:15], 0, v[12:13]
	ds_write_b64 v11, v[12:13]
.LBB15_45:
	s_or_b64 exec, exec, s[16:17]
	v_cmp_gt_u32_e64 s[14:15], s33, v2
	s_waitcnt lgkmcnt(0)
	s_barrier
	s_and_saveexec_b64 s[16:17], s[14:15]
	s_cbranch_execz .LBB15_47
; %bb.46:
	ds_read_u8 v5, v2 offset:2048
	s_waitcnt lgkmcnt(0)
	v_lshrrev_b32_sdwa v7, s44, v5 dst_sel:DWORD dst_unused:UNUSED_PAD src0_sel:DWORD src1_sel:BYTE_0
	v_and_b32_e32 v7, s50, v7
	v_lshlrev_b32_e32 v7, 3, v7
	ds_read_b64 v[12:13], v7
	v_xor_b32_e32 v5, -1, v5
	s_waitcnt lgkmcnt(0)
	v_lshl_add_u64 v[12:13], s[38:39], 0, v[12:13]
	v_lshl_add_u64 v[12:13], v[12:13], 0, v[2:3]
	global_store_byte v[12:13], v5, off
.LBB15_47:
	s_or_b64 exec, exec, s[16:17]
	v_add_u32_e32 v25, 0x200, v2
	v_cmp_gt_u32_e64 s[16:17], s33, v25
	s_and_saveexec_b64 s[18:19], s[16:17]
	s_cbranch_execz .LBB15_49
; %bb.48:
	ds_read_u8 v5, v2 offset:2560
	s_waitcnt lgkmcnt(0)
	v_lshrrev_b32_sdwa v7, s44, v5 dst_sel:DWORD dst_unused:UNUSED_PAD src0_sel:DWORD src1_sel:BYTE_0
	v_and_b32_e32 v7, s50, v7
	v_lshlrev_b32_e32 v7, 3, v7
	ds_read_b64 v[12:13], v7
	v_xor_b32_e32 v5, -1, v5
	s_waitcnt lgkmcnt(0)
	v_lshl_add_u64 v[12:13], s[38:39], 0, v[12:13]
	v_lshl_add_u64 v[12:13], v[12:13], 0, v[2:3]
	global_store_byte v[12:13], v5, off offset:512
.LBB15_49:
	s_or_b64 exec, exec, s[18:19]
	v_or_b32_e32 v29, 0x400, v2
	v_cmp_gt_u32_e64 s[18:19], s33, v29
	s_and_saveexec_b64 s[20:21], s[18:19]
	s_cbranch_execz .LBB15_51
; %bb.50:
	ds_read_u8 v5, v2 offset:3072
	s_waitcnt lgkmcnt(0)
	v_lshrrev_b32_sdwa v7, s44, v5 dst_sel:DWORD dst_unused:UNUSED_PAD src0_sel:DWORD src1_sel:BYTE_0
	v_and_b32_e32 v7, s50, v7
	v_lshlrev_b32_e32 v7, 3, v7
	ds_read_b64 v[12:13], v7
	v_xor_b32_e32 v5, -1, v5
	s_waitcnt lgkmcnt(0)
	v_lshl_add_u64 v[12:13], s[38:39], 0, v[12:13]
	v_lshl_add_u64 v[12:13], v[12:13], 0, v[2:3]
	global_store_byte v[12:13], v5, off offset:1024
.LBB15_51:
	s_or_b64 exec, exec, s[20:21]
	v_add_u32_e32 v30, 0x600, v2
	v_cmp_gt_u32_e64 s[20:21], s33, v30
	s_and_saveexec_b64 s[22:23], s[20:21]
	s_cbranch_execz .LBB15_53
; %bb.52:
	ds_read_u8 v5, v2 offset:3584
	s_waitcnt lgkmcnt(0)
	v_lshrrev_b32_sdwa v7, s44, v5 dst_sel:DWORD dst_unused:UNUSED_PAD src0_sel:DWORD src1_sel:BYTE_0
	v_and_b32_e32 v7, s50, v7
	v_lshlrev_b32_e32 v7, 3, v7
	ds_read_b64 v[12:13], v7
	v_xor_b32_e32 v5, -1, v5
	s_waitcnt lgkmcnt(0)
	v_lshl_add_u64 v[12:13], s[38:39], 0, v[12:13]
	v_lshl_add_u64 v[12:13], v[12:13], 0, v[2:3]
	global_store_byte v[12:13], v5, off offset:1536
.LBB15_53:
	s_or_b64 exec, exec, s[22:23]
	v_or_b32_e32 v31, 0x800, v2
	v_cmp_gt_u32_e64 s[22:23], s33, v31
	s_and_saveexec_b64 s[24:25], s[22:23]
	s_cbranch_execz .LBB15_55
; %bb.54:
	ds_read_u8 v5, v2 offset:4096
	s_waitcnt lgkmcnt(0)
	v_lshrrev_b32_sdwa v7, s44, v5 dst_sel:DWORD dst_unused:UNUSED_PAD src0_sel:DWORD src1_sel:BYTE_0
	v_and_b32_e32 v7, s50, v7
	v_lshlrev_b32_e32 v7, 3, v7
	ds_read_b64 v[12:13], v7
	v_xor_b32_e32 v5, -1, v5
	s_waitcnt lgkmcnt(0)
	v_lshl_add_u64 v[12:13], s[38:39], 0, v[12:13]
	v_lshl_add_u64 v[12:13], v[12:13], 0, v[2:3]
	global_store_byte v[12:13], v5, off offset:2048
.LBB15_55:
	s_or_b64 exec, exec, s[24:25]
	v_add_u32_e32 v32, 0xa00, v2
	v_cmp_gt_u32_e64 s[24:25], s33, v32
	s_and_saveexec_b64 s[46:47], s[24:25]
	s_cbranch_execz .LBB15_57
; %bb.56:
	ds_read_u8 v5, v2 offset:4608
	s_waitcnt lgkmcnt(0)
	v_lshrrev_b32_sdwa v7, s44, v5 dst_sel:DWORD dst_unused:UNUSED_PAD src0_sel:DWORD src1_sel:BYTE_0
	v_and_b32_e32 v7, s50, v7
	v_lshlrev_b32_e32 v7, 3, v7
	ds_read_b64 v[12:13], v7
	v_xor_b32_e32 v5, -1, v5
	s_waitcnt lgkmcnt(0)
	v_lshl_add_u64 v[12:13], s[38:39], 0, v[12:13]
	v_lshl_add_u64 v[12:13], v[12:13], 0, v[2:3]
	global_store_byte v[12:13], v5, off offset:2560
.LBB15_57:
	s_or_b64 exec, exec, s[46:47]
	s_lshl_b64 s[46:47], s[34:35], 3
	s_add_u32 s46, s40, s46
	s_addc_u32 s47, s41, s47
	v_lshlrev_b32_e32 v6, 3, v6
	v_mov_b32_e32 v7, 0
	v_lshl_add_u64 v[12:13], s[46:47], 0, v[6:7]
	v_lshlrev_b32_e32 v6, 3, v4
	v_lshl_add_u64 v[20:21], v[12:13], 0, v[6:7]
                                        ; implicit-def: $vgpr4_vgpr5
	s_and_saveexec_b64 s[46:47], vcc
	s_xor_b64 s[46:47], exec, s[46:47]
	s_cbranch_execz .LBB15_63
; %bb.58:
	global_load_dwordx2 v[4:5], v[20:21], off
	s_or_b64 exec, exec, s[46:47]
                                        ; implicit-def: $vgpr6_vgpr7
	s_and_saveexec_b64 s[46:47], s[26:27]
	s_cbranch_execnz .LBB15_64
.LBB15_59:
	s_or_b64 exec, exec, s[46:47]
                                        ; implicit-def: $vgpr12_vgpr13
	s_and_saveexec_b64 s[26:27], s[4:5]
	s_cbranch_execz .LBB15_65
.LBB15_60:
	global_load_dwordx2 v[12:13], v[20:21], off offset:1024
	s_or_b64 exec, exec, s[26:27]
                                        ; implicit-def: $vgpr14_vgpr15
	s_and_saveexec_b64 s[4:5], s[6:7]
	s_cbranch_execnz .LBB15_66
.LBB15_61:
	s_or_b64 exec, exec, s[4:5]
                                        ; implicit-def: $vgpr16_vgpr17
	s_and_saveexec_b64 s[4:5], s[8:9]
	s_cbranch_execz .LBB15_67
.LBB15_62:
	global_load_dwordx2 v[16:17], v[20:21], off offset:2048
	s_or_b64 exec, exec, s[4:5]
                                        ; implicit-def: $vgpr18_vgpr19
	s_and_saveexec_b64 s[4:5], s[10:11]
	s_cbranch_execnz .LBB15_68
	s_branch .LBB15_69
.LBB15_63:
	s_or_b64 exec, exec, s[46:47]
                                        ; implicit-def: $vgpr6_vgpr7
	s_and_saveexec_b64 s[46:47], s[26:27]
	s_cbranch_execz .LBB15_59
.LBB15_64:
	global_load_dwordx2 v[6:7], v[20:21], off offset:512
	s_or_b64 exec, exec, s[46:47]
                                        ; implicit-def: $vgpr12_vgpr13
	s_and_saveexec_b64 s[26:27], s[4:5]
	s_cbranch_execnz .LBB15_60
.LBB15_65:
	s_or_b64 exec, exec, s[26:27]
                                        ; implicit-def: $vgpr14_vgpr15
	s_and_saveexec_b64 s[4:5], s[6:7]
	s_cbranch_execz .LBB15_61
.LBB15_66:
	global_load_dwordx2 v[14:15], v[20:21], off offset:1536
	s_or_b64 exec, exec, s[4:5]
                                        ; implicit-def: $vgpr16_vgpr17
	s_and_saveexec_b64 s[4:5], s[8:9]
	s_cbranch_execnz .LBB15_62
.LBB15_67:
	s_or_b64 exec, exec, s[4:5]
                                        ; implicit-def: $vgpr18_vgpr19
	s_and_saveexec_b64 s[4:5], s[10:11]
	s_cbranch_execz .LBB15_69
.LBB15_68:
	global_load_dwordx2 v[18:19], v[20:21], off offset:2560
.LBB15_69:
	s_or_b64 exec, exec, s[4:5]
	v_mov_b32_e32 v34, 0
	v_mov_b32_e32 v3, 0
	s_and_saveexec_b64 s[4:5], s[14:15]
	s_cbranch_execz .LBB15_71
; %bb.70:
	ds_read_u8 v3, v2 offset:2048
	s_waitcnt lgkmcnt(0)
	v_lshrrev_b32_e32 v3, s44, v3
	v_and_b32_e32 v3, s50, v3
.LBB15_71:
	s_or_b64 exec, exec, s[4:5]
	s_and_saveexec_b64 s[4:5], s[16:17]
	s_cbranch_execz .LBB15_73
; %bb.72:
	ds_read_u8 v20, v2 offset:2560
	s_waitcnt lgkmcnt(0)
	v_lshrrev_b32_e32 v20, s44, v20
	v_and_b32_e32 v34, s50, v20
.LBB15_73:
	s_or_b64 exec, exec, s[4:5]
	v_mov_b32_e32 v21, 0
	v_mov_b32_e32 v35, 0
	s_and_saveexec_b64 s[4:5], s[18:19]
	s_cbranch_execz .LBB15_75
; %bb.74:
	ds_read_u8 v20, v2 offset:3072
	s_waitcnt lgkmcnt(0)
	v_lshrrev_b32_e32 v20, s44, v20
	v_and_b32_e32 v35, s50, v20
.LBB15_75:
	s_or_b64 exec, exec, s[4:5]
	s_and_saveexec_b64 s[4:5], s[20:21]
	s_cbranch_execz .LBB15_77
; %bb.76:
	ds_read_u8 v20, v2 offset:3584
	s_waitcnt lgkmcnt(0)
	v_lshrrev_b32_e32 v20, s44, v20
	v_and_b32_e32 v21, s50, v20
.LBB15_77:
	;; [unrolled: 20-line block ×3, first 2 shown]
	s_or_b64 exec, exec, s[4:5]
	v_lshlrev_b32_e32 v28, 3, v28
	s_barrier
	s_waitcnt vmcnt(0)
	ds_write_b64 v28, v[4:5] offset:2048
	v_lshlrev_b32_e32 v4, 3, v27
	ds_write_b64 v4, v[6:7] offset:2048
	v_lshlrev_b32_e32 v4, 3, v26
	;; [unrolled: 2-line block ×5, first 2 shown]
	v_lshlrev_b32_e32 v2, 3, v2
	ds_write_b64 v4, v[18:19] offset:2048
	s_waitcnt lgkmcnt(0)
	s_barrier
	s_and_saveexec_b64 s[4:5], s[14:15]
	s_cbranch_execz .LBB15_87
; %bb.82:
	v_lshlrev_b32_e32 v3, 3, v3
	ds_read_b64 v[4:5], v3
	ds_read_b64 v[6:7], v11 offset:2048
	v_mov_b32_e32 v3, 0
	s_waitcnt lgkmcnt(1)
	v_lshl_add_u64 v[4:5], v[4:5], 3, s[42:43]
	v_lshl_add_u64 v[4:5], v[4:5], 0, v[2:3]
	s_waitcnt lgkmcnt(0)
	global_store_dwordx2 v[4:5], v[6:7], off
	s_or_b64 exec, exec, s[4:5]
	s_and_saveexec_b64 s[4:5], s[16:17]
	s_cbranch_execnz .LBB15_88
.LBB15_83:
	s_or_b64 exec, exec, s[4:5]
	s_and_saveexec_b64 s[4:5], s[18:19]
	s_cbranch_execz .LBB15_89
.LBB15_84:
	v_lshlrev_b32_e32 v3, 3, v35
	ds_read_b64 v[4:5], v3
	ds_read_b64 v[6:7], v11 offset:10240
	v_lshlrev_b32_e32 v12, 3, v29
	v_mov_b32_e32 v13, 0
	s_waitcnt lgkmcnt(1)
	v_lshl_add_u64 v[4:5], v[4:5], 3, s[42:43]
	v_lshl_add_u64 v[4:5], v[4:5], 0, v[12:13]
	s_waitcnt lgkmcnt(0)
	global_store_dwordx2 v[4:5], v[6:7], off
	s_or_b64 exec, exec, s[4:5]
	s_and_saveexec_b64 s[4:5], s[20:21]
	s_cbranch_execnz .LBB15_90
.LBB15_85:
	s_or_b64 exec, exec, s[4:5]
	s_and_saveexec_b64 s[4:5], s[22:23]
	s_cbranch_execz .LBB15_91
.LBB15_86:
	v_lshlrev_b32_e32 v3, 3, v33
	ds_read_b64 v[4:5], v3
	ds_read_b64 v[6:7], v11 offset:18432
	v_lshlrev_b32_e32 v12, 3, v31
	v_mov_b32_e32 v13, 0
	s_waitcnt lgkmcnt(1)
	v_lshl_add_u64 v[4:5], v[4:5], 3, s[42:43]
	v_lshl_add_u64 v[4:5], v[4:5], 0, v[12:13]
	s_waitcnt lgkmcnt(0)
	global_store_dwordx2 v[4:5], v[6:7], off
	s_or_b64 exec, exec, s[4:5]
	s_and_saveexec_b64 s[4:5], s[24:25]
	s_cbranch_execnz .LBB15_92
	s_branch .LBB15_93
.LBB15_87:
	s_or_b64 exec, exec, s[4:5]
	s_and_saveexec_b64 s[4:5], s[16:17]
	s_cbranch_execz .LBB15_83
.LBB15_88:
	v_lshlrev_b32_e32 v3, 3, v34
	ds_read_b64 v[4:5], v3
	ds_read_b64 v[6:7], v11 offset:6144
	v_lshlrev_b32_e32 v12, 3, v25
	v_mov_b32_e32 v13, 0
	s_waitcnt lgkmcnt(1)
	v_lshl_add_u64 v[4:5], v[4:5], 3, s[42:43]
	v_lshl_add_u64 v[4:5], v[4:5], 0, v[12:13]
	s_waitcnt lgkmcnt(0)
	global_store_dwordx2 v[4:5], v[6:7], off
	s_or_b64 exec, exec, s[4:5]
	s_and_saveexec_b64 s[4:5], s[18:19]
	s_cbranch_execnz .LBB15_84
.LBB15_89:
	s_or_b64 exec, exec, s[4:5]
	s_and_saveexec_b64 s[4:5], s[20:21]
	s_cbranch_execz .LBB15_85
.LBB15_90:
	v_lshlrev_b32_e32 v3, 3, v21
	ds_read_b64 v[4:5], v3
	ds_read_b64 v[6:7], v11 offset:14336
	v_lshlrev_b32_e32 v12, 3, v30
	v_mov_b32_e32 v13, 0
	s_waitcnt lgkmcnt(1)
	v_lshl_add_u64 v[4:5], v[4:5], 3, s[42:43]
	v_lshl_add_u64 v[4:5], v[4:5], 0, v[12:13]
	s_waitcnt lgkmcnt(0)
	global_store_dwordx2 v[4:5], v[6:7], off
	s_or_b64 exec, exec, s[4:5]
	s_and_saveexec_b64 s[4:5], s[22:23]
	s_cbranch_execnz .LBB15_86
.LBB15_91:
	s_or_b64 exec, exec, s[4:5]
	s_and_saveexec_b64 s[4:5], s[24:25]
	s_cbranch_execz .LBB15_93
.LBB15_92:
	v_lshlrev_b32_e32 v3, 3, v20
	ds_read_b64 v[4:5], v3
	ds_read_b64 v[6:7], v11 offset:22528
	v_lshlrev_b32_e32 v12, 3, v32
	v_mov_b32_e32 v13, 0
	s_waitcnt lgkmcnt(1)
	v_lshl_add_u64 v[4:5], v[4:5], 3, s[42:43]
	v_lshl_add_u64 v[4:5], v[4:5], 0, v[12:13]
	s_waitcnt lgkmcnt(0)
	global_store_dwordx2 v[4:5], v[6:7], off
.LBB15_93:
	s_or_b64 exec, exec, s[4:5]
	s_add_i32 s3, s3, -1
	s_cmp_eq_u32 s2, s3
	s_cselect_b64 s[4:5], -1, 0
	s_xor_b64 s[6:7], s[12:13], -1
	s_and_b64 s[6:7], s[6:7], s[4:5]
	s_and_saveexec_b64 s[4:5], s[6:7]
	s_cbranch_execz .LBB15_95
; %bb.94:
	ds_read_b64 v[4:5], v11
	v_mov_b32_e32 v11, 0
	v_lshl_add_u64 v[6:7], v[8:9], 0, v[10:11]
	s_waitcnt lgkmcnt(0)
	v_lshl_add_u64 v[4:5], v[6:7], 0, v[4:5]
	global_store_dwordx2 v2, v[4:5], s[30:31]
.LBB15_95:
	s_or_b64 exec, exec, s[4:5]
	s_mov_b64 s[4:5], 0
.LBB15_96:
	s_and_b64 vcc, exec, s[4:5]
	s_cbranch_vccz .LBB15_131
; %bb.97:
	s_add_u32 s4, s36, s34
	s_addc_u32 s5, s37, 0
	v_mbcnt_hi_u32_b32 v6, -1, v1
	v_and_b32_e32 v10, 0x1c0, v0
	v_mov_b32_e32 v7, 0
	v_mul_u32_u24_e32 v4, 6, v10
	v_lshl_add_u64 v[2:3], s[4:5], 0, v[6:7]
	v_mov_b32_e32 v5, v7
	v_lshl_add_u64 v[12:13], v[2:3], 0, v[4:5]
	global_load_ubyte v5, v[12:13], off
	s_load_dword s4, s[0:1], 0x5c
	s_load_dword s3, s[0:1], 0x50
	s_add_u32 s0, s0, 0x50
	s_addc_u32 s1, s1, 0
	v_and_b32_e32 v2, 0x3ff, v0
	s_waitcnt lgkmcnt(0)
	s_lshr_b32 s4, s4, 16
	s_cmp_lt_u32 s2, s3
	s_cselect_b32 s5, 12, 18
	s_add_u32 s0, s0, s5
	s_addc_u32 s1, s1, 0
	global_load_ushort v11, v7, s[0:1]
	v_mul_u32_u24_e32 v3, 20, v2
	ds_write2_b32 v3, v7, v7 offset0:8 offset1:9
	ds_write2_b32 v3, v7, v7 offset0:10 offset1:11
	ds_write_b32 v3, v7 offset:48
	global_load_ubyte v9, v[12:13], off offset:64
	global_load_ubyte v8, v[12:13], off offset:128
	;; [unrolled: 1-line block ×5, first 2 shown]
	v_bfe_u32 v15, v0, 10, 10
	v_bfe_u32 v0, v0, 20, 10
	v_mad_u32_u24 v18, v0, s4, v15
	s_lshl_b32 s0, -1, s45
	v_mov_b32_e32 v1, v7
	v_mov_b32_e32 v14, v7
	;; [unrolled: 1-line block ×4, first 2 shown]
	s_not_b32 s12, s0
	v_mov_b32_e32 v26, v7
	v_mov_b32_e32 v28, v7
	s_mov_b32 s35, 0
	s_waitcnt lgkmcnt(0)
	s_barrier
	s_waitcnt vmcnt(6)
	; wave barrier
	v_xor_b32_e32 v5, 0xff, v5
	v_lshrrev_b32_e32 v0, s44, v5
	v_bitop3_b32 v20, v0, s0, v0 bitop3:0x30
	v_and_b32_e32 v0, 1, v20
	v_lshlrev_b32_e32 v15, 30, v20
	v_lshlrev_b32_e32 v17, 29, v20
	;; [unrolled: 1-line block ×3, first 2 shown]
	v_lshl_add_u64 v[12:13], v[0:1], 0, -1
	v_cmp_ne_u32_e32 vcc, 0, v0
	v_not_b32_e32 v0, v15
	v_not_b32_e32 v1, v17
	v_cmp_gt_i64_e64 s[0:1], 0, v[14:15]
	v_cmp_gt_i64_e64 s[4:5], 0, v[16:17]
	v_cmp_gt_i64_e64 s[6:7], 0, v[22:23]
	v_xor_b32_e32 v13, vcc_hi, v13
	v_xor_b32_e32 v12, vcc_lo, v12
	v_ashrrev_i32_e32 v17, 31, v0
	v_ashrrev_i32_e32 v22, 31, v1
	s_waitcnt vmcnt(5)
	v_mad_u64_u32 v[0:1], s[14:15], v18, v11, v[2:3]
	v_lshlrev_b32_e32 v27, 27, v20
	v_not_b32_e32 v14, v23
	v_and_b32_e32 v1, exec_hi, v13
	v_and_b32_e32 v11, exec_lo, v12
	v_xor_b32_e32 v12, s1, v17
	v_xor_b32_e32 v13, s0, v17
	v_lshlrev_b32_e32 v29, 26, v20
	v_not_b32_e32 v15, v27
	v_ashrrev_i32_e32 v14, 31, v14
	v_xor_b32_e32 v18, s5, v22
	v_xor_b32_e32 v22, s4, v22
	v_lshrrev_b32_e32 v0, 4, v0
	v_and_b32_e32 v1, v1, v12
	v_and_b32_e32 v11, v11, v13
	v_cmp_gt_i64_e64 s[8:9], 0, v[26:27]
	v_not_b32_e32 v16, v29
	v_ashrrev_i32_e32 v15, 31, v15
	v_xor_b32_e32 v23, s7, v14
	v_xor_b32_e32 v14, s6, v14
	v_and_b32_e32 v17, 0xffffffc, v0
	v_and_b32_e32 v0, v1, v18
	;; [unrolled: 1-line block ×3, first 2 shown]
	v_cmp_gt_i64_e64 s[10:11], 0, v[28:29]
	v_xor_b32_e32 v26, s9, v15
	v_xor_b32_e32 v15, s8, v15
	v_and_b32_e32 v0, v0, v23
	v_and_b32_e32 v1, v1, v14
	v_ashrrev_i32_e32 v11, 31, v16
	v_and_b32_e32 v0, v0, v26
	v_and_b32_e32 v1, v1, v15
	v_xor_b32_e32 v12, s11, v11
	v_xor_b32_e32 v11, s10, v11
	v_and_b32_e32 v12, v0, v12
	v_and_b32_e32 v11, v1, v11
	v_lshlrev_b32_e32 v1, 25, v20
	v_mov_b32_e32 v0, v7
	v_cmp_gt_i64_e32 vcc, 0, v[0:1]
	v_not_b32_e32 v0, v1
	v_ashrrev_i32_e32 v0, 31, v0
	v_xor_b32_e32 v1, vcc_hi, v0
	v_xor_b32_e32 v0, vcc_lo, v0
	v_and_b32_e32 v12, v12, v1
	v_and_b32_e32 v11, v11, v0
	v_lshlrev_b32_e32 v1, 24, v20
	v_mov_b32_e32 v0, v7
	v_cmp_gt_i64_e32 vcc, 0, v[0:1]
	v_not_b32_e32 v0, v1
	v_ashrrev_i32_e32 v0, 31, v0
	v_xor_b32_e32 v1, vcc_hi, v0
	v_xor_b32_e32 v0, vcc_lo, v0
	v_and_b32_e32 v0, v11, v0
	v_and_b32_e32 v1, v12, v1
	v_mbcnt_lo_u32_b32 v11, v0, 0
	v_mbcnt_hi_u32_b32 v11, v1, v11
	v_mul_u32_u24_e32 v25, 36, v20
	v_cmp_eq_u32_e32 vcc, 0, v11
	v_cmp_ne_u64_e64 s[0:1], 0, v[0:1]
	s_and_b64 s[4:5], s[0:1], vcc
	v_add_u32_e32 v14, v17, v25
	s_and_saveexec_b64 s[0:1], s[4:5]
; %bb.98:
	v_bcnt_u32_b32 v0, v0, 0
	v_bcnt_u32_b32 v0, v1, v0
	ds_write_b32 v14, v0 offset:32
; %bb.99:
	s_or_b64 exec, exec, s[0:1]
	s_waitcnt vmcnt(4)
	v_xor_b32_e32 v12, -1, v9
	v_lshrrev_b32_sdwa v0, s44, v12 dst_sel:DWORD dst_unused:UNUSED_PAD src0_sel:DWORD src1_sel:BYTE_0
	v_and_b32_e32 v9, s12, v0
	v_mad_u32_u24 v0, v9, 36, v17
	; wave barrier
	ds_read_b32 v13, v0 offset:32
	v_and_b32_e32 v0, 1, v9
	v_mov_b32_e32 v1, v7
	v_lshl_add_u64 v[22:23], v[0:1], 0, -1
	v_cmp_ne_u32_e32 vcc, 0, v0
	v_mul_u32_u24_e32 v15, 36, v9
	s_nop 0
	v_xor_b32_e32 v0, vcc_hi, v23
	v_xor_b32_e32 v1, vcc_lo, v22
	v_and_b32_e32 v16, exec_hi, v0
	v_and_b32_e32 v18, exec_lo, v1
	v_lshlrev_b32_e32 v1, 30, v9
	v_mov_b32_e32 v0, v7
	v_cmp_gt_i64_e32 vcc, 0, v[0:1]
	v_not_b32_e32 v0, v1
	v_ashrrev_i32_e32 v0, 31, v0
	v_xor_b32_e32 v1, vcc_hi, v0
	v_xor_b32_e32 v0, vcc_lo, v0
	v_and_b32_e32 v16, v16, v1
	v_and_b32_e32 v18, v18, v0
	v_lshlrev_b32_e32 v1, 29, v9
	v_mov_b32_e32 v0, v7
	v_cmp_gt_i64_e32 vcc, 0, v[0:1]
	v_not_b32_e32 v0, v1
	v_ashrrev_i32_e32 v0, 31, v0
	v_xor_b32_e32 v1, vcc_hi, v0
	v_xor_b32_e32 v0, vcc_lo, v0
	v_and_b32_e32 v16, v16, v1
	v_and_b32_e32 v18, v18, v0
	;; [unrolled: 9-line block ×7, first 2 shown]
	v_mbcnt_lo_u32_b32 v7, v0, 0
	v_mbcnt_hi_u32_b32 v7, v1, v7
	v_cmp_eq_u32_e32 vcc, 0, v7
	v_cmp_ne_u64_e64 s[0:1], 0, v[0:1]
	s_and_b64 s[4:5], s[0:1], vcc
	v_add_u32_e32 v18, v17, v15
	; wave barrier
	s_and_saveexec_b64 s[0:1], s[4:5]
	s_cbranch_execz .LBB15_101
; %bb.100:
	v_bcnt_u32_b32 v0, v0, 0
	v_bcnt_u32_b32 v0, v1, v0
	s_waitcnt lgkmcnt(0)
	v_add_u32_e32 v0, v13, v0
	ds_write_b32 v18, v0 offset:32
.LBB15_101:
	s_or_b64 exec, exec, s[0:1]
	s_waitcnt vmcnt(3)
	v_xor_b32_e32 v15, -1, v8
	v_lshrrev_b32_sdwa v0, s44, v15 dst_sel:DWORD dst_unused:UNUSED_PAD src0_sel:DWORD src1_sel:BYTE_0
	v_and_b32_e32 v20, s12, v0
	v_mad_u32_u24 v0, v20, 36, v17
	; wave barrier
	ds_read_b32 v16, v0 offset:32
	v_and_b32_e32 v0, 1, v20
	v_mov_b32_e32 v1, 0
	v_lshl_add_u64 v[8:9], v[0:1], 0, -1
	v_cmp_ne_u32_e32 vcc, 0, v0
	v_mul_u32_u24_e32 v22, 36, v20
	s_nop 0
	v_xor_b32_e32 v8, vcc_lo, v8
	v_xor_b32_e32 v0, vcc_hi, v9
	v_and_b32_e32 v23, exec_lo, v8
	v_lshlrev_b32_e32 v9, 30, v20
	v_mov_b32_e32 v8, v1
	v_cmp_gt_i64_e32 vcc, 0, v[8:9]
	v_not_b32_e32 v8, v9
	v_ashrrev_i32_e32 v8, 31, v8
	v_and_b32_e32 v0, exec_hi, v0
	v_xor_b32_e32 v9, vcc_hi, v8
	v_xor_b32_e32 v8, vcc_lo, v8
	v_and_b32_e32 v0, v0, v9
	v_and_b32_e32 v23, v23, v8
	v_lshlrev_b32_e32 v9, 29, v20
	v_mov_b32_e32 v8, v1
	v_cmp_gt_i64_e32 vcc, 0, v[8:9]
	v_not_b32_e32 v8, v9
	v_ashrrev_i32_e32 v8, 31, v8
	v_xor_b32_e32 v9, vcc_hi, v8
	v_xor_b32_e32 v8, vcc_lo, v8
	v_and_b32_e32 v0, v0, v9
	v_and_b32_e32 v23, v23, v8
	v_lshlrev_b32_e32 v9, 28, v20
	v_mov_b32_e32 v8, v1
	v_cmp_gt_i64_e32 vcc, 0, v[8:9]
	v_not_b32_e32 v8, v9
	v_ashrrev_i32_e32 v8, 31, v8
	;; [unrolled: 9-line block ×6, first 2 shown]
	v_xor_b32_e32 v9, vcc_hi, v8
	v_xor_b32_e32 v8, vcc_lo, v8
	v_and_b32_e32 v8, v23, v8
	v_and_b32_e32 v9, v0, v9
	v_mbcnt_lo_u32_b32 v0, v8, 0
	v_mbcnt_hi_u32_b32 v20, v9, v0
	v_cmp_eq_u32_e32 vcc, 0, v20
	v_cmp_ne_u64_e64 s[0:1], 0, v[8:9]
	s_and_b64 s[4:5], s[0:1], vcc
	v_add_u32_e32 v23, v17, v22
	; wave barrier
	s_and_saveexec_b64 s[0:1], s[4:5]
	s_cbranch_execz .LBB15_103
; %bb.102:
	v_bcnt_u32_b32 v0, v8, 0
	v_bcnt_u32_b32 v0, v9, v0
	s_waitcnt lgkmcnt(0)
	v_add_u32_e32 v0, v16, v0
	ds_write_b32 v23, v0 offset:32
.LBB15_103:
	s_or_b64 exec, exec, s[0:1]
	s_waitcnt vmcnt(2)
	v_xor_b32_e32 v21, -1, v21
	v_lshrrev_b32_sdwa v0, s44, v21 dst_sel:DWORD dst_unused:UNUSED_PAD src0_sel:DWORD src1_sel:BYTE_0
	v_and_b32_e32 v25, s12, v0
	v_mad_u32_u24 v0, v25, 36, v17
	; wave barrier
	ds_read_b32 v22, v0 offset:32
	v_and_b32_e32 v0, 1, v25
	v_lshl_add_u64 v[8:9], v[0:1], 0, -1
	v_cmp_ne_u32_e32 vcc, 0, v0
	v_mul_u32_u24_e32 v26, 36, v25
	s_nop 0
	v_xor_b32_e32 v8, vcc_lo, v8
	v_xor_b32_e32 v0, vcc_hi, v9
	v_and_b32_e32 v27, exec_lo, v8
	v_lshlrev_b32_e32 v9, 30, v25
	v_mov_b32_e32 v8, v1
	v_cmp_gt_i64_e32 vcc, 0, v[8:9]
	v_not_b32_e32 v8, v9
	v_ashrrev_i32_e32 v8, 31, v8
	v_and_b32_e32 v0, exec_hi, v0
	v_xor_b32_e32 v9, vcc_hi, v8
	v_xor_b32_e32 v8, vcc_lo, v8
	v_and_b32_e32 v0, v0, v9
	v_and_b32_e32 v27, v27, v8
	v_lshlrev_b32_e32 v9, 29, v25
	v_mov_b32_e32 v8, v1
	v_cmp_gt_i64_e32 vcc, 0, v[8:9]
	v_not_b32_e32 v8, v9
	v_ashrrev_i32_e32 v8, 31, v8
	v_xor_b32_e32 v9, vcc_hi, v8
	v_xor_b32_e32 v8, vcc_lo, v8
	v_and_b32_e32 v0, v0, v9
	v_and_b32_e32 v27, v27, v8
	v_lshlrev_b32_e32 v9, 28, v25
	v_mov_b32_e32 v8, v1
	v_cmp_gt_i64_e32 vcc, 0, v[8:9]
	v_not_b32_e32 v8, v9
	v_ashrrev_i32_e32 v8, 31, v8
	;; [unrolled: 9-line block ×5, first 2 shown]
	v_xor_b32_e32 v9, vcc_hi, v8
	v_xor_b32_e32 v8, vcc_lo, v8
	v_and_b32_e32 v0, v0, v9
	v_lshlrev_b32_e32 v9, 24, v25
	v_and_b32_e32 v27, v27, v8
	v_mov_b32_e32 v8, v1
	v_not_b32_e32 v1, v9
	v_cmp_gt_i64_e32 vcc, 0, v[8:9]
	v_ashrrev_i32_e32 v1, 31, v1
	; wave barrier
	s_nop 0
	v_xor_b32_e32 v8, vcc_hi, v1
	v_xor_b32_e32 v9, vcc_lo, v1
	v_and_b32_e32 v1, v0, v8
	v_and_b32_e32 v0, v27, v9
	v_mbcnt_lo_u32_b32 v8, v0, 0
	v_mbcnt_hi_u32_b32 v25, v1, v8
	v_cmp_eq_u32_e32 vcc, 0, v25
	v_cmp_ne_u64_e64 s[0:1], 0, v[0:1]
	s_and_b64 s[4:5], s[0:1], vcc
	v_add_u32_e32 v27, v17, v26
	s_and_saveexec_b64 s[0:1], s[4:5]
	s_cbranch_execz .LBB15_105
; %bb.104:
	v_bcnt_u32_b32 v0, v0, 0
	v_bcnt_u32_b32 v0, v1, v0
	s_waitcnt lgkmcnt(0)
	v_add_u32_e32 v0, v22, v0
	ds_write_b32 v27, v0 offset:32
.LBB15_105:
	s_or_b64 exec, exec, s[0:1]
	s_waitcnt vmcnt(1)
	v_xor_b32_e32 v24, -1, v24
	v_lshrrev_b32_sdwa v0, s44, v24 dst_sel:DWORD dst_unused:UNUSED_PAD src0_sel:DWORD src1_sel:BYTE_0
	v_and_b32_e32 v28, s12, v0
	v_mad_u32_u24 v0, v28, 36, v17
	; wave barrier
	ds_read_b32 v26, v0 offset:32
	v_and_b32_e32 v0, 1, v28
	v_mov_b32_e32 v1, 0
	v_lshl_add_u64 v[8:9], v[0:1], 0, -1
	v_cmp_ne_u32_e32 vcc, 0, v0
	v_mul_u32_u24_e32 v29, 36, v28
	s_nop 0
	v_xor_b32_e32 v8, vcc_lo, v8
	v_xor_b32_e32 v0, vcc_hi, v9
	v_and_b32_e32 v30, exec_lo, v8
	v_lshlrev_b32_e32 v9, 30, v28
	v_mov_b32_e32 v8, v1
	v_cmp_gt_i64_e32 vcc, 0, v[8:9]
	v_not_b32_e32 v8, v9
	v_ashrrev_i32_e32 v8, 31, v8
	v_and_b32_e32 v0, exec_hi, v0
	v_xor_b32_e32 v9, vcc_hi, v8
	v_xor_b32_e32 v8, vcc_lo, v8
	v_and_b32_e32 v0, v0, v9
	v_and_b32_e32 v30, v30, v8
	v_lshlrev_b32_e32 v9, 29, v28
	v_mov_b32_e32 v8, v1
	v_cmp_gt_i64_e32 vcc, 0, v[8:9]
	v_not_b32_e32 v8, v9
	v_ashrrev_i32_e32 v8, 31, v8
	v_xor_b32_e32 v9, vcc_hi, v8
	v_xor_b32_e32 v8, vcc_lo, v8
	v_and_b32_e32 v0, v0, v9
	v_and_b32_e32 v30, v30, v8
	v_lshlrev_b32_e32 v9, 28, v28
	v_mov_b32_e32 v8, v1
	v_cmp_gt_i64_e32 vcc, 0, v[8:9]
	v_not_b32_e32 v8, v9
	v_ashrrev_i32_e32 v8, 31, v8
	;; [unrolled: 9-line block ×6, first 2 shown]
	v_xor_b32_e32 v9, vcc_hi, v8
	v_xor_b32_e32 v8, vcc_lo, v8
	v_and_b32_e32 v8, v30, v8
	v_and_b32_e32 v9, v0, v9
	v_mbcnt_lo_u32_b32 v0, v8, 0
	v_mbcnt_hi_u32_b32 v28, v9, v0
	v_cmp_eq_u32_e32 vcc, 0, v28
	v_cmp_ne_u64_e64 s[0:1], 0, v[8:9]
	s_and_b64 s[4:5], s[0:1], vcc
	v_add_u32_e32 v30, v17, v29
	; wave barrier
	s_and_saveexec_b64 s[0:1], s[4:5]
	s_cbranch_execz .LBB15_107
; %bb.106:
	v_bcnt_u32_b32 v0, v8, 0
	v_bcnt_u32_b32 v0, v9, v0
	s_waitcnt lgkmcnt(0)
	v_add_u32_e32 v0, v26, v0
	ds_write_b32 v30, v0 offset:32
.LBB15_107:
	s_or_b64 exec, exec, s[0:1]
	s_waitcnt vmcnt(0)
	v_xor_b32_e32 v19, -1, v19
	v_lshrrev_b32_sdwa v0, s44, v19 dst_sel:DWORD dst_unused:UNUSED_PAD src0_sel:DWORD src1_sel:BYTE_0
	v_and_b32_e32 v31, s12, v0
	v_mad_u32_u24 v0, v31, 36, v17
	; wave barrier
	ds_read_b32 v29, v0 offset:32
	v_and_b32_e32 v0, 1, v31
	v_lshl_add_u64 v[8:9], v[0:1], 0, -1
	v_cmp_ne_u32_e32 vcc, 0, v0
	v_mul_u32_u24_e32 v32, 36, v31
	v_add_u32_e32 v17, v17, v32
	v_xor_b32_e32 v8, vcc_lo, v8
	v_xor_b32_e32 v0, vcc_hi, v9
	v_and_b32_e32 v33, exec_lo, v8
	v_lshlrev_b32_e32 v9, 30, v31
	v_mov_b32_e32 v8, v1
	v_cmp_gt_i64_e32 vcc, 0, v[8:9]
	v_not_b32_e32 v8, v9
	v_ashrrev_i32_e32 v8, 31, v8
	v_and_b32_e32 v0, exec_hi, v0
	v_xor_b32_e32 v9, vcc_hi, v8
	v_xor_b32_e32 v8, vcc_lo, v8
	v_and_b32_e32 v0, v0, v9
	v_and_b32_e32 v33, v33, v8
	v_lshlrev_b32_e32 v9, 29, v31
	v_mov_b32_e32 v8, v1
	v_cmp_gt_i64_e32 vcc, 0, v[8:9]
	v_not_b32_e32 v8, v9
	v_ashrrev_i32_e32 v8, 31, v8
	v_xor_b32_e32 v9, vcc_hi, v8
	v_xor_b32_e32 v8, vcc_lo, v8
	v_and_b32_e32 v0, v0, v9
	v_and_b32_e32 v33, v33, v8
	v_lshlrev_b32_e32 v9, 28, v31
	v_mov_b32_e32 v8, v1
	v_cmp_gt_i64_e32 vcc, 0, v[8:9]
	v_not_b32_e32 v8, v9
	v_ashrrev_i32_e32 v8, 31, v8
	;; [unrolled: 9-line block ×5, first 2 shown]
	v_xor_b32_e32 v9, vcc_hi, v8
	v_xor_b32_e32 v8, vcc_lo, v8
	v_and_b32_e32 v0, v0, v9
	v_lshlrev_b32_e32 v9, 24, v31
	v_and_b32_e32 v33, v33, v8
	v_mov_b32_e32 v8, v1
	v_not_b32_e32 v1, v9
	v_cmp_gt_i64_e32 vcc, 0, v[8:9]
	v_ashrrev_i32_e32 v1, 31, v1
	s_nop 0
	v_xor_b32_e32 v8, vcc_hi, v1
	v_xor_b32_e32 v9, vcc_lo, v1
	v_and_b32_e32 v1, v0, v8
	v_and_b32_e32 v0, v33, v9
	v_mbcnt_lo_u32_b32 v8, v0, 0
	v_mbcnt_hi_u32_b32 v31, v1, v8
	v_cmp_eq_u32_e32 vcc, 0, v31
	v_cmp_ne_u64_e64 s[0:1], 0, v[0:1]
	s_and_b64 s[4:5], s[0:1], vcc
	; wave barrier
	s_and_saveexec_b64 s[0:1], s[4:5]
	s_cbranch_execz .LBB15_109
; %bb.108:
	v_bcnt_u32_b32 v0, v0, 0
	v_bcnt_u32_b32 v0, v1, v0
	s_waitcnt lgkmcnt(0)
	v_add_u32_e32 v0, v29, v0
	ds_write_b32 v17, v0 offset:32
.LBB15_109:
	s_or_b64 exec, exec, s[0:1]
	; wave barrier
	s_waitcnt lgkmcnt(0)
	s_barrier
	ds_read2_b32 v[8:9], v3 offset0:8 offset1:9
	ds_read2_b32 v[0:1], v3 offset0:10 offset1:11
	ds_read_b32 v32, v3 offset:48
	v_min_u32_e32 v10, 0x1c0, v10
	v_or_b32_e32 v10, 63, v10
	s_waitcnt lgkmcnt(1)
	v_add3_u32 v33, v9, v8, v0
	s_waitcnt lgkmcnt(0)
	v_add3_u32 v32, v33, v1, v32
	v_and_b32_e32 v33, 15, v6
	v_cmp_ne_u32_e32 vcc, 0, v33
	v_mov_b32_dpp v34, v32 row_shr:1 row_mask:0xf bank_mask:0xf
	s_nop 0
	v_cndmask_b32_e32 v34, 0, v34, vcc
	v_add_u32_e32 v32, v34, v32
	v_cmp_lt_u32_e32 vcc, 1, v33
	s_nop 0
	v_mov_b32_dpp v34, v32 row_shr:2 row_mask:0xf bank_mask:0xf
	v_cndmask_b32_e32 v34, 0, v34, vcc
	v_add_u32_e32 v32, v32, v34
	v_cmp_lt_u32_e32 vcc, 3, v33
	s_nop 0
	v_mov_b32_dpp v34, v32 row_shr:4 row_mask:0xf bank_mask:0xf
	;; [unrolled: 5-line block ×3, first 2 shown]
	v_cndmask_b32_e32 v33, 0, v34, vcc
	v_add_u32_e32 v32, v32, v33
	v_bfe_i32 v34, v6, 4, 1
	v_cmp_lt_u32_e32 vcc, 31, v6
	v_mov_b32_dpp v33, v32 row_bcast:15 row_mask:0xf bank_mask:0xf
	v_and_b32_e32 v33, v34, v33
	v_add_u32_e32 v32, v32, v33
	s_nop 1
	v_mov_b32_dpp v33, v32 row_bcast:31 row_mask:0xf bank_mask:0xf
	v_cndmask_b32_e32 v33, 0, v33, vcc
	v_add_u32_e32 v32, v32, v33
	v_lshrrev_b32_e32 v33, 6, v2
	v_cmp_eq_u32_e32 vcc, v2, v10
	s_and_saveexec_b64 s[0:1], vcc
; %bb.110:
	v_lshlrev_b32_e32 v10, 2, v33
	ds_write_b32 v10, v32
; %bb.111:
	s_or_b64 exec, exec, s[0:1]
	v_cmp_gt_u32_e32 vcc, 8, v2
	s_waitcnt lgkmcnt(0)
	s_barrier
	s_and_saveexec_b64 s[0:1], vcc
	s_cbranch_execz .LBB15_113
; %bb.112:
	v_lshlrev_b32_e32 v10, 2, v2
	ds_read_b32 v34, v10
	v_and_b32_e32 v35, 7, v6
	v_cmp_ne_u32_e32 vcc, 0, v35
	s_waitcnt lgkmcnt(0)
	v_mov_b32_dpp v36, v34 row_shr:1 row_mask:0xf bank_mask:0xf
	v_cndmask_b32_e32 v36, 0, v36, vcc
	v_add_u32_e32 v34, v36, v34
	v_cmp_lt_u32_e32 vcc, 1, v35
	s_nop 0
	v_mov_b32_dpp v36, v34 row_shr:2 row_mask:0xf bank_mask:0xf
	v_cndmask_b32_e32 v36, 0, v36, vcc
	v_add_u32_e32 v34, v34, v36
	v_cmp_lt_u32_e32 vcc, 3, v35
	s_nop 0
	v_mov_b32_dpp v36, v34 row_shr:4 row_mask:0xf bank_mask:0xf
	v_cndmask_b32_e32 v35, 0, v36, vcc
	v_add_u32_e32 v34, v34, v35
	ds_write_b32 v10, v34
.LBB15_113:
	s_or_b64 exec, exec, s[0:1]
	v_cmp_lt_u32_e32 vcc, 63, v2
	v_mov_b32_e32 v10, 0
	s_waitcnt lgkmcnt(0)
	s_barrier
	s_and_saveexec_b64 s[0:1], vcc
; %bb.114:
	v_lshl_add_u32 v10, v33, 2, -4
	ds_read_b32 v10, v10
; %bb.115:
	s_or_b64 exec, exec, s[0:1]
	v_add_u32_e32 v33, -1, v6
	v_and_b32_e32 v34, 64, v6
	v_cmp_lt_i32_e32 vcc, v33, v34
	s_waitcnt lgkmcnt(0)
	v_add_u32_e32 v32, v10, v32
	s_movk_i32 s0, 0xff
	v_cndmask_b32_e32 v33, v33, v6, vcc
	v_lshlrev_b32_e32 v33, 2, v33
	ds_bpermute_b32 v32, v33, v32
	v_cmp_eq_u32_e32 vcc, 0, v6
	s_movk_i32 s4, 0x100
	s_waitcnt lgkmcnt(0)
	v_cndmask_b32_e32 v10, v32, v10, vcc
	v_cmp_ne_u32_e32 vcc, 0, v2
	s_nop 1
	v_cndmask_b32_e32 v10, 0, v10, vcc
	v_add_u32_e32 v8, v10, v8
	v_add_u32_e32 v9, v8, v9
	;; [unrolled: 1-line block ×4, first 2 shown]
	ds_write2_b32 v3, v10, v8 offset0:8 offset1:9
	ds_write2_b32 v3, v9, v0 offset0:10 offset1:11
	ds_write_b32 v3, v1 offset:48
	s_waitcnt lgkmcnt(0)
	s_barrier
	ds_read_b32 v3, v14 offset:32
	ds_read_b32 v9, v18 offset:32
	;; [unrolled: 1-line block ×6, first 2 shown]
	v_cmp_lt_u32_e32 vcc, s0, v2
	v_cmp_gt_u32_e64 s[0:1], s4, v2
	v_mov_b64_e32 v[0:1], 0
                                        ; implicit-def: $vgpr8
	s_and_saveexec_b64 s[6:7], s[0:1]
	s_cbranch_execz .LBB15_119
; %bb.116:
	v_mul_u32_u24_e32 v0, 36, v2
	ds_read_b32 v0, v0 offset:32
	v_add_u32_e32 v8, 1, v2
	v_cmp_ne_u32_e64 s[4:5], s4, v8
	v_mov_b32_e32 v1, 0xc00
	s_and_saveexec_b64 s[8:9], s[4:5]
; %bb.117:
	v_mul_u32_u24_e32 v1, 36, v8
	ds_read_b32 v1, v1 offset:32
; %bb.118:
	s_or_b64 exec, exec, s[8:9]
	s_waitcnt lgkmcnt(0)
	v_sub_u32_e32 v8, v1, v0
	v_mov_b32_e32 v1, 0
.LBB15_119:
	s_or_b64 exec, exec, s[6:7]
	s_waitcnt lgkmcnt(5)
	v_add_u32_e32 v27, v3, v11
	v_mov_b32_e32 v11, 0
	s_waitcnt lgkmcnt(4)
	v_add3_u32 v23, v7, v13, v9
	s_waitcnt lgkmcnt(3)
	v_add3_u32 v18, v20, v16, v10
	;; [unrolled: 2-line block ×5, first 2 shown]
	s_barrier
	ds_write_b8 v27, v5 offset:2048
	ds_write_b8 v23, v12 offset:2048
	;; [unrolled: 1-line block ×6, first 2 shown]
	v_mov_b32_e32 v3, v11
	v_lshlrev_b32_e32 v5, 3, v2
	s_waitcnt lgkmcnt(0)
	s_barrier
	s_and_saveexec_b64 s[4:5], s[0:1]
	s_cbranch_execz .LBB15_129
; %bb.120:
	v_lshl_add_u32 v10, s2, 8, v2
	v_lshl_add_u64 v[12:13], v[10:11], 2, s[48:49]
	v_or_b32_e32 v7, 2.0, v8
	global_store_dword v[12:13], v7, off sc1
	s_mov_b64 s[6:7], 0
	s_brev_b32 s13, -4
	s_mov_b32 s14, s2
	v_mov_b32_e32 v7, 0
                                        ; implicit-def: $sgpr0_sgpr1
	s_branch .LBB15_123
.LBB15_121:                             ;   in Loop: Header=BB15_123 Depth=1
	s_or_b64 exec, exec, s[10:11]
.LBB15_122:                             ;   in Loop: Header=BB15_123 Depth=1
	s_or_b64 exec, exec, s[8:9]
	v_and_b32_e32 v14, 0x3fffffff, v10
	v_add_u32_e32 v7, v14, v7
	v_cmp_gt_i32_e64 s[0:1], -2.0, v10
	s_and_b64 s[8:9], exec, s[0:1]
	s_or_b64 s[6:7], s[8:9], s[6:7]
	s_andn2_b64 exec, exec, s[6:7]
	s_cbranch_execz .LBB15_128
.LBB15_123:                             ; =>This Loop Header: Depth=1
                                        ;     Child Loop BB15_126 Depth 2
	s_or_b64 s[0:1], s[0:1], exec
	s_cmp_eq_u32 s14, 0
	s_cbranch_scc1 .LBB15_127
; %bb.124:                              ;   in Loop: Header=BB15_123 Depth=1
	s_add_i32 s14, s14, -1
	v_lshl_or_b32 v10, s14, 8, v2
	v_lshl_add_u64 v[14:15], v[10:11], 2, s[48:49]
	global_load_dword v10, v[14:15], off sc1
	s_waitcnt vmcnt(0)
	v_cmp_gt_u32_e64 s[0:1], 2.0, v10
	s_and_saveexec_b64 s[8:9], s[0:1]
	s_cbranch_execz .LBB15_122
; %bb.125:                              ;   in Loop: Header=BB15_123 Depth=1
	s_mov_b64 s[10:11], 0
.LBB15_126:                             ;   Parent Loop BB15_123 Depth=1
                                        ; =>  This Inner Loop Header: Depth=2
	global_load_dword v10, v[14:15], off sc1
	s_waitcnt vmcnt(0)
	v_cmp_lt_u32_e64 s[0:1], s13, v10
	s_or_b64 s[10:11], s[0:1], s[10:11]
	s_andn2_b64 exec, exec, s[10:11]
	s_cbranch_execnz .LBB15_126
	s_branch .LBB15_121
.LBB15_127:                             ;   in Loop: Header=BB15_123 Depth=1
                                        ; implicit-def: $sgpr14
	s_and_b64 s[8:9], exec, s[0:1]
	s_or_b64 s[6:7], s[8:9], s[6:7]
	s_andn2_b64 exec, exec, s[6:7]
	s_cbranch_execnz .LBB15_123
.LBB15_128:
	s_or_b64 exec, exec, s[6:7]
	v_add_u32_e32 v11, v7, v8
	v_or_b32_e32 v11, 0x80000000, v11
	v_lshlrev_b32_e32 v10, 3, v2
	global_store_dword v[12:13], v11, off sc1
	global_load_dwordx2 v[10:11], v10, s[28:29]
	v_sub_co_u32_e64 v12, s[0:1], v7, v0
	s_nop 1
	v_subb_co_u32_e64 v13, s[0:1], 0, v1, s[0:1]
	s_waitcnt vmcnt(0)
	v_lshl_add_u64 v[10:11], v[12:13], 0, v[10:11]
	ds_write_b64 v5, v[10:11]
.LBB15_129:
	s_or_b64 exec, exec, s[4:5]
	s_waitcnt lgkmcnt(0)
	s_barrier
	ds_read_u8 v7, v2 offset:4096
	ds_read_u8 v19, v2 offset:3072
	;; [unrolled: 1-line block ×5, first 2 shown]
	s_waitcnt lgkmcnt(4)
	v_lshrrev_b32_sdwa v10, s44, v7 dst_sel:DWORD dst_unused:UNUSED_PAD src0_sel:DWORD src1_sel:BYTE_0
	v_and_b32_e32 v10, s12, v10
	v_lshlrev_b32_e32 v32, 3, v10
	s_waitcnt lgkmcnt(1)
	v_lshrrev_b32_sdwa v10, s44, v26 dst_sel:DWORD dst_unused:UNUSED_PAD src0_sel:DWORD src1_sel:BYTE_0
	v_and_b32_e32 v10, s12, v10
	v_lshlrev_b32_e32 v33, 3, v10
	ds_read_u8 v30, v2 offset:2560
	ds_read_b64 v[10:11], v32
	ds_read_b64 v[12:13], v33
	s_waitcnt lgkmcnt(3)
	v_lshrrev_b32_sdwa v15, s44, v14 dst_sel:DWORD dst_unused:UNUSED_PAD src0_sel:DWORD src1_sel:BYTE_0
	v_and_b32_e32 v15, s12, v15
	s_waitcnt lgkmcnt(2)
	v_lshrrev_b32_sdwa v20, s44, v30 dst_sel:DWORD dst_unused:UNUSED_PAD src0_sel:DWORD src1_sel:BYTE_0
	v_lshlrev_b32_e32 v34, 3, v15
	v_and_b32_e32 v20, s12, v20
	v_xor_b32_e32 v31, -1, v14
	ds_read_b64 v[14:15], v34
	v_lshlrev_b32_e32 v35, 3, v20
	v_lshrrev_b32_sdwa v20, s44, v19 dst_sel:DWORD dst_unused:UNUSED_PAD src0_sel:DWORD src1_sel:BYTE_0
	v_and_b32_e32 v20, s12, v20
	v_lshlrev_b32_e32 v36, 3, v20
	v_lshrrev_b32_sdwa v20, s44, v22 dst_sel:DWORD dst_unused:UNUSED_PAD src0_sel:DWORD src1_sel:BYTE_0
	v_and_b32_e32 v20, s12, v20
	v_lshlrev_b32_e32 v37, 3, v20
	ds_read_b64 v[20:21], v35
	ds_read_b64 v[24:25], v36
	;; [unrolled: 1-line block ×3, first 2 shown]
	s_waitcnt lgkmcnt(3)
	v_lshl_add_u64 v[14:15], s[38:39], 0, v[14:15]
	v_lshl_add_u64 v[14:15], v[14:15], 0, v[2:3]
	global_store_byte v[14:15], v31, off
	s_waitcnt lgkmcnt(2)
	v_lshl_add_u64 v[14:15], s[38:39], 0, v[20:21]
	v_xor_b32_e32 v30, -1, v30
	v_lshl_add_u64 v[14:15], v[14:15], 0, v[2:3]
	global_store_byte v[14:15], v30, off offset:512
	s_waitcnt lgkmcnt(1)
	v_lshl_add_u64 v[14:15], s[38:39], 0, v[24:25]
	v_xor_b32_e32 v19, -1, v19
	v_lshl_add_u64 v[14:15], v[14:15], 0, v[2:3]
	global_store_byte v[14:15], v19, off offset:1024
	s_waitcnt lgkmcnt(0)
	v_lshl_add_u64 v[14:15], s[38:39], 0, v[28:29]
	v_lshl_add_u64 v[10:11], s[38:39], 0, v[10:11]
	v_xor_b32_e32 v19, -1, v22
	v_lshl_add_u64 v[14:15], v[14:15], 0, v[2:3]
	v_xor_b32_e32 v7, -1, v7
	v_lshl_add_u64 v[10:11], v[10:11], 0, v[2:3]
	global_store_byte v[14:15], v19, off offset:1536
	global_store_byte v[10:11], v7, off offset:2048
	v_lshl_add_u64 v[10:11], s[38:39], 0, v[12:13]
	s_lshl_b64 s[0:1], s[34:35], 3
	v_xor_b32_e32 v7, -1, v26
	v_lshl_add_u64 v[10:11], v[10:11], 0, v[2:3]
	s_add_u32 s0, s40, s0
	global_store_byte v[10:11], v7, off offset:2560
	s_addc_u32 s1, s41, s1
	v_lshlrev_b32_e32 v6, 3, v6
	v_mov_b32_e32 v7, 0
	v_lshl_add_u64 v[10:11], s[0:1], 0, v[6:7]
	v_lshlrev_b32_e32 v6, 3, v4
	v_lshl_add_u64 v[10:11], v[10:11], 0, v[6:7]
	global_load_dwordx2 v[12:13], v[10:11], off
	global_load_dwordx2 v[14:15], v[10:11], off offset:512
	global_load_dwordx2 v[20:21], v[10:11], off offset:1024
	;; [unrolled: 1-line block ×5, first 2 shown]
	v_lshlrev_b32_e32 v3, 3, v27
	v_lshlrev_b32_e32 v10, 3, v18
	v_lshlrev_b32_e32 v11, 3, v17
	v_lshlrev_b32_e32 v16, 3, v16
	v_mad_u32_u24 v38, v2, 7, v2
	v_lshlrev_b32_e32 v4, 3, v23
	v_lshlrev_b32_e32 v9, 3, v9
	;; [unrolled: 1-line block ×3, first 2 shown]
	s_barrier
	v_add_u32_e32 v18, 0x1000, v5
	v_or_b32_e32 v22, 0x2000, v5
	v_mov_b32_e32 v19, v7
	v_mov_b32_e32 v23, v7
	s_add_i32 s3, s3, -1
	s_cmp_eq_u32 s2, s3
	s_cselect_b64 s[0:1], -1, 0
	s_xor_b64 s[2:3], vcc, -1
	s_and_b64 s[0:1], s[2:3], s[0:1]
	s_waitcnt vmcnt(5)
	ds_write_b64 v3, v[12:13] offset:2048
	s_waitcnt vmcnt(4)
	ds_write_b64 v4, v[14:15] offset:2048
	;; [unrolled: 2-line block ×6, first 2 shown]
	s_waitcnt lgkmcnt(0)
	s_barrier
	ds_read2st64_b64 v[10:13], v38 offset0:4 offset1:12
	ds_read_b64 v[2:3], v34
	ds_read_b64 v[20:21], v35
	;; [unrolled: 1-line block ×3, first 2 shown]
	ds_read2st64_b64 v[14:17], v38 offset0:20 offset1:28
	ds_read_b64 v[26:27], v37
	s_waitcnt lgkmcnt(4)
	v_lshl_add_u64 v[2:3], v[2:3], 3, s[42:43]
	s_waitcnt lgkmcnt(3)
	v_lshl_add_u64 v[20:21], v[20:21], 3, s[42:43]
	;; [unrolled: 2-line block ×3, first 2 shown]
	v_lshl_add_u64 v[2:3], v[2:3], 0, v[6:7]
	v_lshl_add_u64 v[18:19], v[20:21], 0, v[18:19]
	global_store_dwordx2 v[2:3], v[10:11], off
	global_store_dwordx2 v[18:19], v[12:13], off
	v_lshl_add_u64 v[2:3], v[24:25], 0, v[22:23]
	s_waitcnt lgkmcnt(1)
	global_store_dwordx2 v[2:3], v[14:15], off
	s_waitcnt lgkmcnt(0)
	v_lshl_add_u64 v[2:3], v[26:27], 3, s[42:43]
	v_add_u32_e32 v10, 0x3000, v5
	v_mov_b32_e32 v11, v7
	ds_read_b64 v[14:15], v32
	v_lshl_add_u64 v[2:3], v[2:3], 0, v[10:11]
	global_store_dwordx2 v[2:3], v[16:17], off
	ds_read2st64_b64 v[10:13], v38 offset0:36 offset1:44
	ds_read_b64 v[2:3], v33
	v_or_b32_e32 v16, 0x4000, v5
	s_waitcnt lgkmcnt(2)
	v_lshl_add_u64 v[14:15], v[14:15], 3, s[42:43]
	v_mov_b32_e32 v17, v7
	v_lshl_add_u64 v[14:15], v[14:15], 0, v[16:17]
	s_waitcnt lgkmcnt(1)
	global_store_dwordx2 v[14:15], v[10:11], off
	s_waitcnt lgkmcnt(0)
	v_lshl_add_u64 v[2:3], v[2:3], 3, s[42:43]
	v_add_u32_e32 v10, 0x5000, v5
	v_mov_b32_e32 v11, v7
	v_lshl_add_u64 v[2:3], v[2:3], 0, v[10:11]
	global_store_dwordx2 v[2:3], v[12:13], off
	s_and_saveexec_b64 s[2:3], s[0:1]
	s_cbranch_execz .LBB15_131
; %bb.130:
	ds_read_b64 v[2:3], v5
	v_mov_b32_e32 v9, v7
	v_lshl_add_u64 v[0:1], v[0:1], 0, v[8:9]
	s_waitcnt lgkmcnt(0)
	v_lshl_add_u64 v[0:1], v[0:1], 0, v[2:3]
	global_store_dwordx2 v6, v[0:1], s[30:31]
.LBB15_131:
	s_endpgm
	.section	.rodata,"a",@progbits
	.p2align	6, 0x0
	.amdhsa_kernel _ZN7rocprim17ROCPRIM_304000_NS6detail25onesweep_iteration_kernelINS1_34wrapped_radix_sort_onesweep_configINS0_14default_configEhN2at4cuda3cub6detail10OpaqueTypeILi8EEEEELb1EPhSC_PSA_SD_mNS0_19identity_decomposerEEEvT1_T2_T3_T4_jPT5_SK_PNS1_23onesweep_lookback_stateET6_jjj
		.amdhsa_group_segment_fixed_size 26624
		.amdhsa_private_segment_fixed_size 0
		.amdhsa_kernarg_size 336
		.amdhsa_user_sgpr_count 2
		.amdhsa_user_sgpr_dispatch_ptr 0
		.amdhsa_user_sgpr_queue_ptr 0
		.amdhsa_user_sgpr_kernarg_segment_ptr 1
		.amdhsa_user_sgpr_dispatch_id 0
		.amdhsa_user_sgpr_kernarg_preload_length 0
		.amdhsa_user_sgpr_kernarg_preload_offset 0
		.amdhsa_user_sgpr_private_segment_size 0
		.amdhsa_uses_dynamic_stack 0
		.amdhsa_enable_private_segment 0
		.amdhsa_system_sgpr_workgroup_id_x 1
		.amdhsa_system_sgpr_workgroup_id_y 0
		.amdhsa_system_sgpr_workgroup_id_z 0
		.amdhsa_system_sgpr_workgroup_info 0
		.amdhsa_system_vgpr_workitem_id 2
		.amdhsa_next_free_vgpr 39
		.amdhsa_next_free_sgpr 51
		.amdhsa_accum_offset 40
		.amdhsa_reserve_vcc 1
		.amdhsa_float_round_mode_32 0
		.amdhsa_float_round_mode_16_64 0
		.amdhsa_float_denorm_mode_32 3
		.amdhsa_float_denorm_mode_16_64 3
		.amdhsa_dx10_clamp 1
		.amdhsa_ieee_mode 1
		.amdhsa_fp16_overflow 0
		.amdhsa_tg_split 0
		.amdhsa_exception_fp_ieee_invalid_op 0
		.amdhsa_exception_fp_denorm_src 0
		.amdhsa_exception_fp_ieee_div_zero 0
		.amdhsa_exception_fp_ieee_overflow 0
		.amdhsa_exception_fp_ieee_underflow 0
		.amdhsa_exception_fp_ieee_inexact 0
		.amdhsa_exception_int_div_zero 0
	.end_amdhsa_kernel
	.section	.text._ZN7rocprim17ROCPRIM_304000_NS6detail25onesweep_iteration_kernelINS1_34wrapped_radix_sort_onesweep_configINS0_14default_configEhN2at4cuda3cub6detail10OpaqueTypeILi8EEEEELb1EPhSC_PSA_SD_mNS0_19identity_decomposerEEEvT1_T2_T3_T4_jPT5_SK_PNS1_23onesweep_lookback_stateET6_jjj,"axG",@progbits,_ZN7rocprim17ROCPRIM_304000_NS6detail25onesweep_iteration_kernelINS1_34wrapped_radix_sort_onesweep_configINS0_14default_configEhN2at4cuda3cub6detail10OpaqueTypeILi8EEEEELb1EPhSC_PSA_SD_mNS0_19identity_decomposerEEEvT1_T2_T3_T4_jPT5_SK_PNS1_23onesweep_lookback_stateET6_jjj,comdat
.Lfunc_end15:
	.size	_ZN7rocprim17ROCPRIM_304000_NS6detail25onesweep_iteration_kernelINS1_34wrapped_radix_sort_onesweep_configINS0_14default_configEhN2at4cuda3cub6detail10OpaqueTypeILi8EEEEELb1EPhSC_PSA_SD_mNS0_19identity_decomposerEEEvT1_T2_T3_T4_jPT5_SK_PNS1_23onesweep_lookback_stateET6_jjj, .Lfunc_end15-_ZN7rocprim17ROCPRIM_304000_NS6detail25onesweep_iteration_kernelINS1_34wrapped_radix_sort_onesweep_configINS0_14default_configEhN2at4cuda3cub6detail10OpaqueTypeILi8EEEEELb1EPhSC_PSA_SD_mNS0_19identity_decomposerEEEvT1_T2_T3_T4_jPT5_SK_PNS1_23onesweep_lookback_stateET6_jjj
                                        ; -- End function
	.set _ZN7rocprim17ROCPRIM_304000_NS6detail25onesweep_iteration_kernelINS1_34wrapped_radix_sort_onesweep_configINS0_14default_configEhN2at4cuda3cub6detail10OpaqueTypeILi8EEEEELb1EPhSC_PSA_SD_mNS0_19identity_decomposerEEEvT1_T2_T3_T4_jPT5_SK_PNS1_23onesweep_lookback_stateET6_jjj.num_vgpr, 39
	.set _ZN7rocprim17ROCPRIM_304000_NS6detail25onesweep_iteration_kernelINS1_34wrapped_radix_sort_onesweep_configINS0_14default_configEhN2at4cuda3cub6detail10OpaqueTypeILi8EEEEELb1EPhSC_PSA_SD_mNS0_19identity_decomposerEEEvT1_T2_T3_T4_jPT5_SK_PNS1_23onesweep_lookback_stateET6_jjj.num_agpr, 0
	.set _ZN7rocprim17ROCPRIM_304000_NS6detail25onesweep_iteration_kernelINS1_34wrapped_radix_sort_onesweep_configINS0_14default_configEhN2at4cuda3cub6detail10OpaqueTypeILi8EEEEELb1EPhSC_PSA_SD_mNS0_19identity_decomposerEEEvT1_T2_T3_T4_jPT5_SK_PNS1_23onesweep_lookback_stateET6_jjj.numbered_sgpr, 51
	.set _ZN7rocprim17ROCPRIM_304000_NS6detail25onesweep_iteration_kernelINS1_34wrapped_radix_sort_onesweep_configINS0_14default_configEhN2at4cuda3cub6detail10OpaqueTypeILi8EEEEELb1EPhSC_PSA_SD_mNS0_19identity_decomposerEEEvT1_T2_T3_T4_jPT5_SK_PNS1_23onesweep_lookback_stateET6_jjj.num_named_barrier, 0
	.set _ZN7rocprim17ROCPRIM_304000_NS6detail25onesweep_iteration_kernelINS1_34wrapped_radix_sort_onesweep_configINS0_14default_configEhN2at4cuda3cub6detail10OpaqueTypeILi8EEEEELb1EPhSC_PSA_SD_mNS0_19identity_decomposerEEEvT1_T2_T3_T4_jPT5_SK_PNS1_23onesweep_lookback_stateET6_jjj.private_seg_size, 0
	.set _ZN7rocprim17ROCPRIM_304000_NS6detail25onesweep_iteration_kernelINS1_34wrapped_radix_sort_onesweep_configINS0_14default_configEhN2at4cuda3cub6detail10OpaqueTypeILi8EEEEELb1EPhSC_PSA_SD_mNS0_19identity_decomposerEEEvT1_T2_T3_T4_jPT5_SK_PNS1_23onesweep_lookback_stateET6_jjj.uses_vcc, 1
	.set _ZN7rocprim17ROCPRIM_304000_NS6detail25onesweep_iteration_kernelINS1_34wrapped_radix_sort_onesweep_configINS0_14default_configEhN2at4cuda3cub6detail10OpaqueTypeILi8EEEEELb1EPhSC_PSA_SD_mNS0_19identity_decomposerEEEvT1_T2_T3_T4_jPT5_SK_PNS1_23onesweep_lookback_stateET6_jjj.uses_flat_scratch, 0
	.set _ZN7rocprim17ROCPRIM_304000_NS6detail25onesweep_iteration_kernelINS1_34wrapped_radix_sort_onesweep_configINS0_14default_configEhN2at4cuda3cub6detail10OpaqueTypeILi8EEEEELb1EPhSC_PSA_SD_mNS0_19identity_decomposerEEEvT1_T2_T3_T4_jPT5_SK_PNS1_23onesweep_lookback_stateET6_jjj.has_dyn_sized_stack, 0
	.set _ZN7rocprim17ROCPRIM_304000_NS6detail25onesweep_iteration_kernelINS1_34wrapped_radix_sort_onesweep_configINS0_14default_configEhN2at4cuda3cub6detail10OpaqueTypeILi8EEEEELb1EPhSC_PSA_SD_mNS0_19identity_decomposerEEEvT1_T2_T3_T4_jPT5_SK_PNS1_23onesweep_lookback_stateET6_jjj.has_recursion, 0
	.set _ZN7rocprim17ROCPRIM_304000_NS6detail25onesweep_iteration_kernelINS1_34wrapped_radix_sort_onesweep_configINS0_14default_configEhN2at4cuda3cub6detail10OpaqueTypeILi8EEEEELb1EPhSC_PSA_SD_mNS0_19identity_decomposerEEEvT1_T2_T3_T4_jPT5_SK_PNS1_23onesweep_lookback_stateET6_jjj.has_indirect_call, 0
	.section	.AMDGPU.csdata,"",@progbits
; Kernel info:
; codeLenInByte = 10864
; TotalNumSgprs: 57
; NumVgprs: 39
; NumAgprs: 0
; TotalNumVgprs: 39
; ScratchSize: 0
; MemoryBound: 0
; FloatMode: 240
; IeeeMode: 1
; LDSByteSize: 26624 bytes/workgroup (compile time only)
; SGPRBlocks: 7
; VGPRBlocks: 4
; NumSGPRsForWavesPerEU: 57
; NumVGPRsForWavesPerEU: 39
; AccumOffset: 40
; Occupancy: 8
; WaveLimiterHint : 1
; COMPUTE_PGM_RSRC2:SCRATCH_EN: 0
; COMPUTE_PGM_RSRC2:USER_SGPR: 2
; COMPUTE_PGM_RSRC2:TRAP_HANDLER: 0
; COMPUTE_PGM_RSRC2:TGID_X_EN: 1
; COMPUTE_PGM_RSRC2:TGID_Y_EN: 0
; COMPUTE_PGM_RSRC2:TGID_Z_EN: 0
; COMPUTE_PGM_RSRC2:TIDIG_COMP_CNT: 2
; COMPUTE_PGM_RSRC3_GFX90A:ACCUM_OFFSET: 9
; COMPUTE_PGM_RSRC3_GFX90A:TG_SPLIT: 0
	.section	.text._ZN7rocprim17ROCPRIM_304000_NS6detail28radix_sort_block_sort_kernelINS1_36wrapped_radix_sort_block_sort_configINS0_13kernel_configILj256ELj4ELj4294967295EEEhN2at4cuda3cub6detail10OpaqueTypeILi8EEEEELb0EPKhPhPKSB_PSB_NS0_19identity_decomposerEEEvT1_T2_T3_T4_jT5_jj,"axG",@progbits,_ZN7rocprim17ROCPRIM_304000_NS6detail28radix_sort_block_sort_kernelINS1_36wrapped_radix_sort_block_sort_configINS0_13kernel_configILj256ELj4ELj4294967295EEEhN2at4cuda3cub6detail10OpaqueTypeILi8EEEEELb0EPKhPhPKSB_PSB_NS0_19identity_decomposerEEEvT1_T2_T3_T4_jT5_jj,comdat
	.protected	_ZN7rocprim17ROCPRIM_304000_NS6detail28radix_sort_block_sort_kernelINS1_36wrapped_radix_sort_block_sort_configINS0_13kernel_configILj256ELj4ELj4294967295EEEhN2at4cuda3cub6detail10OpaqueTypeILi8EEEEELb0EPKhPhPKSB_PSB_NS0_19identity_decomposerEEEvT1_T2_T3_T4_jT5_jj ; -- Begin function _ZN7rocprim17ROCPRIM_304000_NS6detail28radix_sort_block_sort_kernelINS1_36wrapped_radix_sort_block_sort_configINS0_13kernel_configILj256ELj4ELj4294967295EEEhN2at4cuda3cub6detail10OpaqueTypeILi8EEEEELb0EPKhPhPKSB_PSB_NS0_19identity_decomposerEEEvT1_T2_T3_T4_jT5_jj
	.globl	_ZN7rocprim17ROCPRIM_304000_NS6detail28radix_sort_block_sort_kernelINS1_36wrapped_radix_sort_block_sort_configINS0_13kernel_configILj256ELj4ELj4294967295EEEhN2at4cuda3cub6detail10OpaqueTypeILi8EEEEELb0EPKhPhPKSB_PSB_NS0_19identity_decomposerEEEvT1_T2_T3_T4_jT5_jj
	.p2align	8
	.type	_ZN7rocprim17ROCPRIM_304000_NS6detail28radix_sort_block_sort_kernelINS1_36wrapped_radix_sort_block_sort_configINS0_13kernel_configILj256ELj4ELj4294967295EEEhN2at4cuda3cub6detail10OpaqueTypeILi8EEEEELb0EPKhPhPKSB_PSB_NS0_19identity_decomposerEEEvT1_T2_T3_T4_jT5_jj,@function
_ZN7rocprim17ROCPRIM_304000_NS6detail28radix_sort_block_sort_kernelINS1_36wrapped_radix_sort_block_sort_configINS0_13kernel_configILj256ELj4ELj4294967295EEEhN2at4cuda3cub6detail10OpaqueTypeILi8EEEEELb0EPKhPhPKSB_PSB_NS0_19identity_decomposerEEEvT1_T2_T3_T4_jT5_jj: ; @_ZN7rocprim17ROCPRIM_304000_NS6detail28radix_sort_block_sort_kernelINS1_36wrapped_radix_sort_block_sort_configINS0_13kernel_configILj256ELj4ELj4294967295EEEhN2at4cuda3cub6detail10OpaqueTypeILi8EEEEELb0EPKhPhPKSB_PSB_NS0_19identity_decomposerEEEvT1_T2_T3_T4_jT5_jj
; %bb.0:
	s_load_dword s4, s[0:1], 0x20
	s_load_dwordx8 s[36:43], s[0:1], 0x0
	s_lshl_b32 s28, s2, 10
	v_and_b32_e32 v8, 0x3ff, v0
	v_mbcnt_lo_u32_b32 v1, -1, 0
	s_waitcnt lgkmcnt(0)
	s_lshr_b32 s3, s4, 10
	s_cmp_lg_u32 s2, s3
	s_cselect_b64 s[30:31], -1, 0
	s_add_u32 s6, s36, s28
	s_addc_u32 s7, s37, 0
	v_mbcnt_hi_u32_b32 v2, -1, v1
	v_lshlrev_b32_e32 v1, 2, v8
	v_mov_b32_e32 v3, 0
	v_and_b32_e32 v12, 0x300, v1
	v_lshl_add_u64 v[4:5], s[6:7], 0, v[2:3]
	v_mov_b32_e32 v13, v3
	s_mov_b32 s29, 0
	s_cmp_eq_u32 s2, s3
	v_lshl_add_u64 v[10:11], v[4:5], 0, v[12:13]
	v_lshlrev_b32_e32 v6, 3, v2
	v_lshlrev_b32_e32 v4, 3, v12
	v_add_u32_e32 v13, v2, v12
	s_cbranch_scc1 .LBB16_2
; %bb.1:
	s_lshl_b64 s[2:3], s[28:29], 3
	s_add_u32 s2, s40, s2
	s_addc_u32 s3, s41, s3
	v_mov_b32_e32 v7, v3
	v_lshl_add_u64 v[14:15], s[2:3], 0, v[6:7]
	v_mov_b32_e32 v5, v3
	v_lshl_add_u64 v[14:15], v[14:15], 0, v[4:5]
	global_load_ubyte v9, v[10:11], off offset:192
	global_load_ubyte v22, v[10:11], off offset:128
	;; [unrolled: 1-line block ×3, first 2 shown]
	global_load_ubyte v20, v[10:11], off
	global_load_dwordx2 v[40:41], v[14:15], off
	global_load_dwordx2 v[42:43], v[14:15], off offset:512
	global_load_dwordx2 v[44:45], v[14:15], off offset:1024
	;; [unrolled: 1-line block ×3, first 2 shown]
	v_add_u32_e32 v26, v2, v12
	v_add_u32_e32 v23, 64, v26
	;; [unrolled: 1-line block ×4, first 2 shown]
	s_sub_i32 s33, s4, s28
	s_cbranch_execz .LBB16_3
	s_branch .LBB16_17
.LBB16_2:
                                        ; implicit-def: $vgpr20
                                        ; implicit-def: $vgpr21
                                        ; implicit-def: $vgpr22
                                        ; implicit-def: $vgpr9
                                        ; implicit-def: $vgpr40_vgpr41
                                        ; implicit-def: $vgpr42_vgpr43
                                        ; implicit-def: $vgpr44_vgpr45
                                        ; implicit-def: $vgpr50_vgpr51
                                        ; implicit-def: $vgpr26
                                        ; implicit-def: $vgpr23
                                        ; implicit-def: $vgpr24
                                        ; implicit-def: $vgpr25
	s_sub_i32 s33, s4, s28
.LBB16_3:
	v_cmp_gt_u32_e32 vcc, s33, v13
	s_waitcnt vmcnt(7)
	v_mov_b32_e32 v9, 0xff
	s_waitcnt vmcnt(4)
	v_mov_b32_e32 v20, 0xff
	v_mov_b32_e32 v21, 0xff
	;; [unrolled: 1-line block ×3, first 2 shown]
	s_and_saveexec_b64 s[2:3], vcc
	s_cbranch_execz .LBB16_5
; %bb.4:
	global_load_ubyte v20, v[10:11], off
	v_mov_b32_e32 v9, 0xff
	v_mov_b32_e32 v21, 0xff
	;; [unrolled: 1-line block ×3, first 2 shown]
.LBB16_5:
	s_or_b64 exec, exec, s[2:3]
	v_add_u32_e32 v23, 64, v13
	v_cmp_gt_u32_e64 s[2:3], s33, v23
	s_and_saveexec_b64 s[4:5], s[2:3]
	s_cbranch_execz .LBB16_7
; %bb.6:
	global_load_ubyte v21, v[10:11], off offset:64
.LBB16_7:
	s_or_b64 exec, exec, s[4:5]
	v_add_u32_e32 v24, 0x80, v13
	v_cmp_gt_u32_e64 s[4:5], s33, v24
	s_and_saveexec_b64 s[6:7], s[4:5]
	s_cbranch_execz .LBB16_9
; %bb.8:
	global_load_ubyte v22, v[10:11], off offset:128
.LBB16_9:
	;; [unrolled: 8-line block ×3, first 2 shown]
	s_or_b64 exec, exec, s[8:9]
	s_lshl_b64 s[8:9], s[28:29], 3
	s_add_u32 s8, s40, s8
	s_addc_u32 s9, s41, s9
	v_mov_b32_e32 v7, 0
	v_lshl_add_u64 v[10:11], s[8:9], 0, v[6:7]
	v_mov_b32_e32 v5, v7
	v_lshl_add_u64 v[4:5], v[10:11], 0, v[4:5]
                                        ; implicit-def: $vgpr40_vgpr41
	s_and_saveexec_b64 s[8:9], vcc
	s_cbranch_execnz .LBB16_54
; %bb.12:
	s_or_b64 exec, exec, s[8:9]
                                        ; implicit-def: $vgpr42_vgpr43
	s_and_saveexec_b64 s[8:9], s[2:3]
	s_cbranch_execnz .LBB16_55
.LBB16_13:
	s_or_b64 exec, exec, s[8:9]
                                        ; implicit-def: $vgpr44_vgpr45
	s_and_saveexec_b64 s[2:3], s[4:5]
	s_cbranch_execnz .LBB16_56
.LBB16_14:
	s_or_b64 exec, exec, s[2:3]
                                        ; implicit-def: $vgpr50_vgpr51
	s_and_saveexec_b64 s[2:3], s[6:7]
	s_cbranch_execz .LBB16_16
.LBB16_15:
	global_load_dwordx2 v[50:51], v[4:5], off offset:1536
.LBB16_16:
	s_or_b64 exec, exec, s[2:3]
	v_mov_b32_e32 v26, v13
.LBB16_17:
	s_load_dwordx2 s[34:35], s[0:1], 0x28
	s_load_dword s2, s[0:1], 0x3c
	v_bfe_u32 v3, v0, 10, 10
	v_bfe_u32 v0, v0, 20, 10
	v_lshlrev_b32_e32 v27, 2, v1
	v_and_b32_e32 v1, 64, v2
	s_waitcnt lgkmcnt(0)
	s_lshr_b32 s0, s2, 16
	s_and_b32 s1, s2, 0xffff
	v_mad_u32_u24 v0, v0, s0, v3
	s_waitcnt vmcnt(0)
	v_mad_u64_u32 v[4:5], s[0:1], v0, s1, v[8:9]
	v_lshrrev_b32_e32 v0, 4, v4
	v_and_b32_e32 v28, 0xffffffc, v0
	v_and_b32_e32 v0, 15, v2
	v_cmp_eq_u32_e64 s[0:1], 0, v0
	v_cmp_lt_u32_e64 s[2:3], 1, v0
	v_cmp_lt_u32_e64 s[4:5], 3, v0
	;; [unrolled: 1-line block ×3, first 2 shown]
	v_and_b32_e32 v0, 16, v2
	v_cmp_eq_u32_e64 s[8:9], 0, v0
	v_and_b32_e32 v0, 0x3c0, v8
	v_min_u32_e32 v0, 0xc0, v0
	v_or_b32_e32 v0, 63, v0
	v_cmp_eq_u32_e64 s[12:13], v8, v0
	v_subrev_co_u32_e64 v0, s[18:19], 1, v2
	v_cmp_lt_i32_e32 vcc, v0, v1
	s_mov_b32 s26, 0
	v_and_b32_e32 v1, 3, v2
	v_cndmask_b32_e32 v0, v0, v2, vcc
	v_lshlrev_b32_e32 v29, 2, v0
	v_lshrrev_b32_e32 v0, 4, v8
	v_cmp_lt_u32_e64 s[10:11], 31, v2
	v_and_b32_e32 v30, 60, v0
	v_mul_i32_i24_e32 v0, -12, v8
	v_cmp_eq_u32_e64 s[22:23], 0, v1
	v_cmp_lt_u32_e64 s[24:25], 1, v1
	v_mul_lo_u32 v1, v26, 7
	v_mul_lo_u32 v2, v23, 7
	v_mul_lo_u32 v3, v24, 7
	v_mul_lo_u32 v4, v25, 7
	s_mov_b32 s27, s26
	s_mov_b32 s40, s26
	;; [unrolled: 1-line block ×3, first 2 shown]
	s_add_i32 s36, s35, s34
	v_cmp_gt_u32_e64 s[14:15], 4, v8
	v_cmp_lt_u32_e64 s[16:17], 63, v8
	v_cmp_eq_u32_e64 s[20:21], 0, v8
	v_add_u32_e32 v31, -4, v30
	v_mov_b64_e32 v[6:7], s[26:27]
	v_mov_b64_e32 v[12:13], s[40:41]
	v_mov_b32_e32 v15, 0
	v_add_u32_e32 v32, v27, v0
	v_add_u32_e32 v33, v26, v1
	;; [unrolled: 1-line block ×5, first 2 shown]
	s_branch .LBB16_19
.LBB16_18:                              ;   in Loop: Header=BB16_19 Depth=1
	s_andn2_b64 vcc, exec, s[26:27]
	s_cbranch_vccz .LBB16_35
.LBB16_19:                              ; =>This Inner Loop Header: Depth=1
	s_min_u32 s26, s35, 8
	s_lshl_b32 s37, -1, s26
	v_lshrrev_b32_sdwa v0, s34, v20 dst_sel:DWORD dst_unused:UNUSED_PAD src0_sel:DWORD src1_sel:BYTE_0
	v_bitop3_b32 v2, v0, s37, v0 bitop3:0x30
	v_and_b32_e32 v14, 1, v2
	v_lshl_add_u64 v[0:1], v[14:15], 0, -1
	v_cmp_ne_u32_e32 vcc, 0, v14
	v_lshlrev_b32_e32 v3, 4, v2
	v_mov_b64_e32 v[18:19], v[40:41]
	v_xor_b32_e32 v1, vcc_hi, v1
	v_xor_b32_e32 v0, vcc_lo, v0
	v_and_b32_e32 v14, exec_hi, v1
	v_and_b32_e32 v37, exec_lo, v0
	v_lshlrev_b32_e32 v1, 30, v2
	v_mov_b32_e32 v0, v15
	v_cmp_gt_i64_e32 vcc, 0, v[0:1]
	v_not_b32_e32 v0, v1
	v_ashrrev_i32_e32 v0, 31, v0
	v_xor_b32_e32 v1, vcc_hi, v0
	v_xor_b32_e32 v0, vcc_lo, v0
	v_and_b32_e32 v14, v14, v1
	v_and_b32_e32 v37, v37, v0
	v_lshlrev_b32_e32 v1, 29, v2
	v_mov_b32_e32 v0, v15
	v_cmp_gt_i64_e32 vcc, 0, v[0:1]
	v_not_b32_e32 v0, v1
	v_ashrrev_i32_e32 v0, 31, v0
	v_xor_b32_e32 v1, vcc_hi, v0
	v_xor_b32_e32 v0, vcc_lo, v0
	v_and_b32_e32 v14, v14, v1
	v_and_b32_e32 v37, v37, v0
	;; [unrolled: 9-line block ×7, first 2 shown]
	v_mbcnt_lo_u32_b32 v2, v0, 0
	v_mbcnt_hi_u32_b32 v37, v1, v2
	v_cmp_eq_u32_e32 vcc, 0, v37
	v_cmp_ne_u64_e64 s[26:27], 0, v[0:1]
	v_mov_b64_e32 v[16:17], v[42:43]
	v_mov_b64_e32 v[10:11], v[44:45]
	v_mov_b64_e32 v[4:5], v[50:51]
	s_and_b64 s[40:41], s[26:27], vcc
	v_add_u32_e32 v38, v28, v3
	ds_write2_b64 v27, v[6:7], v[12:13] offset0:2 offset1:3
	s_waitcnt lgkmcnt(0)
	s_barrier
	; wave barrier
	s_and_saveexec_b64 s[26:27], s[40:41]
; %bb.20:                               ;   in Loop: Header=BB16_19 Depth=1
	v_bcnt_u32_b32 v0, v0, 0
	v_bcnt_u32_b32 v0, v1, v0
	ds_write_b32 v38, v0 offset:16
; %bb.21:                               ;   in Loop: Header=BB16_19 Depth=1
	s_or_b64 exec, exec, s[26:27]
	s_not_b32 s37, s37
	v_lshrrev_b32_sdwa v0, s34, v21 dst_sel:DWORD dst_unused:UNUSED_PAD src0_sel:DWORD src1_sel:BYTE_0
	v_and_b32_e32 v2, s37, v0
	v_lshlrev_b32_e32 v0, 4, v2
	v_and_b32_e32 v14, 1, v2
	v_add_u32_e32 v40, v28, v0
	v_lshl_add_u64 v[0:1], v[14:15], 0, -1
	v_cmp_ne_u32_e32 vcc, 0, v14
	; wave barrier
	s_nop 1
	v_xor_b32_e32 v1, vcc_hi, v1
	v_xor_b32_e32 v0, vcc_lo, v0
	v_and_b32_e32 v3, exec_hi, v1
	v_and_b32_e32 v14, exec_lo, v0
	v_lshlrev_b32_e32 v1, 30, v2
	v_mov_b32_e32 v0, v15
	v_cmp_gt_i64_e32 vcc, 0, v[0:1]
	v_not_b32_e32 v0, v1
	v_ashrrev_i32_e32 v0, 31, v0
	v_xor_b32_e32 v1, vcc_hi, v0
	v_xor_b32_e32 v0, vcc_lo, v0
	v_and_b32_e32 v3, v3, v1
	v_and_b32_e32 v14, v14, v0
	v_lshlrev_b32_e32 v1, 29, v2
	v_mov_b32_e32 v0, v15
	v_cmp_gt_i64_e32 vcc, 0, v[0:1]
	v_not_b32_e32 v0, v1
	v_ashrrev_i32_e32 v0, 31, v0
	v_xor_b32_e32 v1, vcc_hi, v0
	v_xor_b32_e32 v0, vcc_lo, v0
	v_and_b32_e32 v3, v3, v1
	v_and_b32_e32 v14, v14, v0
	;; [unrolled: 9-line block ×6, first 2 shown]
	v_lshlrev_b32_e32 v1, 24, v2
	v_mov_b32_e32 v0, v15
	v_cmp_gt_i64_e32 vcc, 0, v[0:1]
	v_not_b32_e32 v0, v1
	v_ashrrev_i32_e32 v0, 31, v0
	v_xor_b32_e32 v1, vcc_hi, v0
	v_xor_b32_e32 v0, vcc_lo, v0
	ds_read_b32 v39, v40 offset:16
	v_and_b32_e32 v0, v14, v0
	v_and_b32_e32 v1, v3, v1
	v_mbcnt_lo_u32_b32 v2, v0, 0
	v_mbcnt_hi_u32_b32 v41, v1, v2
	v_cmp_eq_u32_e32 vcc, 0, v41
	v_cmp_ne_u64_e64 s[26:27], 0, v[0:1]
	s_and_b64 s[40:41], s[26:27], vcc
	; wave barrier
	s_and_saveexec_b64 s[26:27], s[40:41]
	s_cbranch_execz .LBB16_23
; %bb.22:                               ;   in Loop: Header=BB16_19 Depth=1
	v_bcnt_u32_b32 v0, v0, 0
	v_bcnt_u32_b32 v0, v1, v0
	s_waitcnt lgkmcnt(0)
	v_add_u32_e32 v0, v39, v0
	ds_write_b32 v40, v0 offset:16
.LBB16_23:                              ;   in Loop: Header=BB16_19 Depth=1
	s_or_b64 exec, exec, s[26:27]
	v_lshrrev_b32_sdwa v0, s34, v22 dst_sel:DWORD dst_unused:UNUSED_PAD src0_sel:DWORD src1_sel:BYTE_0
	v_and_b32_e32 v2, s37, v0
	v_lshlrev_b32_e32 v0, 4, v2
	v_and_b32_e32 v14, 1, v2
	v_add_u32_e32 v43, v28, v0
	v_lshl_add_u64 v[0:1], v[14:15], 0, -1
	v_cmp_ne_u32_e32 vcc, 0, v14
	; wave barrier
	s_nop 1
	v_xor_b32_e32 v1, vcc_hi, v1
	v_xor_b32_e32 v0, vcc_lo, v0
	v_and_b32_e32 v3, exec_hi, v1
	v_and_b32_e32 v14, exec_lo, v0
	v_lshlrev_b32_e32 v1, 30, v2
	v_mov_b32_e32 v0, v15
	v_cmp_gt_i64_e32 vcc, 0, v[0:1]
	v_not_b32_e32 v0, v1
	v_ashrrev_i32_e32 v0, 31, v0
	v_xor_b32_e32 v1, vcc_hi, v0
	v_xor_b32_e32 v0, vcc_lo, v0
	v_and_b32_e32 v3, v3, v1
	v_and_b32_e32 v14, v14, v0
	v_lshlrev_b32_e32 v1, 29, v2
	v_mov_b32_e32 v0, v15
	v_cmp_gt_i64_e32 vcc, 0, v[0:1]
	v_not_b32_e32 v0, v1
	v_ashrrev_i32_e32 v0, 31, v0
	v_xor_b32_e32 v1, vcc_hi, v0
	v_xor_b32_e32 v0, vcc_lo, v0
	v_and_b32_e32 v3, v3, v1
	v_and_b32_e32 v14, v14, v0
	;; [unrolled: 9-line block ×6, first 2 shown]
	v_lshlrev_b32_e32 v1, 24, v2
	v_mov_b32_e32 v0, v15
	v_cmp_gt_i64_e32 vcc, 0, v[0:1]
	v_not_b32_e32 v0, v1
	v_ashrrev_i32_e32 v0, 31, v0
	v_xor_b32_e32 v1, vcc_hi, v0
	v_xor_b32_e32 v0, vcc_lo, v0
	ds_read_b32 v42, v43 offset:16
	v_and_b32_e32 v0, v14, v0
	v_and_b32_e32 v1, v3, v1
	v_mbcnt_lo_u32_b32 v2, v0, 0
	v_mbcnt_hi_u32_b32 v44, v1, v2
	v_cmp_eq_u32_e32 vcc, 0, v44
	v_cmp_ne_u64_e64 s[26:27], 0, v[0:1]
	s_and_b64 s[40:41], s[26:27], vcc
	; wave barrier
	s_and_saveexec_b64 s[26:27], s[40:41]
	s_cbranch_execz .LBB16_25
; %bb.24:                               ;   in Loop: Header=BB16_19 Depth=1
	v_bcnt_u32_b32 v0, v0, 0
	v_bcnt_u32_b32 v0, v1, v0
	s_waitcnt lgkmcnt(0)
	v_add_u32_e32 v0, v42, v0
	ds_write_b32 v43, v0 offset:16
.LBB16_25:                              ;   in Loop: Header=BB16_19 Depth=1
	s_or_b64 exec, exec, s[26:27]
	v_lshrrev_b32_sdwa v0, s34, v9 dst_sel:DWORD dst_unused:UNUSED_PAD src0_sel:DWORD src1_sel:BYTE_0
	v_and_b32_e32 v2, s37, v0
	v_lshlrev_b32_e32 v0, 4, v2
	v_and_b32_e32 v14, 1, v2
	v_add_u32_e32 v46, v28, v0
	v_lshl_add_u64 v[0:1], v[14:15], 0, -1
	v_cmp_ne_u32_e32 vcc, 0, v14
	; wave barrier
	s_nop 1
	v_xor_b32_e32 v1, vcc_hi, v1
	v_xor_b32_e32 v0, vcc_lo, v0
	v_and_b32_e32 v3, exec_hi, v1
	v_and_b32_e32 v14, exec_lo, v0
	v_lshlrev_b32_e32 v1, 30, v2
	v_mov_b32_e32 v0, v15
	v_cmp_gt_i64_e32 vcc, 0, v[0:1]
	v_not_b32_e32 v0, v1
	v_ashrrev_i32_e32 v0, 31, v0
	v_xor_b32_e32 v1, vcc_hi, v0
	v_xor_b32_e32 v0, vcc_lo, v0
	v_and_b32_e32 v3, v3, v1
	v_and_b32_e32 v14, v14, v0
	v_lshlrev_b32_e32 v1, 29, v2
	v_mov_b32_e32 v0, v15
	v_cmp_gt_i64_e32 vcc, 0, v[0:1]
	v_not_b32_e32 v0, v1
	v_ashrrev_i32_e32 v0, 31, v0
	v_xor_b32_e32 v1, vcc_hi, v0
	v_xor_b32_e32 v0, vcc_lo, v0
	v_and_b32_e32 v3, v3, v1
	v_and_b32_e32 v14, v14, v0
	v_lshlrev_b32_e32 v1, 28, v2
	v_mov_b32_e32 v0, v15
	v_cmp_gt_i64_e32 vcc, 0, v[0:1]
	v_not_b32_e32 v0, v1
	v_ashrrev_i32_e32 v0, 31, v0
	v_xor_b32_e32 v1, vcc_hi, v0
	v_xor_b32_e32 v0, vcc_lo, v0
	v_and_b32_e32 v3, v3, v1
	v_and_b32_e32 v14, v14, v0
	v_lshlrev_b32_e32 v1, 27, v2
	v_mov_b32_e32 v0, v15
	v_cmp_gt_i64_e32 vcc, 0, v[0:1]
	v_not_b32_e32 v0, v1
	v_ashrrev_i32_e32 v0, 31, v0
	v_xor_b32_e32 v1, vcc_hi, v0
	v_xor_b32_e32 v0, vcc_lo, v0
	v_and_b32_e32 v3, v3, v1
	v_and_b32_e32 v14, v14, v0
	v_lshlrev_b32_e32 v1, 26, v2
	v_mov_b32_e32 v0, v15
	v_cmp_gt_i64_e32 vcc, 0, v[0:1]
	v_not_b32_e32 v0, v1
	v_ashrrev_i32_e32 v0, 31, v0
	v_xor_b32_e32 v1, vcc_hi, v0
	v_xor_b32_e32 v0, vcc_lo, v0
	v_and_b32_e32 v3, v3, v1
	v_and_b32_e32 v14, v14, v0
	v_lshlrev_b32_e32 v1, 25, v2
	v_mov_b32_e32 v0, v15
	v_cmp_gt_i64_e32 vcc, 0, v[0:1]
	v_not_b32_e32 v0, v1
	v_ashrrev_i32_e32 v0, 31, v0
	v_xor_b32_e32 v1, vcc_hi, v0
	v_xor_b32_e32 v0, vcc_lo, v0
	v_and_b32_e32 v3, v3, v1
	v_and_b32_e32 v14, v14, v0
	v_lshlrev_b32_e32 v1, 24, v2
	v_mov_b32_e32 v0, v15
	v_cmp_gt_i64_e32 vcc, 0, v[0:1]
	v_not_b32_e32 v0, v1
	v_ashrrev_i32_e32 v0, 31, v0
	v_xor_b32_e32 v1, vcc_hi, v0
	v_xor_b32_e32 v0, vcc_lo, v0
	ds_read_b32 v45, v46 offset:16
	v_and_b32_e32 v0, v14, v0
	v_and_b32_e32 v1, v3, v1
	v_mbcnt_lo_u32_b32 v2, v0, 0
	v_mbcnt_hi_u32_b32 v49, v1, v2
	v_cmp_eq_u32_e32 vcc, 0, v49
	v_cmp_ne_u64_e64 s[26:27], 0, v[0:1]
	s_and_b64 s[40:41], s[26:27], vcc
	; wave barrier
	s_and_saveexec_b64 s[26:27], s[40:41]
	s_cbranch_execz .LBB16_27
; %bb.26:                               ;   in Loop: Header=BB16_19 Depth=1
	v_bcnt_u32_b32 v0, v0, 0
	v_bcnt_u32_b32 v0, v1, v0
	s_waitcnt lgkmcnt(0)
	v_add_u32_e32 v0, v45, v0
	ds_write_b32 v46, v0 offset:16
.LBB16_27:                              ;   in Loop: Header=BB16_19 Depth=1
	s_or_b64 exec, exec, s[26:27]
	; wave barrier
	s_waitcnt lgkmcnt(0)
	s_barrier
	ds_read2_b64 v[0:3], v27 offset0:2 offset1:3
	s_waitcnt lgkmcnt(0)
	v_add_u32_e32 v14, v1, v0
	v_add3_u32 v3, v14, v2, v3
	s_nop 1
	v_mov_b32_dpp v14, v3 row_shr:1 row_mask:0xf bank_mask:0xf
	v_cndmask_b32_e64 v14, v14, 0, s[0:1]
	v_add_u32_e32 v3, v14, v3
	s_nop 1
	v_mov_b32_dpp v14, v3 row_shr:2 row_mask:0xf bank_mask:0xf
	v_cndmask_b32_e64 v14, 0, v14, s[2:3]
	v_add_u32_e32 v3, v3, v14
	;; [unrolled: 4-line block ×4, first 2 shown]
	s_nop 1
	v_mov_b32_dpp v14, v3 row_bcast:15 row_mask:0xf bank_mask:0xf
	v_cndmask_b32_e64 v14, v14, 0, s[8:9]
	v_add_u32_e32 v3, v3, v14
	s_nop 1
	v_mov_b32_dpp v14, v3 row_bcast:31 row_mask:0xf bank_mask:0xf
	v_cndmask_b32_e64 v14, 0, v14, s[10:11]
	v_add_u32_e32 v3, v3, v14
	s_and_saveexec_b64 s[26:27], s[12:13]
; %bb.28:                               ;   in Loop: Header=BB16_19 Depth=1
	ds_write_b32 v30, v3
; %bb.29:                               ;   in Loop: Header=BB16_19 Depth=1
	s_or_b64 exec, exec, s[26:27]
	s_waitcnt lgkmcnt(0)
	s_barrier
	s_and_saveexec_b64 s[26:27], s[14:15]
	s_cbranch_execz .LBB16_31
; %bb.30:                               ;   in Loop: Header=BB16_19 Depth=1
	ds_read_b32 v14, v32
	s_waitcnt lgkmcnt(0)
	s_nop 0
	v_mov_b32_dpp v47, v14 row_shr:1 row_mask:0xf bank_mask:0xf
	v_cndmask_b32_e64 v47, v47, 0, s[22:23]
	v_add_u32_e32 v14, v47, v14
	s_nop 1
	v_mov_b32_dpp v47, v14 row_shr:2 row_mask:0xf bank_mask:0xf
	v_cndmask_b32_e64 v47, 0, v47, s[24:25]
	v_add_u32_e32 v14, v14, v47
	ds_write_b32 v32, v14
.LBB16_31:                              ;   in Loop: Header=BB16_19 Depth=1
	s_or_b64 exec, exec, s[26:27]
	v_mov_b32_e32 v14, 0
	s_waitcnt lgkmcnt(0)
	s_barrier
	s_and_saveexec_b64 s[26:27], s[16:17]
; %bb.32:                               ;   in Loop: Header=BB16_19 Depth=1
	ds_read_b32 v14, v31
; %bb.33:                               ;   in Loop: Header=BB16_19 Depth=1
	s_or_b64 exec, exec, s[26:27]
	s_waitcnt lgkmcnt(0)
	v_add_u32_e32 v3, v14, v3
	ds_bpermute_b32 v50, v29, v3
	s_add_i32 s34, s34, 8
	v_mov_b32_e32 v3, v20
	v_mov_b32_e32 v47, v21
	;; [unrolled: 1-line block ×3, first 2 shown]
	s_waitcnt lgkmcnt(0)
	v_cndmask_b32_e64 v14, v50, v14, s[18:19]
	v_cndmask_b32_e64 v50, v14, 0, s[20:21]
	v_add_u32_e32 v51, v50, v0
	v_add_u32_e32 v0, v51, v1
	;; [unrolled: 1-line block ×3, first 2 shown]
	ds_write2_b64 v27, v[50:51], v[0:1] offset0:2 offset1:3
	s_waitcnt lgkmcnt(0)
	s_barrier
	ds_read_b32 v0, v38 offset:16
	ds_read_b32 v2, v40 offset:16
	;; [unrolled: 1-line block ×4, first 2 shown]
	v_mov_b32_e32 v38, v9
	s_waitcnt lgkmcnt(3)
	v_add_u32_e32 v1, v0, v37
	s_waitcnt lgkmcnt(2)
	v_add3_u32 v14, v41, v39, v2
	s_waitcnt lgkmcnt(1)
	v_add3_u32 v2, v44, v42, v40
	;; [unrolled: 2-line block ×3, first 2 shown]
	s_cmp_ge_u32 s34, s36
	v_mul_lo_u32 v37, v1, 7
	s_mov_b64 s[26:27], -1
                                        ; implicit-def: $vgpr40_vgpr41
                                        ; implicit-def: $vgpr42_vgpr43
                                        ; implicit-def: $vgpr44_vgpr45
                                        ; implicit-def: $vgpr50_vgpr51
	s_cbranch_scc1 .LBB16_18
; %bb.34:                               ;   in Loop: Header=BB16_19 Depth=1
	v_add_u32_e32 v39, v1, v37
	v_mad_u64_u32 v[40:41], s[26:27], v14, 7, v[14:15]
	s_barrier
	ds_write_b8 v1, v20
	ds_write_b8 v14, v21
	;; [unrolled: 1-line block ×4, first 2 shown]
	s_waitcnt lgkmcnt(0)
	s_barrier
	ds_read_u8 v9, v25
	ds_read_u8 v22, v24
	;; [unrolled: 1-line block ×4, first 2 shown]
	s_waitcnt lgkmcnt(0)
	s_barrier
	ds_write_b64 v39, v[18:19]
	ds_write_b64 v40, v[16:17]
	v_mad_u64_u32 v[40:41], s[26:27], v2, 7, v[2:3]
	ds_write_b64 v40, v[10:11]
	v_mad_u64_u32 v[40:41], s[26:27], v0, 7, v[0:1]
	ds_write_b64 v40, v[4:5]
	s_waitcnt lgkmcnt(0)
	s_barrier
	ds_read_b64 v[40:41], v33
	ds_read_b64 v[42:43], v34
	;; [unrolled: 1-line block ×4, first 2 shown]
	s_add_i32 s35, s35, -8
	s_mov_b64 s[26:27], 0
	s_waitcnt lgkmcnt(0)
	s_barrier
	s_branch .LBB16_18
.LBB16_35:
	s_barrier
	ds_write_b8 v1, v3
	ds_write_b8 v14, v47
	;; [unrolled: 1-line block ×4, first 2 shown]
	s_waitcnt lgkmcnt(0)
	s_barrier
	ds_read_u8 v22, v8
	ds_read_u8 v21, v8 offset:256
	ds_read_u8 v20, v8 offset:512
	;; [unrolled: 1-line block ×3, first 2 shown]
	v_add_u32_e32 v1, v1, v37
	s_waitcnt lgkmcnt(0)
	s_barrier
	ds_write_b64 v1, v[18:19]
	v_mad_u64_u32 v[6:7], s[0:1], v14, 7, v[14:15]
	v_mad_u64_u32 v[2:3], s[0:1], v2, 7, v[2:3]
	;; [unrolled: 1-line block ×3, first 2 shown]
	ds_write_b64 v6, v[16:17]
	ds_write_b64 v2, v[10:11]
	;; [unrolled: 1-line block ×3, first 2 shown]
	v_mad_u32_u24 v0, v8, 7, v8
	s_waitcnt lgkmcnt(0)
	s_barrier
	ds_read2st64_b64 v[4:7], v0 offset1:4
	ds_read2st64_b64 v[0:3], v0 offset0:8 offset1:12
	s_add_u32 s0, s38, s28
	s_addc_u32 s1, s39, 0
	v_mov_b32_e32 v9, 0
	v_lshl_add_u64 v[12:13], s[0:1], 0, v[8:9]
	s_andn2_b64 vcc, exec, s[30:31]
	v_lshlrev_b32_e32 v10, 3, v8
	s_cbranch_vccnz .LBB16_37
; %bb.36:
	s_lshl_b64 s[0:1], s[28:29], 3
	s_add_u32 s0, s42, s0
	s_addc_u32 s1, s43, s1
	v_mov_b32_e32 v11, v9
	v_lshl_add_u64 v[16:17], s[0:1], 0, v[10:11]
	v_add_co_u32_e32 v16, vcc, 0x1000, v16
	global_store_byte v[12:13], v22, off
	global_store_byte v[12:13], v21, off offset:256
	global_store_byte v[12:13], v20, off offset:512
	;; [unrolled: 1-line block ×3, first 2 shown]
	s_waitcnt lgkmcnt(1)
	global_store_dwordx2 v10, v[4:5], s[0:1]
	global_store_dwordx2 v10, v[6:7], s[0:1] offset:2048
	v_addc_co_u32_e32 v17, vcc, 0, v17, vcc
	s_mov_b64 s[4:5], -1
	s_waitcnt lgkmcnt(0)
	global_store_dwordx2 v[16:17], v[0:1], off
	s_cbranch_execz .LBB16_38
	s_branch .LBB16_51
.LBB16_37:
	s_mov_b64 s[4:5], 0
.LBB16_38:
	v_cmp_gt_u32_e32 vcc, s33, v8
	s_and_saveexec_b64 s[0:1], vcc
	s_cbranch_execz .LBB16_40
; %bb.39:
	global_store_byte v[12:13], v22, off
.LBB16_40:
	s_or_b64 exec, exec, s[0:1]
	v_add_u32_e32 v9, 0x100, v8
	v_cmp_gt_u32_e64 s[0:1], s33, v9
	s_and_saveexec_b64 s[2:3], s[0:1]
	s_cbranch_execz .LBB16_42
; %bb.41:
	global_store_byte v[12:13], v21, off offset:256
.LBB16_42:
	s_or_b64 exec, exec, s[2:3]
	v_add_u32_e32 v9, 0x200, v8
	v_cmp_gt_u32_e64 s[2:3], s33, v9
	s_and_saveexec_b64 s[4:5], s[2:3]
	s_cbranch_execz .LBB16_44
; %bb.43:
	global_store_byte v[12:13], v20, off offset:512
.LBB16_44:
	;; [unrolled: 8-line block ×3, first 2 shown]
	s_or_b64 exec, exec, s[6:7]
	s_lshl_b64 s[6:7], s[28:29], 3
	s_add_u32 s6, s42, s6
	s_addc_u32 s7, s43, s7
	v_mov_b32_e32 v11, 0
	v_lshl_add_u64 v[8:9], s[6:7], 0, v[10:11]
	s_and_saveexec_b64 s[6:7], vcc
	s_cbranch_execnz .LBB16_57
; %bb.47:
	s_or_b64 exec, exec, s[6:7]
	s_and_saveexec_b64 s[6:7], s[0:1]
	s_cbranch_execnz .LBB16_58
.LBB16_48:
	s_or_b64 exec, exec, s[6:7]
	s_and_saveexec_b64 s[0:1], s[2:3]
	s_cbranch_execz .LBB16_50
.LBB16_49:
	s_waitcnt lgkmcnt(1)
	v_add_co_u32_e32 v4, vcc, 0x1000, v8
	s_nop 1
	v_addc_co_u32_e32 v5, vcc, 0, v9, vcc
	s_waitcnt lgkmcnt(0)
	global_store_dwordx2 v[4:5], v[0:1], off
.LBB16_50:
	s_or_b64 exec, exec, s[0:1]
.LBB16_51:
	s_and_saveexec_b64 s[0:1], s[4:5]
	s_cbranch_execnz .LBB16_53
; %bb.52:
	s_endpgm
.LBB16_53:
	s_lshl_b64 s[0:1], s[28:29], 3
	s_add_u32 s0, s42, s0
	s_addc_u32 s1, s43, s1
	v_mov_b32_e32 v11, 0
	s_waitcnt lgkmcnt(0)
	v_lshl_add_u64 v[0:1], s[0:1], 0, v[10:11]
	v_add_co_u32_e32 v0, vcc, 0x1000, v0
	s_nop 1
	v_addc_co_u32_e32 v1, vcc, 0, v1, vcc
	global_store_dwordx2 v[0:1], v[2:3], off offset:2048
	s_endpgm
.LBB16_54:
	global_load_dwordx2 v[40:41], v[4:5], off
	s_or_b64 exec, exec, s[8:9]
                                        ; implicit-def: $vgpr42_vgpr43
	s_and_saveexec_b64 s[8:9], s[2:3]
	s_cbranch_execz .LBB16_13
.LBB16_55:
	global_load_dwordx2 v[42:43], v[4:5], off offset:512
	s_or_b64 exec, exec, s[8:9]
                                        ; implicit-def: $vgpr44_vgpr45
	s_and_saveexec_b64 s[2:3], s[4:5]
	s_cbranch_execz .LBB16_14
.LBB16_56:
	global_load_dwordx2 v[44:45], v[4:5], off offset:1024
	s_or_b64 exec, exec, s[2:3]
                                        ; implicit-def: $vgpr50_vgpr51
	s_and_saveexec_b64 s[2:3], s[6:7]
	s_cbranch_execnz .LBB16_15
	s_branch .LBB16_16
.LBB16_57:
	s_waitcnt lgkmcnt(1)
	global_store_dwordx2 v[8:9], v[4:5], off
	s_or_b64 exec, exec, s[6:7]
	s_and_saveexec_b64 s[6:7], s[0:1]
	s_cbranch_execz .LBB16_48
.LBB16_58:
	s_waitcnt lgkmcnt(1)
	global_store_dwordx2 v[8:9], v[6:7], off offset:2048
	s_or_b64 exec, exec, s[6:7]
	s_and_saveexec_b64 s[0:1], s[2:3]
	s_cbranch_execnz .LBB16_49
	s_branch .LBB16_50
	.section	.rodata,"a",@progbits
	.p2align	6, 0x0
	.amdhsa_kernel _ZN7rocprim17ROCPRIM_304000_NS6detail28radix_sort_block_sort_kernelINS1_36wrapped_radix_sort_block_sort_configINS0_13kernel_configILj256ELj4ELj4294967295EEEhN2at4cuda3cub6detail10OpaqueTypeILi8EEEEELb0EPKhPhPKSB_PSB_NS0_19identity_decomposerEEEvT1_T2_T3_T4_jT5_jj
		.amdhsa_group_segment_fixed_size 8192
		.amdhsa_private_segment_fixed_size 0
		.amdhsa_kernarg_size 304
		.amdhsa_user_sgpr_count 2
		.amdhsa_user_sgpr_dispatch_ptr 0
		.amdhsa_user_sgpr_queue_ptr 0
		.amdhsa_user_sgpr_kernarg_segment_ptr 1
		.amdhsa_user_sgpr_dispatch_id 0
		.amdhsa_user_sgpr_kernarg_preload_length 0
		.amdhsa_user_sgpr_kernarg_preload_offset 0
		.amdhsa_user_sgpr_private_segment_size 0
		.amdhsa_uses_dynamic_stack 0
		.amdhsa_enable_private_segment 0
		.amdhsa_system_sgpr_workgroup_id_x 1
		.amdhsa_system_sgpr_workgroup_id_y 0
		.amdhsa_system_sgpr_workgroup_id_z 0
		.amdhsa_system_sgpr_workgroup_info 0
		.amdhsa_system_vgpr_workitem_id 2
		.amdhsa_next_free_vgpr 52
		.amdhsa_next_free_sgpr 44
		.amdhsa_accum_offset 52
		.amdhsa_reserve_vcc 1
		.amdhsa_float_round_mode_32 0
		.amdhsa_float_round_mode_16_64 0
		.amdhsa_float_denorm_mode_32 3
		.amdhsa_float_denorm_mode_16_64 3
		.amdhsa_dx10_clamp 1
		.amdhsa_ieee_mode 1
		.amdhsa_fp16_overflow 0
		.amdhsa_tg_split 0
		.amdhsa_exception_fp_ieee_invalid_op 0
		.amdhsa_exception_fp_denorm_src 0
		.amdhsa_exception_fp_ieee_div_zero 0
		.amdhsa_exception_fp_ieee_overflow 0
		.amdhsa_exception_fp_ieee_underflow 0
		.amdhsa_exception_fp_ieee_inexact 0
		.amdhsa_exception_int_div_zero 0
	.end_amdhsa_kernel
	.section	.text._ZN7rocprim17ROCPRIM_304000_NS6detail28radix_sort_block_sort_kernelINS1_36wrapped_radix_sort_block_sort_configINS0_13kernel_configILj256ELj4ELj4294967295EEEhN2at4cuda3cub6detail10OpaqueTypeILi8EEEEELb0EPKhPhPKSB_PSB_NS0_19identity_decomposerEEEvT1_T2_T3_T4_jT5_jj,"axG",@progbits,_ZN7rocprim17ROCPRIM_304000_NS6detail28radix_sort_block_sort_kernelINS1_36wrapped_radix_sort_block_sort_configINS0_13kernel_configILj256ELj4ELj4294967295EEEhN2at4cuda3cub6detail10OpaqueTypeILi8EEEEELb0EPKhPhPKSB_PSB_NS0_19identity_decomposerEEEvT1_T2_T3_T4_jT5_jj,comdat
.Lfunc_end16:
	.size	_ZN7rocprim17ROCPRIM_304000_NS6detail28radix_sort_block_sort_kernelINS1_36wrapped_radix_sort_block_sort_configINS0_13kernel_configILj256ELj4ELj4294967295EEEhN2at4cuda3cub6detail10OpaqueTypeILi8EEEEELb0EPKhPhPKSB_PSB_NS0_19identity_decomposerEEEvT1_T2_T3_T4_jT5_jj, .Lfunc_end16-_ZN7rocprim17ROCPRIM_304000_NS6detail28radix_sort_block_sort_kernelINS1_36wrapped_radix_sort_block_sort_configINS0_13kernel_configILj256ELj4ELj4294967295EEEhN2at4cuda3cub6detail10OpaqueTypeILi8EEEEELb0EPKhPhPKSB_PSB_NS0_19identity_decomposerEEEvT1_T2_T3_T4_jT5_jj
                                        ; -- End function
	.set _ZN7rocprim17ROCPRIM_304000_NS6detail28radix_sort_block_sort_kernelINS1_36wrapped_radix_sort_block_sort_configINS0_13kernel_configILj256ELj4ELj4294967295EEEhN2at4cuda3cub6detail10OpaqueTypeILi8EEEEELb0EPKhPhPKSB_PSB_NS0_19identity_decomposerEEEvT1_T2_T3_T4_jT5_jj.num_vgpr, 52
	.set _ZN7rocprim17ROCPRIM_304000_NS6detail28radix_sort_block_sort_kernelINS1_36wrapped_radix_sort_block_sort_configINS0_13kernel_configILj256ELj4ELj4294967295EEEhN2at4cuda3cub6detail10OpaqueTypeILi8EEEEELb0EPKhPhPKSB_PSB_NS0_19identity_decomposerEEEvT1_T2_T3_T4_jT5_jj.num_agpr, 0
	.set _ZN7rocprim17ROCPRIM_304000_NS6detail28radix_sort_block_sort_kernelINS1_36wrapped_radix_sort_block_sort_configINS0_13kernel_configILj256ELj4ELj4294967295EEEhN2at4cuda3cub6detail10OpaqueTypeILi8EEEEELb0EPKhPhPKSB_PSB_NS0_19identity_decomposerEEEvT1_T2_T3_T4_jT5_jj.numbered_sgpr, 44
	.set _ZN7rocprim17ROCPRIM_304000_NS6detail28radix_sort_block_sort_kernelINS1_36wrapped_radix_sort_block_sort_configINS0_13kernel_configILj256ELj4ELj4294967295EEEhN2at4cuda3cub6detail10OpaqueTypeILi8EEEEELb0EPKhPhPKSB_PSB_NS0_19identity_decomposerEEEvT1_T2_T3_T4_jT5_jj.num_named_barrier, 0
	.set _ZN7rocprim17ROCPRIM_304000_NS6detail28radix_sort_block_sort_kernelINS1_36wrapped_radix_sort_block_sort_configINS0_13kernel_configILj256ELj4ELj4294967295EEEhN2at4cuda3cub6detail10OpaqueTypeILi8EEEEELb0EPKhPhPKSB_PSB_NS0_19identity_decomposerEEEvT1_T2_T3_T4_jT5_jj.private_seg_size, 0
	.set _ZN7rocprim17ROCPRIM_304000_NS6detail28radix_sort_block_sort_kernelINS1_36wrapped_radix_sort_block_sort_configINS0_13kernel_configILj256ELj4ELj4294967295EEEhN2at4cuda3cub6detail10OpaqueTypeILi8EEEEELb0EPKhPhPKSB_PSB_NS0_19identity_decomposerEEEvT1_T2_T3_T4_jT5_jj.uses_vcc, 1
	.set _ZN7rocprim17ROCPRIM_304000_NS6detail28radix_sort_block_sort_kernelINS1_36wrapped_radix_sort_block_sort_configINS0_13kernel_configILj256ELj4ELj4294967295EEEhN2at4cuda3cub6detail10OpaqueTypeILi8EEEEELb0EPKhPhPKSB_PSB_NS0_19identity_decomposerEEEvT1_T2_T3_T4_jT5_jj.uses_flat_scratch, 0
	.set _ZN7rocprim17ROCPRIM_304000_NS6detail28radix_sort_block_sort_kernelINS1_36wrapped_radix_sort_block_sort_configINS0_13kernel_configILj256ELj4ELj4294967295EEEhN2at4cuda3cub6detail10OpaqueTypeILi8EEEEELb0EPKhPhPKSB_PSB_NS0_19identity_decomposerEEEvT1_T2_T3_T4_jT5_jj.has_dyn_sized_stack, 0
	.set _ZN7rocprim17ROCPRIM_304000_NS6detail28radix_sort_block_sort_kernelINS1_36wrapped_radix_sort_block_sort_configINS0_13kernel_configILj256ELj4ELj4294967295EEEhN2at4cuda3cub6detail10OpaqueTypeILi8EEEEELb0EPKhPhPKSB_PSB_NS0_19identity_decomposerEEEvT1_T2_T3_T4_jT5_jj.has_recursion, 0
	.set _ZN7rocprim17ROCPRIM_304000_NS6detail28radix_sort_block_sort_kernelINS1_36wrapped_radix_sort_block_sort_configINS0_13kernel_configILj256ELj4ELj4294967295EEEhN2at4cuda3cub6detail10OpaqueTypeILi8EEEEELb0EPKhPhPKSB_PSB_NS0_19identity_decomposerEEEvT1_T2_T3_T4_jT5_jj.has_indirect_call, 0
	.section	.AMDGPU.csdata,"",@progbits
; Kernel info:
; codeLenInByte = 3920
; TotalNumSgprs: 50
; NumVgprs: 52
; NumAgprs: 0
; TotalNumVgprs: 52
; ScratchSize: 0
; MemoryBound: 0
; FloatMode: 240
; IeeeMode: 1
; LDSByteSize: 8192 bytes/workgroup (compile time only)
; SGPRBlocks: 6
; VGPRBlocks: 6
; NumSGPRsForWavesPerEU: 50
; NumVGPRsForWavesPerEU: 52
; AccumOffset: 52
; Occupancy: 8
; WaveLimiterHint : 1
; COMPUTE_PGM_RSRC2:SCRATCH_EN: 0
; COMPUTE_PGM_RSRC2:USER_SGPR: 2
; COMPUTE_PGM_RSRC2:TRAP_HANDLER: 0
; COMPUTE_PGM_RSRC2:TGID_X_EN: 1
; COMPUTE_PGM_RSRC2:TGID_Y_EN: 0
; COMPUTE_PGM_RSRC2:TGID_Z_EN: 0
; COMPUTE_PGM_RSRC2:TIDIG_COMP_CNT: 2
; COMPUTE_PGM_RSRC3_GFX90A:ACCUM_OFFSET: 12
; COMPUTE_PGM_RSRC3_GFX90A:TG_SPLIT: 0
	.section	.text._ZN7rocprim17ROCPRIM_304000_NS6detail45device_block_merge_mergepath_partition_kernelINS1_37wrapped_merge_sort_block_merge_configINS0_14default_configEhN2at4cuda3cub6detail10OpaqueTypeILi8EEEEEPhjNS1_19radix_merge_compareILb0ELb0EhNS0_19identity_decomposerEEEEEvT0_T1_jPSH_T2_SH_,"axG",@progbits,_ZN7rocprim17ROCPRIM_304000_NS6detail45device_block_merge_mergepath_partition_kernelINS1_37wrapped_merge_sort_block_merge_configINS0_14default_configEhN2at4cuda3cub6detail10OpaqueTypeILi8EEEEEPhjNS1_19radix_merge_compareILb0ELb0EhNS0_19identity_decomposerEEEEEvT0_T1_jPSH_T2_SH_,comdat
	.protected	_ZN7rocprim17ROCPRIM_304000_NS6detail45device_block_merge_mergepath_partition_kernelINS1_37wrapped_merge_sort_block_merge_configINS0_14default_configEhN2at4cuda3cub6detail10OpaqueTypeILi8EEEEEPhjNS1_19radix_merge_compareILb0ELb0EhNS0_19identity_decomposerEEEEEvT0_T1_jPSH_T2_SH_ ; -- Begin function _ZN7rocprim17ROCPRIM_304000_NS6detail45device_block_merge_mergepath_partition_kernelINS1_37wrapped_merge_sort_block_merge_configINS0_14default_configEhN2at4cuda3cub6detail10OpaqueTypeILi8EEEEEPhjNS1_19radix_merge_compareILb0ELb0EhNS0_19identity_decomposerEEEEEvT0_T1_jPSH_T2_SH_
	.globl	_ZN7rocprim17ROCPRIM_304000_NS6detail45device_block_merge_mergepath_partition_kernelINS1_37wrapped_merge_sort_block_merge_configINS0_14default_configEhN2at4cuda3cub6detail10OpaqueTypeILi8EEEEEPhjNS1_19radix_merge_compareILb0ELb0EhNS0_19identity_decomposerEEEEEvT0_T1_jPSH_T2_SH_
	.p2align	8
	.type	_ZN7rocprim17ROCPRIM_304000_NS6detail45device_block_merge_mergepath_partition_kernelINS1_37wrapped_merge_sort_block_merge_configINS0_14default_configEhN2at4cuda3cub6detail10OpaqueTypeILi8EEEEEPhjNS1_19radix_merge_compareILb0ELb0EhNS0_19identity_decomposerEEEEEvT0_T1_jPSH_T2_SH_,@function
_ZN7rocprim17ROCPRIM_304000_NS6detail45device_block_merge_mergepath_partition_kernelINS1_37wrapped_merge_sort_block_merge_configINS0_14default_configEhN2at4cuda3cub6detail10OpaqueTypeILi8EEEEEPhjNS1_19radix_merge_compareILb0ELb0EhNS0_19identity_decomposerEEEEEvT0_T1_jPSH_T2_SH_: ; @_ZN7rocprim17ROCPRIM_304000_NS6detail45device_block_merge_mergepath_partition_kernelINS1_37wrapped_merge_sort_block_merge_configINS0_14default_configEhN2at4cuda3cub6detail10OpaqueTypeILi8EEEEEPhjNS1_19radix_merge_compareILb0ELb0EhNS0_19identity_decomposerEEEEEvT0_T1_jPSH_T2_SH_
; %bb.0:
	s_load_dwordx2 s[4:5], s[0:1], 0x8
	v_lshl_or_b32 v0, s2, 7, v0
	s_waitcnt lgkmcnt(0)
	v_cmp_gt_u32_e32 vcc, s5, v0
	s_and_saveexec_b64 s[2:3], vcc
	s_cbranch_execz .LBB17_6
; %bb.1:
	s_load_dword s2, s[0:1], 0x1c
	s_waitcnt lgkmcnt(0)
	s_lshr_b32 s3, s2, 9
	s_and_b32 s3, s3, 0x7ffffe
	s_add_i32 s5, s3, -1
	s_sub_i32 s3, 0, s3
	v_and_b32_e32 v1, s3, v0
	v_and_b32_e32 v2, s5, v0
	v_lshlrev_b32_e32 v1, 10, v1
	v_lshlrev_b32_e32 v3, 10, v2
	v_min_u32_e32 v2, s4, v1
	v_add_u32_e32 v1, s2, v1
	v_min_u32_e32 v4, s4, v1
	v_add_u32_e32 v1, s2, v4
	v_min_u32_e32 v1, s4, v1
	v_sub_u32_e32 v5, v1, v2
	v_min_u32_e32 v10, v5, v3
	v_sub_u32_e32 v3, v4, v2
	v_sub_u32_e32 v1, v1, v4
	v_sub_u32_e64 v1, v10, v1 clamp
	v_min_u32_e32 v11, v10, v3
	v_cmp_lt_u32_e32 vcc, v1, v11
	s_and_saveexec_b64 s[2:3], vcc
	s_cbranch_execz .LBB17_5
; %bb.2:
	s_load_dwordx2 s[4:5], s[0:1], 0x0
	v_mov_b32_e32 v5, 0
	v_mov_b32_e32 v3, v5
	s_waitcnt lgkmcnt(0)
	v_lshl_add_u64 v[6:7], s[4:5], 0, v[2:3]
	v_lshl_add_u64 v[8:9], s[4:5], 0, v[4:5]
	s_mov_b64 s[4:5], 0
.LBB17_3:                               ; =>This Inner Loop Header: Depth=1
	v_add_u32_e32 v3, v11, v1
	v_lshrrev_b32_e32 v4, 1, v3
	v_mov_b32_e32 v13, v5
	v_xad_u32 v12, v4, -1, v10
	v_lshl_add_u64 v[14:15], v[6:7], 0, v[4:5]
	v_lshl_add_u64 v[12:13], v[8:9], 0, v[12:13]
	global_load_ubyte v3, v[14:15], off
	global_load_ubyte v16, v[12:13], off
	v_add_u32_e32 v12, 1, v4
	s_waitcnt vmcnt(0)
	v_cmp_gt_u16_e32 vcc, v3, v16
	s_nop 1
	v_cndmask_b32_e32 v11, v11, v4, vcc
	v_cndmask_b32_e32 v1, v12, v1, vcc
	v_cmp_ge_u32_e32 vcc, v1, v11
	s_or_b64 s[4:5], vcc, s[4:5]
	s_andn2_b64 exec, exec, s[4:5]
	s_cbranch_execnz .LBB17_3
; %bb.4:
	s_or_b64 exec, exec, s[4:5]
.LBB17_5:
	s_or_b64 exec, exec, s[2:3]
	s_load_dwordx2 s[0:1], s[0:1], 0x10
	v_add_u32_e32 v2, v1, v2
	v_mov_b32_e32 v1, 0
	s_waitcnt lgkmcnt(0)
	v_lshl_add_u64 v[0:1], v[0:1], 2, s[0:1]
	global_store_dword v[0:1], v2, off
.LBB17_6:
	s_endpgm
	.section	.rodata,"a",@progbits
	.p2align	6, 0x0
	.amdhsa_kernel _ZN7rocprim17ROCPRIM_304000_NS6detail45device_block_merge_mergepath_partition_kernelINS1_37wrapped_merge_sort_block_merge_configINS0_14default_configEhN2at4cuda3cub6detail10OpaqueTypeILi8EEEEEPhjNS1_19radix_merge_compareILb0ELb0EhNS0_19identity_decomposerEEEEEvT0_T1_jPSH_T2_SH_
		.amdhsa_group_segment_fixed_size 0
		.amdhsa_private_segment_fixed_size 0
		.amdhsa_kernarg_size 32
		.amdhsa_user_sgpr_count 2
		.amdhsa_user_sgpr_dispatch_ptr 0
		.amdhsa_user_sgpr_queue_ptr 0
		.amdhsa_user_sgpr_kernarg_segment_ptr 1
		.amdhsa_user_sgpr_dispatch_id 0
		.amdhsa_user_sgpr_kernarg_preload_length 0
		.amdhsa_user_sgpr_kernarg_preload_offset 0
		.amdhsa_user_sgpr_private_segment_size 0
		.amdhsa_uses_dynamic_stack 0
		.amdhsa_enable_private_segment 0
		.amdhsa_system_sgpr_workgroup_id_x 1
		.amdhsa_system_sgpr_workgroup_id_y 0
		.amdhsa_system_sgpr_workgroup_id_z 0
		.amdhsa_system_sgpr_workgroup_info 0
		.amdhsa_system_vgpr_workitem_id 0
		.amdhsa_next_free_vgpr 17
		.amdhsa_next_free_sgpr 6
		.amdhsa_accum_offset 20
		.amdhsa_reserve_vcc 1
		.amdhsa_float_round_mode_32 0
		.amdhsa_float_round_mode_16_64 0
		.amdhsa_float_denorm_mode_32 3
		.amdhsa_float_denorm_mode_16_64 3
		.amdhsa_dx10_clamp 1
		.amdhsa_ieee_mode 1
		.amdhsa_fp16_overflow 0
		.amdhsa_tg_split 0
		.amdhsa_exception_fp_ieee_invalid_op 0
		.amdhsa_exception_fp_denorm_src 0
		.amdhsa_exception_fp_ieee_div_zero 0
		.amdhsa_exception_fp_ieee_overflow 0
		.amdhsa_exception_fp_ieee_underflow 0
		.amdhsa_exception_fp_ieee_inexact 0
		.amdhsa_exception_int_div_zero 0
	.end_amdhsa_kernel
	.section	.text._ZN7rocprim17ROCPRIM_304000_NS6detail45device_block_merge_mergepath_partition_kernelINS1_37wrapped_merge_sort_block_merge_configINS0_14default_configEhN2at4cuda3cub6detail10OpaqueTypeILi8EEEEEPhjNS1_19radix_merge_compareILb0ELb0EhNS0_19identity_decomposerEEEEEvT0_T1_jPSH_T2_SH_,"axG",@progbits,_ZN7rocprim17ROCPRIM_304000_NS6detail45device_block_merge_mergepath_partition_kernelINS1_37wrapped_merge_sort_block_merge_configINS0_14default_configEhN2at4cuda3cub6detail10OpaqueTypeILi8EEEEEPhjNS1_19radix_merge_compareILb0ELb0EhNS0_19identity_decomposerEEEEEvT0_T1_jPSH_T2_SH_,comdat
.Lfunc_end17:
	.size	_ZN7rocprim17ROCPRIM_304000_NS6detail45device_block_merge_mergepath_partition_kernelINS1_37wrapped_merge_sort_block_merge_configINS0_14default_configEhN2at4cuda3cub6detail10OpaqueTypeILi8EEEEEPhjNS1_19radix_merge_compareILb0ELb0EhNS0_19identity_decomposerEEEEEvT0_T1_jPSH_T2_SH_, .Lfunc_end17-_ZN7rocprim17ROCPRIM_304000_NS6detail45device_block_merge_mergepath_partition_kernelINS1_37wrapped_merge_sort_block_merge_configINS0_14default_configEhN2at4cuda3cub6detail10OpaqueTypeILi8EEEEEPhjNS1_19radix_merge_compareILb0ELb0EhNS0_19identity_decomposerEEEEEvT0_T1_jPSH_T2_SH_
                                        ; -- End function
	.set _ZN7rocprim17ROCPRIM_304000_NS6detail45device_block_merge_mergepath_partition_kernelINS1_37wrapped_merge_sort_block_merge_configINS0_14default_configEhN2at4cuda3cub6detail10OpaqueTypeILi8EEEEEPhjNS1_19radix_merge_compareILb0ELb0EhNS0_19identity_decomposerEEEEEvT0_T1_jPSH_T2_SH_.num_vgpr, 17
	.set _ZN7rocprim17ROCPRIM_304000_NS6detail45device_block_merge_mergepath_partition_kernelINS1_37wrapped_merge_sort_block_merge_configINS0_14default_configEhN2at4cuda3cub6detail10OpaqueTypeILi8EEEEEPhjNS1_19radix_merge_compareILb0ELb0EhNS0_19identity_decomposerEEEEEvT0_T1_jPSH_T2_SH_.num_agpr, 0
	.set _ZN7rocprim17ROCPRIM_304000_NS6detail45device_block_merge_mergepath_partition_kernelINS1_37wrapped_merge_sort_block_merge_configINS0_14default_configEhN2at4cuda3cub6detail10OpaqueTypeILi8EEEEEPhjNS1_19radix_merge_compareILb0ELb0EhNS0_19identity_decomposerEEEEEvT0_T1_jPSH_T2_SH_.numbered_sgpr, 6
	.set _ZN7rocprim17ROCPRIM_304000_NS6detail45device_block_merge_mergepath_partition_kernelINS1_37wrapped_merge_sort_block_merge_configINS0_14default_configEhN2at4cuda3cub6detail10OpaqueTypeILi8EEEEEPhjNS1_19radix_merge_compareILb0ELb0EhNS0_19identity_decomposerEEEEEvT0_T1_jPSH_T2_SH_.num_named_barrier, 0
	.set _ZN7rocprim17ROCPRIM_304000_NS6detail45device_block_merge_mergepath_partition_kernelINS1_37wrapped_merge_sort_block_merge_configINS0_14default_configEhN2at4cuda3cub6detail10OpaqueTypeILi8EEEEEPhjNS1_19radix_merge_compareILb0ELb0EhNS0_19identity_decomposerEEEEEvT0_T1_jPSH_T2_SH_.private_seg_size, 0
	.set _ZN7rocprim17ROCPRIM_304000_NS6detail45device_block_merge_mergepath_partition_kernelINS1_37wrapped_merge_sort_block_merge_configINS0_14default_configEhN2at4cuda3cub6detail10OpaqueTypeILi8EEEEEPhjNS1_19radix_merge_compareILb0ELb0EhNS0_19identity_decomposerEEEEEvT0_T1_jPSH_T2_SH_.uses_vcc, 1
	.set _ZN7rocprim17ROCPRIM_304000_NS6detail45device_block_merge_mergepath_partition_kernelINS1_37wrapped_merge_sort_block_merge_configINS0_14default_configEhN2at4cuda3cub6detail10OpaqueTypeILi8EEEEEPhjNS1_19radix_merge_compareILb0ELb0EhNS0_19identity_decomposerEEEEEvT0_T1_jPSH_T2_SH_.uses_flat_scratch, 0
	.set _ZN7rocprim17ROCPRIM_304000_NS6detail45device_block_merge_mergepath_partition_kernelINS1_37wrapped_merge_sort_block_merge_configINS0_14default_configEhN2at4cuda3cub6detail10OpaqueTypeILi8EEEEEPhjNS1_19radix_merge_compareILb0ELb0EhNS0_19identity_decomposerEEEEEvT0_T1_jPSH_T2_SH_.has_dyn_sized_stack, 0
	.set _ZN7rocprim17ROCPRIM_304000_NS6detail45device_block_merge_mergepath_partition_kernelINS1_37wrapped_merge_sort_block_merge_configINS0_14default_configEhN2at4cuda3cub6detail10OpaqueTypeILi8EEEEEPhjNS1_19radix_merge_compareILb0ELb0EhNS0_19identity_decomposerEEEEEvT0_T1_jPSH_T2_SH_.has_recursion, 0
	.set _ZN7rocprim17ROCPRIM_304000_NS6detail45device_block_merge_mergepath_partition_kernelINS1_37wrapped_merge_sort_block_merge_configINS0_14default_configEhN2at4cuda3cub6detail10OpaqueTypeILi8EEEEEPhjNS1_19radix_merge_compareILb0ELb0EhNS0_19identity_decomposerEEEEEvT0_T1_jPSH_T2_SH_.has_indirect_call, 0
	.section	.AMDGPU.csdata,"",@progbits
; Kernel info:
; codeLenInByte = 320
; TotalNumSgprs: 12
; NumVgprs: 17
; NumAgprs: 0
; TotalNumVgprs: 17
; ScratchSize: 0
; MemoryBound: 0
; FloatMode: 240
; IeeeMode: 1
; LDSByteSize: 0 bytes/workgroup (compile time only)
; SGPRBlocks: 1
; VGPRBlocks: 2
; NumSGPRsForWavesPerEU: 12
; NumVGPRsForWavesPerEU: 17
; AccumOffset: 20
; Occupancy: 8
; WaveLimiterHint : 0
; COMPUTE_PGM_RSRC2:SCRATCH_EN: 0
; COMPUTE_PGM_RSRC2:USER_SGPR: 2
; COMPUTE_PGM_RSRC2:TRAP_HANDLER: 0
; COMPUTE_PGM_RSRC2:TGID_X_EN: 1
; COMPUTE_PGM_RSRC2:TGID_Y_EN: 0
; COMPUTE_PGM_RSRC2:TGID_Z_EN: 0
; COMPUTE_PGM_RSRC2:TIDIG_COMP_CNT: 0
; COMPUTE_PGM_RSRC3_GFX90A:ACCUM_OFFSET: 4
; COMPUTE_PGM_RSRC3_GFX90A:TG_SPLIT: 0
	.section	.text._ZN7rocprim17ROCPRIM_304000_NS6detail35device_block_merge_mergepath_kernelINS1_37wrapped_merge_sort_block_merge_configINS0_14default_configEhN2at4cuda3cub6detail10OpaqueTypeILi8EEEEEPhSC_PSA_SD_jNS1_19radix_merge_compareILb0ELb0EhNS0_19identity_decomposerEEEEEvT0_T1_T2_T3_T4_SL_jT5_PKSL_NS1_7vsmem_tE,"axG",@progbits,_ZN7rocprim17ROCPRIM_304000_NS6detail35device_block_merge_mergepath_kernelINS1_37wrapped_merge_sort_block_merge_configINS0_14default_configEhN2at4cuda3cub6detail10OpaqueTypeILi8EEEEEPhSC_PSA_SD_jNS1_19radix_merge_compareILb0ELb0EhNS0_19identity_decomposerEEEEEvT0_T1_T2_T3_T4_SL_jT5_PKSL_NS1_7vsmem_tE,comdat
	.protected	_ZN7rocprim17ROCPRIM_304000_NS6detail35device_block_merge_mergepath_kernelINS1_37wrapped_merge_sort_block_merge_configINS0_14default_configEhN2at4cuda3cub6detail10OpaqueTypeILi8EEEEEPhSC_PSA_SD_jNS1_19radix_merge_compareILb0ELb0EhNS0_19identity_decomposerEEEEEvT0_T1_T2_T3_T4_SL_jT5_PKSL_NS1_7vsmem_tE ; -- Begin function _ZN7rocprim17ROCPRIM_304000_NS6detail35device_block_merge_mergepath_kernelINS1_37wrapped_merge_sort_block_merge_configINS0_14default_configEhN2at4cuda3cub6detail10OpaqueTypeILi8EEEEEPhSC_PSA_SD_jNS1_19radix_merge_compareILb0ELb0EhNS0_19identity_decomposerEEEEEvT0_T1_T2_T3_T4_SL_jT5_PKSL_NS1_7vsmem_tE
	.globl	_ZN7rocprim17ROCPRIM_304000_NS6detail35device_block_merge_mergepath_kernelINS1_37wrapped_merge_sort_block_merge_configINS0_14default_configEhN2at4cuda3cub6detail10OpaqueTypeILi8EEEEEPhSC_PSA_SD_jNS1_19radix_merge_compareILb0ELb0EhNS0_19identity_decomposerEEEEEvT0_T1_T2_T3_T4_SL_jT5_PKSL_NS1_7vsmem_tE
	.p2align	8
	.type	_ZN7rocprim17ROCPRIM_304000_NS6detail35device_block_merge_mergepath_kernelINS1_37wrapped_merge_sort_block_merge_configINS0_14default_configEhN2at4cuda3cub6detail10OpaqueTypeILi8EEEEEPhSC_PSA_SD_jNS1_19radix_merge_compareILb0ELb0EhNS0_19identity_decomposerEEEEEvT0_T1_T2_T3_T4_SL_jT5_PKSL_NS1_7vsmem_tE,@function
_ZN7rocprim17ROCPRIM_304000_NS6detail35device_block_merge_mergepath_kernelINS1_37wrapped_merge_sort_block_merge_configINS0_14default_configEhN2at4cuda3cub6detail10OpaqueTypeILi8EEEEEPhSC_PSA_SD_jNS1_19radix_merge_compareILb0ELb0EhNS0_19identity_decomposerEEEEEvT0_T1_T2_T3_T4_SL_jT5_PKSL_NS1_7vsmem_tE: ; @_ZN7rocprim17ROCPRIM_304000_NS6detail35device_block_merge_mergepath_kernelINS1_37wrapped_merge_sort_block_merge_configINS0_14default_configEhN2at4cuda3cub6detail10OpaqueTypeILi8EEEEEPhSC_PSA_SD_jNS1_19radix_merge_compareILb0ELb0EhNS0_19identity_decomposerEEEEEvT0_T1_T2_T3_T4_SL_jT5_PKSL_NS1_7vsmem_tE
; %bb.0:
	s_load_dwordx2 s[24:25], s[0:1], 0x40
	s_load_dwordx4 s[12:15], s[0:1], 0x20
	s_add_u32 s22, s0, 64
	s_addc_u32 s23, s1, 0
	s_waitcnt lgkmcnt(0)
	s_mul_i32 s4, s25, s4
	s_add_i32 s3, s4, s3
	s_mul_i32 s3, s3, s24
	s_add_i32 s20, s3, s2
	s_cmp_ge_u32 s20, s14
	s_cbranch_scc1 .LBB18_51
; %bb.1:
	s_load_dwordx8 s[4:11], s[0:1], 0x0
	s_load_dwordx2 s[16:17], s[0:1], 0x30
	s_lshr_b32 s27, s12, 10
	s_cmp_lg_u32 s20, s27
	s_mov_b32 s21, 0
	s_cselect_b64 s[14:15], -1, 0
	s_lshl_b64 s[0:1], s[20:21], 2
	s_waitcnt lgkmcnt(0)
	s_add_u32 s0, s16, s0
	s_addc_u32 s1, s17, s1
	s_load_dwordx2 s[16:17], s[0:1], 0x0
	s_lshr_b32 s0, s13, 9
	s_and_b32 s0, s0, 0x7ffffe
	s_sub_i32 s0, 0, s0
	s_and_b32 s1, s20, s0
	s_lshl_b32 s3, s1, 10
	s_lshl_b32 s25, s20, 10
	s_lshl_b32 s1, s1, 11
	s_sub_i32 s18, s25, s3
	s_add_i32 s1, s1, s13
	s_add_i32 s19, s1, s18
	s_waitcnt lgkmcnt(0)
	s_sub_i32 s18, s19, s16
	s_sub_i32 s19, s19, s17
	;; [unrolled: 1-line block ×3, first 2 shown]
	s_min_u32 s18, s12, s18
	s_addk_i32 s19, 0x400
	s_or_b32 s0, s20, s0
	s_min_u32 s3, s12, s1
	s_add_i32 s1, s1, s13
	s_cmp_eq_u32 s0, -1
	s_cselect_b32 s0, s1, s19
	s_cselect_b32 s1, s3, s17
	s_min_u32 s0, s0, s12
	s_sub_i32 s13, s1, s16
	s_sub_i32 s26, s0, s18
	s_add_u32 s0, s4, s16
	s_addc_u32 s1, s5, 0
	s_add_u32 s4, s4, s18
	s_addc_u32 s5, s5, 0
	s_cmp_lt_u32 s2, s24
	v_mov_b32_e32 v1, 0
	s_cselect_b32 s2, 12, 18
	global_load_dword v2, v1, s[22:23] offset:14
	s_add_u32 s2, s22, s2
	s_addc_u32 s3, s23, 0
	global_load_ushort v3, v1, s[2:3]
	s_mov_b32 s17, s21
	s_mov_b32 s19, s21
	s_cmp_eq_u32 s20, s27
	s_waitcnt vmcnt(1)
	v_lshrrev_b32_e32 v4, 16, v2
	v_and_b32_e32 v2, 0xffff, v2
	v_mul_lo_u32 v2, v2, v4
	s_waitcnt vmcnt(0)
	v_mul_lo_u32 v2, v2, v3
	v_add_u32_e32 v2, v2, v0
	s_cbranch_scc1 .LBB18_3
; %bb.2:
	v_subrev_co_u32_e32 v6, vcc, s13, v0
	v_mov_b32_e32 v7, v1
	v_lshl_add_u64 v[4:5], s[0:1], 0, v[0:1]
	v_lshl_add_u64 v[6:7], s[4:5], 0, v[6:7]
	v_cndmask_b32_e32 v5, v7, v5, vcc
	v_cndmask_b32_e32 v4, v6, v4, vcc
	v_mov_b32_e32 v3, v1
	v_subrev_co_u32_e32 v8, vcc, s13, v2
	v_mov_b32_e32 v9, v1
	v_lshl_add_u64 v[6:7], s[0:1], 0, v[2:3]
	v_lshl_add_u64 v[8:9], s[4:5], 0, v[8:9]
	v_cndmask_b32_e32 v7, v9, v7, vcc
	v_cndmask_b32_e32 v6, v8, v6, vcc
	global_load_ubyte v1, v[4:5], off
	global_load_ubyte v3, v[6:7], off
	s_mov_b32 s20, 0xc0c0004
	s_add_i32 s21, s26, s13
	v_mov_b32_e32 v8, s21
	s_waitcnt vmcnt(0)
	v_perm_b32 v6, v1, v3, s20
	s_cbranch_execz .LBB18_4
	s_branch .LBB18_9
.LBB18_3:
                                        ; implicit-def: $vgpr6
                                        ; implicit-def: $vgpr8
.LBB18_4:
	s_add_i32 s20, s26, s13
	v_cmp_gt_u32_e32 vcc, s20, v0
	v_mov_b32_e32 v6, 0
	s_and_saveexec_b64 s[2:3], vcc
	s_cbranch_execz .LBB18_6
; %bb.5:
	v_mov_b32_e32 v1, 0
	v_subrev_co_u32_e32 v6, vcc, s13, v0
	v_mov_b32_e32 v7, v1
	v_lshl_add_u64 v[4:5], s[0:1], 0, v[0:1]
	v_lshl_add_u64 v[6:7], s[4:5], 0, v[6:7]
	v_cndmask_b32_e32 v5, v7, v5, vcc
	v_cndmask_b32_e32 v4, v6, v4, vcc
	global_load_ubyte v6, v[4:5], off
.LBB18_6:
	s_or_b64 exec, exec, s[2:3]
	v_cmp_gt_u32_e32 vcc, s20, v2
	s_and_saveexec_b64 s[2:3], vcc
	s_cbranch_execz .LBB18_8
; %bb.7:
	v_mov_b32_e32 v3, 0
	v_lshl_add_u64 v[4:5], s[0:1], 0, v[2:3]
	v_subrev_co_u32_e32 v2, vcc, s13, v2
	v_lshl_add_u64 v[2:3], s[4:5], 0, v[2:3]
	s_nop 0
	v_cndmask_b32_e32 v3, v3, v5, vcc
	v_cndmask_b32_e32 v2, v2, v4, vcc
	global_load_ubyte v1, v[2:3], off
	s_waitcnt vmcnt(0)
	v_lshlrev_b16_e32 v1, 8, v1
	v_or_b32_e32 v1, v6, v1
	v_and_b32_e32 v6, 0xffff, v1
.LBB18_8:
	s_or_b64 exec, exec, s[2:3]
	v_mov_b32_e32 v8, s20
.LBB18_9:
	v_lshlrev_b32_e32 v7, 1, v0
	s_waitcnt vmcnt(0)
	v_lshrrev_b16_e32 v1, 8, v6
	v_min_u32_e32 v2, v8, v7
	ds_write_b8 v0, v1 offset:512
	v_sub_u32_e64 v1, v2, s26 clamp
	v_min_u32_e32 v3, s13, v2
	v_cmp_lt_u32_e32 vcc, v1, v3
	ds_write_b8 v0, v6
	s_waitcnt lgkmcnt(0)
	s_barrier
	s_and_saveexec_b64 s[0:1], vcc
	s_cbranch_execz .LBB18_13
; %bb.10:
	v_add_u32_e32 v4, s13, v2
	s_mov_b64 s[2:3], 0
.LBB18_11:                              ; =>This Inner Loop Header: Depth=1
	v_add_u32_e32 v5, v3, v1
	v_lshrrev_b32_e32 v5, 1, v5
	v_xad_u32 v9, v5, -1, v4
	ds_read_u8 v10, v5
	ds_read_u8 v9, v9
	v_add_u32_e32 v11, 1, v5
	s_waitcnt lgkmcnt(0)
	v_cmp_gt_u16_e32 vcc, v10, v9
	s_nop 1
	v_cndmask_b32_e32 v3, v3, v5, vcc
	v_cndmask_b32_e32 v1, v11, v1, vcc
	v_cmp_ge_u32_e32 vcc, v1, v3
	s_or_b64 s[2:3], vcc, s[2:3]
	s_andn2_b64 exec, exec, s[2:3]
	s_cbranch_execnz .LBB18_11
; %bb.12:
	s_or_b64 exec, exec, s[2:3]
.LBB18_13:
	s_or_b64 exec, exec, s[0:1]
	v_sub_u32_e32 v2, v2, v1
	v_add_u32_e32 v2, s13, v2
	v_cmp_ge_u32_e32 vcc, s13, v1
	v_cmp_le_u32_e64 s[0:1], v2, v8
	s_or_b64 s[0:1], vcc, s[0:1]
	v_mov_b32_e32 v9, 0
	v_mov_b32_e32 v10, 0
	s_and_saveexec_b64 s[4:5], s[0:1]
	s_cbranch_execz .LBB18_19
; %bb.14:
	v_cmp_gt_u32_e32 vcc, s13, v1
                                        ; implicit-def: $vgpr3
	s_and_saveexec_b64 s[0:1], vcc
; %bb.15:
	ds_read_u8 v3, v1
; %bb.16:
	s_or_b64 exec, exec, s[0:1]
	v_cmp_ge_u32_e64 s[0:1], v2, v8
	v_cmp_lt_u32_e64 s[2:3], v2, v8
                                        ; implicit-def: $vgpr4
	s_and_saveexec_b64 s[20:21], s[2:3]
; %bb.17:
	ds_read_u8 v4, v2
; %bb.18:
	s_or_b64 exec, exec, s[20:21]
	s_waitcnt lgkmcnt(0)
	v_cmp_le_u16_sdwa s[2:3], v3, v4 src0_sel:BYTE_0 src1_sel:BYTE_0
	s_and_b64 s[2:3], vcc, s[2:3]
	s_or_b64 vcc, s[0:1], s[2:3]
	v_mov_b32_e32 v5, s13
	v_cndmask_b32_e32 v10, v2, v1, vcc
	v_cndmask_b32_e32 v5, v8, v5, vcc
	v_add_u32_e32 v6, 1, v10
	v_add_u32_e32 v5, -1, v5
	v_min_u32_e32 v5, v6, v5
	ds_read_u8 v5, v5
	v_cndmask_b32_e32 v11, v4, v3, vcc
	v_cndmask_b32_e32 v1, v1, v6, vcc
	;; [unrolled: 1-line block ×3, first 2 shown]
	v_cmp_gt_u32_e64 s[0:1], s13, v1
	s_waitcnt lgkmcnt(0)
	v_cndmask_b32_e32 v4, v5, v4, vcc
	v_cndmask_b32_e32 v3, v3, v5, vcc
	v_cmp_le_u16_sdwa s[2:3], v3, v4 src0_sel:BYTE_0 src1_sel:BYTE_0
	v_cmp_ge_u32_e32 vcc, v2, v8
	s_and_b64 s[0:1], s[0:1], s[2:3]
	s_or_b64 vcc, vcc, s[0:1]
	s_movk_i32 s20, 0xff
	v_cndmask_b32_e32 v9, v2, v1, vcc
	v_cndmask_b32_sdwa v1, v4, v3, vcc dst_sel:BYTE_1 dst_unused:UNUSED_PAD src0_sel:DWORD src1_sel:DWORD
	s_nop 0
	v_bitop3_b16 v1, v11, v1, s20 bitop3:0xec
	v_and_b32_e32 v6, 0xffff, v1
.LBB18_19:
	s_or_b64 exec, exec, s[4:5]
	s_lshl_b64 s[0:1], s[16:17], 3
	s_add_u32 s16, s8, s0
	s_addc_u32 s17, s9, s1
	s_lshl_b64 s[0:1], s[18:19], 3
	s_add_u32 s8, s8, s0
	v_cndmask_b32_e64 v2, 0, 1, s[14:15]
	v_mov_b32_e32 v1, 0
	s_addc_u32 s9, s9, s1
	v_cmp_gt_u32_e64 s[4:5], s13, v0
	v_cmp_ne_u32_e64 s[0:1], 1, v2
	s_andn2_b64 vcc, exec, s[14:15]
	v_cmp_le_u32_e64 s[2:3], s13, v0
	s_barrier
	s_cbranch_vccnz .LBB18_21
; %bb.20:
	v_subrev_u32_e32 v4, s13, v0
	v_lshlrev_b32_e32 v2, 3, v0
	v_mov_b32_e32 v3, v1
	v_lshlrev_b32_e32 v4, 3, v4
	v_mov_b32_e32 v5, v1
	v_lshl_add_u64 v[2:3], s[16:17], 0, v[2:3]
	v_lshl_add_u64 v[4:5], s[8:9], 0, v[4:5]
	v_cndmask_b32_e64 v3, v5, v3, s[4:5]
	v_cndmask_b32_e64 v2, v4, v2, s[4:5]
	global_load_dwordx2 v[12:13], v[2:3], off
	v_or_b32_e32 v11, 0x200, v0
	v_mov_b32_e32 v2, s9
	v_mov_b32_e32 v3, s17
	;; [unrolled: 1-line block ×4, first 2 shown]
	v_subrev_u32_e32 v4, s13, v11
	v_cmp_gt_u32_e32 vcc, s13, v11
	v_mad_u32_u24 v5, v0, 7, v0
	s_nop 0
	v_cndmask_b32_e32 v3, v2, v3, vcc
	v_min_u32_e32 v4, v11, v4
	v_cndmask_b32_e32 v2, v14, v15, vcc
	s_mov_b64 s[4:5], -1
	s_waitcnt vmcnt(0)
	ds_write_b64 v5, v[12:13]
	s_cbranch_execz .LBB18_22
	s_branch .LBB18_31
.LBB18_21:
	s_mov_b64 s[4:5], 0
                                        ; implicit-def: $vgpr11
                                        ; implicit-def: $vgpr2_vgpr3
                                        ; implicit-def: $vgpr4
.LBB18_22:
	s_and_saveexec_b64 s[4:5], s[2:3]
	s_xor_b64 s[2:3], exec, s[4:5]
	s_cbranch_execz .LBB18_26
; %bb.23:
	v_subrev_u32_e32 v2, s13, v0
	v_cmp_gt_u32_e32 vcc, s26, v2
	s_and_saveexec_b64 s[4:5], vcc
	s_cbranch_execz .LBB18_25
; %bb.24:
	v_lshlrev_b32_e32 v2, 3, v2
	global_load_dwordx2 v[2:3], v2, s[8:9]
	v_mad_u32_u24 v4, v0, 7, v0
	s_waitcnt vmcnt(0)
	ds_write_b64 v4, v[2:3]
.LBB18_25:
	s_or_b64 exec, exec, s[4:5]
.LBB18_26:
	s_andn2_saveexec_b64 s[2:3], s[2:3]
	s_cbranch_execz .LBB18_28
; %bb.27:
	v_lshlrev_b32_e32 v2, 3, v0
	global_load_dwordx2 v[2:3], v2, s[16:17]
	v_mad_u32_u24 v4, v0, 7, v0
	s_waitcnt vmcnt(0)
	ds_write_b64 v4, v[2:3]
.LBB18_28:
	s_or_b64 exec, exec, s[2:3]
	v_or_b32_e32 v11, 0x200, v0
	v_cmp_le_u32_e32 vcc, s13, v11
	s_mov_b64 s[4:5], -1
	v_mov_b64_e32 v[2:3], s[16:17]
	v_mov_b32_e32 v4, v11
	s_and_saveexec_b64 s[2:3], vcc
; %bb.29:
	v_subrev_u32_e32 v4, s13, v11
	v_cmp_gt_u32_e32 vcc, s26, v4
	v_mov_b64_e32 v[2:3], s[8:9]
	s_orn2_b64 s[4:5], vcc, exec
; %bb.30:
	s_or_b64 exec, exec, s[2:3]
.LBB18_31:
	s_and_saveexec_b64 s[2:3], s[4:5]
	s_cbranch_execz .LBB18_33
; %bb.32:
	v_mov_b32_e32 v5, 0
	v_lshl_add_u64 v[2:3], v[4:5], 3, v[2:3]
	global_load_dwordx2 v[2:3], v[2:3], off
	v_lshlrev_b32_e32 v4, 3, v11
	s_waitcnt vmcnt(0)
	ds_write_b64 v4, v[2:3]
.LBB18_33:
	s_or_b64 exec, exec, s[2:3]
	s_and_b64 vcc, exec, s[0:1]
	v_add_u32_e32 v2, s25, v7
	s_waitcnt lgkmcnt(0)
	s_barrier
	s_cbranch_vccnz .LBB18_35
; %bb.34:
	v_lshlrev_b32_e32 v3, 3, v10
	ds_read_b64 v[4:5], v3
	v_mov_b32_e32 v3, 0
	v_lshl_add_u64 v[12:13], v[2:3], 3, s[10:11]
	s_mov_b64 s[0:1], -1
	s_waitcnt lgkmcnt(0)
	global_store_dwordx2 v[12:13], v[4:5], off
	s_cbranch_execz .LBB18_36
	s_branch .LBB18_41
.LBB18_35:
	s_mov_b64 s[0:1], 0
.LBB18_36:
	v_cmp_lt_u32_e32 vcc, v7, v8
	s_and_saveexec_b64 s[2:3], vcc
	s_cbranch_execz .LBB18_38
; %bb.37:
	v_lshlrev_b32_e32 v3, 3, v10
	ds_read_b64 v[4:5], v3
	v_mov_b32_e32 v3, 0
	v_lshl_add_u64 v[10:11], v[2:3], 3, s[10:11]
	s_waitcnt lgkmcnt(0)
	global_store_dwordx2 v[10:11], v[4:5], off
.LBB18_38:
	s_or_b64 exec, exec, s[2:3]
	v_or_b32_e32 v3, 1, v7
	v_cmp_lt_u32_e32 vcc, v3, v8
	s_and_saveexec_b64 s[2:3], vcc
; %bb.39:
	v_mov_b32_e32 v3, 0
	s_or_b64 s[0:1], s[0:1], exec
; %bb.40:
	s_or_b64 exec, exec, s[2:3]
.LBB18_41:
	s_and_saveexec_b64 s[2:3], s[0:1]
	s_cbranch_execz .LBB18_43
; %bb.42:
	v_lshlrev_b32_e32 v4, 3, v9
	ds_read_b64 v[4:5], v4
	v_lshl_add_u64 v[2:3], v[2:3], 3, s[10:11]
	s_waitcnt lgkmcnt(0)
	global_store_dwordx2 v[2:3], v[4:5], off offset:8
.LBB18_43:
	s_or_b64 exec, exec, s[2:3]
	v_lshrrev_b32_e32 v2, 4, v0
	v_and_b32_e32 v2, 28, v2
	v_add_u32_e32 v2, v2, v7
	s_barrier
	s_barrier
	ds_write_b16 v2, v6
	v_lshrrev_b32_e32 v2, 5, v0
	v_or_b32_e32 v4, 0x200, v0
	s_add_u32 s0, s6, s25
	v_and_b32_e32 v5, 12, v2
	v_lshrrev_b32_e32 v2, 5, v4
	s_addc_u32 s1, s7, 0
	v_and_b32_e32 v6, 28, v2
	v_lshl_add_u64 v[2:3], s[0:1], 0, v[0:1]
	s_and_b64 vcc, exec, s[14:15]
	v_add_u32_e32 v6, v6, v0
	s_waitcnt lgkmcnt(0)
	s_cbranch_vccz .LBB18_45
; %bb.44:
	v_add_u32_e32 v1, v5, v0
	s_barrier
	ds_read_u8 v7, v1
	ds_read_u8 v1, v6 offset:512
	s_mov_b64 s[0:1], -1
	s_waitcnt lgkmcnt(1)
	global_store_byte v[2:3], v7, off
	s_cbranch_execz .LBB18_46
	s_branch .LBB18_49
.LBB18_45:
	s_mov_b64 s[0:1], 0
                                        ; implicit-def: $vgpr1
.LBB18_46:
	s_barrier
	s_waitcnt lgkmcnt(0)
	ds_read_u8 v1, v6 offset:512
	s_sub_i32 s2, s12, s25
	v_cmp_gt_u32_e32 vcc, s2, v0
	s_and_saveexec_b64 s[0:1], vcc
	s_cbranch_execz .LBB18_48
; %bb.47:
	v_add_u32_e32 v0, v5, v0
	ds_read_u8 v0, v0
	s_waitcnt lgkmcnt(0)
	global_store_byte v[2:3], v0, off
.LBB18_48:
	s_or_b64 exec, exec, s[0:1]
	v_cmp_gt_u32_e64 s[0:1], s2, v4
.LBB18_49:
	s_and_saveexec_b64 s[2:3], s[0:1]
	s_cbranch_execz .LBB18_51
; %bb.50:
	s_waitcnt lgkmcnt(0)
	global_store_byte v[2:3], v1, off offset:512
.LBB18_51:
	s_endpgm
	.section	.rodata,"a",@progbits
	.p2align	6, 0x0
	.amdhsa_kernel _ZN7rocprim17ROCPRIM_304000_NS6detail35device_block_merge_mergepath_kernelINS1_37wrapped_merge_sort_block_merge_configINS0_14default_configEhN2at4cuda3cub6detail10OpaqueTypeILi8EEEEEPhSC_PSA_SD_jNS1_19radix_merge_compareILb0ELb0EhNS0_19identity_decomposerEEEEEvT0_T1_T2_T3_T4_SL_jT5_PKSL_NS1_7vsmem_tE
		.amdhsa_group_segment_fixed_size 8208
		.amdhsa_private_segment_fixed_size 0
		.amdhsa_kernarg_size 320
		.amdhsa_user_sgpr_count 2
		.amdhsa_user_sgpr_dispatch_ptr 0
		.amdhsa_user_sgpr_queue_ptr 0
		.amdhsa_user_sgpr_kernarg_segment_ptr 1
		.amdhsa_user_sgpr_dispatch_id 0
		.amdhsa_user_sgpr_kernarg_preload_length 0
		.amdhsa_user_sgpr_kernarg_preload_offset 0
		.amdhsa_user_sgpr_private_segment_size 0
		.amdhsa_uses_dynamic_stack 0
		.amdhsa_enable_private_segment 0
		.amdhsa_system_sgpr_workgroup_id_x 1
		.amdhsa_system_sgpr_workgroup_id_y 1
		.amdhsa_system_sgpr_workgroup_id_z 1
		.amdhsa_system_sgpr_workgroup_info 0
		.amdhsa_system_vgpr_workitem_id 0
		.amdhsa_next_free_vgpr 16
		.amdhsa_next_free_sgpr 28
		.amdhsa_accum_offset 16
		.amdhsa_reserve_vcc 1
		.amdhsa_float_round_mode_32 0
		.amdhsa_float_round_mode_16_64 0
		.amdhsa_float_denorm_mode_32 3
		.amdhsa_float_denorm_mode_16_64 3
		.amdhsa_dx10_clamp 1
		.amdhsa_ieee_mode 1
		.amdhsa_fp16_overflow 0
		.amdhsa_tg_split 0
		.amdhsa_exception_fp_ieee_invalid_op 0
		.amdhsa_exception_fp_denorm_src 0
		.amdhsa_exception_fp_ieee_div_zero 0
		.amdhsa_exception_fp_ieee_overflow 0
		.amdhsa_exception_fp_ieee_underflow 0
		.amdhsa_exception_fp_ieee_inexact 0
		.amdhsa_exception_int_div_zero 0
	.end_amdhsa_kernel
	.section	.text._ZN7rocprim17ROCPRIM_304000_NS6detail35device_block_merge_mergepath_kernelINS1_37wrapped_merge_sort_block_merge_configINS0_14default_configEhN2at4cuda3cub6detail10OpaqueTypeILi8EEEEEPhSC_PSA_SD_jNS1_19radix_merge_compareILb0ELb0EhNS0_19identity_decomposerEEEEEvT0_T1_T2_T3_T4_SL_jT5_PKSL_NS1_7vsmem_tE,"axG",@progbits,_ZN7rocprim17ROCPRIM_304000_NS6detail35device_block_merge_mergepath_kernelINS1_37wrapped_merge_sort_block_merge_configINS0_14default_configEhN2at4cuda3cub6detail10OpaqueTypeILi8EEEEEPhSC_PSA_SD_jNS1_19radix_merge_compareILb0ELb0EhNS0_19identity_decomposerEEEEEvT0_T1_T2_T3_T4_SL_jT5_PKSL_NS1_7vsmem_tE,comdat
.Lfunc_end18:
	.size	_ZN7rocprim17ROCPRIM_304000_NS6detail35device_block_merge_mergepath_kernelINS1_37wrapped_merge_sort_block_merge_configINS0_14default_configEhN2at4cuda3cub6detail10OpaqueTypeILi8EEEEEPhSC_PSA_SD_jNS1_19radix_merge_compareILb0ELb0EhNS0_19identity_decomposerEEEEEvT0_T1_T2_T3_T4_SL_jT5_PKSL_NS1_7vsmem_tE, .Lfunc_end18-_ZN7rocprim17ROCPRIM_304000_NS6detail35device_block_merge_mergepath_kernelINS1_37wrapped_merge_sort_block_merge_configINS0_14default_configEhN2at4cuda3cub6detail10OpaqueTypeILi8EEEEEPhSC_PSA_SD_jNS1_19radix_merge_compareILb0ELb0EhNS0_19identity_decomposerEEEEEvT0_T1_T2_T3_T4_SL_jT5_PKSL_NS1_7vsmem_tE
                                        ; -- End function
	.set _ZN7rocprim17ROCPRIM_304000_NS6detail35device_block_merge_mergepath_kernelINS1_37wrapped_merge_sort_block_merge_configINS0_14default_configEhN2at4cuda3cub6detail10OpaqueTypeILi8EEEEEPhSC_PSA_SD_jNS1_19radix_merge_compareILb0ELb0EhNS0_19identity_decomposerEEEEEvT0_T1_T2_T3_T4_SL_jT5_PKSL_NS1_7vsmem_tE.num_vgpr, 16
	.set _ZN7rocprim17ROCPRIM_304000_NS6detail35device_block_merge_mergepath_kernelINS1_37wrapped_merge_sort_block_merge_configINS0_14default_configEhN2at4cuda3cub6detail10OpaqueTypeILi8EEEEEPhSC_PSA_SD_jNS1_19radix_merge_compareILb0ELb0EhNS0_19identity_decomposerEEEEEvT0_T1_T2_T3_T4_SL_jT5_PKSL_NS1_7vsmem_tE.num_agpr, 0
	.set _ZN7rocprim17ROCPRIM_304000_NS6detail35device_block_merge_mergepath_kernelINS1_37wrapped_merge_sort_block_merge_configINS0_14default_configEhN2at4cuda3cub6detail10OpaqueTypeILi8EEEEEPhSC_PSA_SD_jNS1_19radix_merge_compareILb0ELb0EhNS0_19identity_decomposerEEEEEvT0_T1_T2_T3_T4_SL_jT5_PKSL_NS1_7vsmem_tE.numbered_sgpr, 28
	.set _ZN7rocprim17ROCPRIM_304000_NS6detail35device_block_merge_mergepath_kernelINS1_37wrapped_merge_sort_block_merge_configINS0_14default_configEhN2at4cuda3cub6detail10OpaqueTypeILi8EEEEEPhSC_PSA_SD_jNS1_19radix_merge_compareILb0ELb0EhNS0_19identity_decomposerEEEEEvT0_T1_T2_T3_T4_SL_jT5_PKSL_NS1_7vsmem_tE.num_named_barrier, 0
	.set _ZN7rocprim17ROCPRIM_304000_NS6detail35device_block_merge_mergepath_kernelINS1_37wrapped_merge_sort_block_merge_configINS0_14default_configEhN2at4cuda3cub6detail10OpaqueTypeILi8EEEEEPhSC_PSA_SD_jNS1_19radix_merge_compareILb0ELb0EhNS0_19identity_decomposerEEEEEvT0_T1_T2_T3_T4_SL_jT5_PKSL_NS1_7vsmem_tE.private_seg_size, 0
	.set _ZN7rocprim17ROCPRIM_304000_NS6detail35device_block_merge_mergepath_kernelINS1_37wrapped_merge_sort_block_merge_configINS0_14default_configEhN2at4cuda3cub6detail10OpaqueTypeILi8EEEEEPhSC_PSA_SD_jNS1_19radix_merge_compareILb0ELb0EhNS0_19identity_decomposerEEEEEvT0_T1_T2_T3_T4_SL_jT5_PKSL_NS1_7vsmem_tE.uses_vcc, 1
	.set _ZN7rocprim17ROCPRIM_304000_NS6detail35device_block_merge_mergepath_kernelINS1_37wrapped_merge_sort_block_merge_configINS0_14default_configEhN2at4cuda3cub6detail10OpaqueTypeILi8EEEEEPhSC_PSA_SD_jNS1_19radix_merge_compareILb0ELb0EhNS0_19identity_decomposerEEEEEvT0_T1_T2_T3_T4_SL_jT5_PKSL_NS1_7vsmem_tE.uses_flat_scratch, 0
	.set _ZN7rocprim17ROCPRIM_304000_NS6detail35device_block_merge_mergepath_kernelINS1_37wrapped_merge_sort_block_merge_configINS0_14default_configEhN2at4cuda3cub6detail10OpaqueTypeILi8EEEEEPhSC_PSA_SD_jNS1_19radix_merge_compareILb0ELb0EhNS0_19identity_decomposerEEEEEvT0_T1_T2_T3_T4_SL_jT5_PKSL_NS1_7vsmem_tE.has_dyn_sized_stack, 0
	.set _ZN7rocprim17ROCPRIM_304000_NS6detail35device_block_merge_mergepath_kernelINS1_37wrapped_merge_sort_block_merge_configINS0_14default_configEhN2at4cuda3cub6detail10OpaqueTypeILi8EEEEEPhSC_PSA_SD_jNS1_19radix_merge_compareILb0ELb0EhNS0_19identity_decomposerEEEEEvT0_T1_T2_T3_T4_SL_jT5_PKSL_NS1_7vsmem_tE.has_recursion, 0
	.set _ZN7rocprim17ROCPRIM_304000_NS6detail35device_block_merge_mergepath_kernelINS1_37wrapped_merge_sort_block_merge_configINS0_14default_configEhN2at4cuda3cub6detail10OpaqueTypeILi8EEEEEPhSC_PSA_SD_jNS1_19radix_merge_compareILb0ELb0EhNS0_19identity_decomposerEEEEEvT0_T1_T2_T3_T4_SL_jT5_PKSL_NS1_7vsmem_tE.has_indirect_call, 0
	.section	.AMDGPU.csdata,"",@progbits
; Kernel info:
; codeLenInByte = 1820
; TotalNumSgprs: 34
; NumVgprs: 16
; NumAgprs: 0
; TotalNumVgprs: 16
; ScratchSize: 0
; MemoryBound: 0
; FloatMode: 240
; IeeeMode: 1
; LDSByteSize: 8208 bytes/workgroup (compile time only)
; SGPRBlocks: 4
; VGPRBlocks: 1
; NumSGPRsForWavesPerEU: 34
; NumVGPRsForWavesPerEU: 16
; AccumOffset: 16
; Occupancy: 8
; WaveLimiterHint : 1
; COMPUTE_PGM_RSRC2:SCRATCH_EN: 0
; COMPUTE_PGM_RSRC2:USER_SGPR: 2
; COMPUTE_PGM_RSRC2:TRAP_HANDLER: 0
; COMPUTE_PGM_RSRC2:TGID_X_EN: 1
; COMPUTE_PGM_RSRC2:TGID_Y_EN: 1
; COMPUTE_PGM_RSRC2:TGID_Z_EN: 1
; COMPUTE_PGM_RSRC2:TIDIG_COMP_CNT: 0
; COMPUTE_PGM_RSRC3_GFX90A:ACCUM_OFFSET: 3
; COMPUTE_PGM_RSRC3_GFX90A:TG_SPLIT: 0
	.section	.text._ZN7rocprim17ROCPRIM_304000_NS6detail33device_block_merge_oddeven_kernelINS1_37wrapped_merge_sort_block_merge_configINS0_14default_configEhN2at4cuda3cub6detail10OpaqueTypeILi8EEEEEPhSC_PSA_SD_jNS1_19radix_merge_compareILb0ELb0EhNS0_19identity_decomposerEEEEEvT0_T1_T2_T3_T4_SL_T5_,"axG",@progbits,_ZN7rocprim17ROCPRIM_304000_NS6detail33device_block_merge_oddeven_kernelINS1_37wrapped_merge_sort_block_merge_configINS0_14default_configEhN2at4cuda3cub6detail10OpaqueTypeILi8EEEEEPhSC_PSA_SD_jNS1_19radix_merge_compareILb0ELb0EhNS0_19identity_decomposerEEEEEvT0_T1_T2_T3_T4_SL_T5_,comdat
	.protected	_ZN7rocprim17ROCPRIM_304000_NS6detail33device_block_merge_oddeven_kernelINS1_37wrapped_merge_sort_block_merge_configINS0_14default_configEhN2at4cuda3cub6detail10OpaqueTypeILi8EEEEEPhSC_PSA_SD_jNS1_19radix_merge_compareILb0ELb0EhNS0_19identity_decomposerEEEEEvT0_T1_T2_T3_T4_SL_T5_ ; -- Begin function _ZN7rocprim17ROCPRIM_304000_NS6detail33device_block_merge_oddeven_kernelINS1_37wrapped_merge_sort_block_merge_configINS0_14default_configEhN2at4cuda3cub6detail10OpaqueTypeILi8EEEEEPhSC_PSA_SD_jNS1_19radix_merge_compareILb0ELb0EhNS0_19identity_decomposerEEEEEvT0_T1_T2_T3_T4_SL_T5_
	.globl	_ZN7rocprim17ROCPRIM_304000_NS6detail33device_block_merge_oddeven_kernelINS1_37wrapped_merge_sort_block_merge_configINS0_14default_configEhN2at4cuda3cub6detail10OpaqueTypeILi8EEEEEPhSC_PSA_SD_jNS1_19radix_merge_compareILb0ELb0EhNS0_19identity_decomposerEEEEEvT0_T1_T2_T3_T4_SL_T5_
	.p2align	8
	.type	_ZN7rocprim17ROCPRIM_304000_NS6detail33device_block_merge_oddeven_kernelINS1_37wrapped_merge_sort_block_merge_configINS0_14default_configEhN2at4cuda3cub6detail10OpaqueTypeILi8EEEEEPhSC_PSA_SD_jNS1_19radix_merge_compareILb0ELb0EhNS0_19identity_decomposerEEEEEvT0_T1_T2_T3_T4_SL_T5_,@function
_ZN7rocprim17ROCPRIM_304000_NS6detail33device_block_merge_oddeven_kernelINS1_37wrapped_merge_sort_block_merge_configINS0_14default_configEhN2at4cuda3cub6detail10OpaqueTypeILi8EEEEEPhSC_PSA_SD_jNS1_19radix_merge_compareILb0ELb0EhNS0_19identity_decomposerEEEEEvT0_T1_T2_T3_T4_SL_T5_: ; @_ZN7rocprim17ROCPRIM_304000_NS6detail33device_block_merge_oddeven_kernelINS1_37wrapped_merge_sort_block_merge_configINS0_14default_configEhN2at4cuda3cub6detail10OpaqueTypeILi8EEEEEPhSC_PSA_SD_jNS1_19radix_merge_compareILb0ELb0EhNS0_19identity_decomposerEEEEEvT0_T1_T2_T3_T4_SL_T5_
; %bb.0:
	s_load_dwordx2 s[16:17], s[0:1], 0x20
	s_waitcnt lgkmcnt(0)
	s_lshr_b32 s3, s16, 8
	s_cmp_eq_u32 s2, s3
	s_cselect_b64 s[6:7], -1, 0
	s_cmp_lg_u32 s2, s3
	s_cselect_b64 s[8:9], -1, 0
	s_lshl_b32 s18, s2, 8
	s_sub_i32 s3, s16, s18
	v_cmp_gt_u32_e64 s[4:5], s3, v0
	s_or_b64 s[8:9], s[8:9], s[4:5]
	s_and_saveexec_b64 s[10:11], s[8:9]
	s_cbranch_execz .LBB19_24
; %bb.1:
	s_load_dwordx8 s[8:15], s[0:1], 0x0
	s_mov_b32 s19, 0
	v_lshlrev_b32_e32 v1, 3, v0
	s_waitcnt lgkmcnt(0)
	s_add_u32 s0, s8, s18
	s_addc_u32 s1, s9, 0
	s_lshl_b64 s[20:21], s[18:19], 3
	s_add_u32 s12, s12, s20
	s_addc_u32 s13, s13, s21
	global_load_dwordx2 v[2:3], v1, s[12:13]
	global_load_ubyte v4, v0, s[0:1]
	s_lshr_b32 s0, s17, 8
	s_sub_i32 s1, 0, s0
	s_and_b32 s1, s2, s1
	s_and_b32 s0, s1, s0
	s_lshl_b32 s19, s1, 8
	s_sub_i32 s12, 0, s17
	s_cmp_eq_u32 s0, 0
	s_cselect_b64 s[0:1], -1, 0
	s_and_b64 s[2:3], s[0:1], exec
	s_cselect_b32 s12, s17, s12
	s_add_i32 s12, s12, s19
	s_mov_b64 s[2:3], -1
	s_cmp_gt_u32 s16, s12
	v_add_u32_e32 v0, s18, v0
	s_cbranch_scc1 .LBB19_9
; %bb.2:
	s_and_b64 vcc, exec, s[6:7]
	s_cbranch_vccz .LBB19_6
; %bb.3:
	v_cmp_gt_u32_e32 vcc, s16, v0
	s_and_saveexec_b64 s[2:3], vcc
	s_cbranch_execz .LBB19_5
; %bb.4:
	v_mov_b32_e32 v1, 0
	v_lshl_add_u64 v[6:7], v[0:1], 3, s[14:15]
	s_waitcnt vmcnt(0)
	global_store_byte v0, v4, s[10:11]
	global_store_dwordx2 v[6:7], v[2:3], off
.LBB19_5:
	s_or_b64 exec, exec, s[2:3]
	s_mov_b64 s[2:3], 0
.LBB19_6:
	s_andn2_b64 vcc, exec, s[2:3]
	s_cbranch_vccnz .LBB19_8
; %bb.7:
	v_mov_b32_e32 v1, 0
	v_lshl_add_u64 v[6:7], v[0:1], 3, s[14:15]
	s_waitcnt vmcnt(0)
	global_store_byte v0, v4, s[10:11]
	global_store_dwordx2 v[6:7], v[2:3], off
.LBB19_8:
	s_mov_b64 s[2:3], 0
.LBB19_9:
	s_andn2_b64 vcc, exec, s[2:3]
	s_cbranch_vccnz .LBB19_24
; %bb.10:
	s_min_u32 s13, s12, s16
	s_add_i32 s2, s13, s17
	s_min_u32 s16, s2, s16
	s_min_u32 s2, s19, s13
	s_add_i32 s19, s19, s13
	v_subrev_u32_e32 v0, s19, v0
	v_add_u32_e32 v0, s2, v0
	s_andn2_b64 vcc, exec, s[6:7]
	s_mov_b64 s[2:3], -1
	s_cbranch_vccnz .LBB19_18
; %bb.11:
	s_and_saveexec_b64 s[2:3], s[4:5]
	s_cbranch_execz .LBB19_17
; %bb.12:
	s_cmp_ge_u32 s12, s16
	v_mov_b32_e32 v1, s13
	s_cbranch_scc1 .LBB19_16
; %bb.13:
	s_mov_b64 s[4:5], 0
	v_mov_b32_e32 v5, s16
	v_mov_b32_e32 v1, s13
.LBB19_14:                              ; =>This Inner Loop Header: Depth=1
	v_add_u32_e32 v6, v1, v5
	v_lshrrev_b32_e32 v6, 1, v6
	global_load_ubyte v7, v6, s[8:9]
	v_add_u32_e32 v8, 1, v6
	s_waitcnt vmcnt(0)
	v_cmp_gt_u16_sdwa s[6:7], v4, v7 src0_sel:BYTE_0 src1_sel:DWORD
	s_nop 1
	v_cndmask_b32_e64 v9, 0, 1, s[6:7]
	v_cmp_le_u16_sdwa s[6:7], v7, v4 src0_sel:DWORD src1_sel:BYTE_0
	s_nop 1
	v_cndmask_b32_e64 v7, 0, 1, s[6:7]
	v_cndmask_b32_e64 v7, v7, v9, s[0:1]
	v_and_b32_e32 v7, 1, v7
	v_cmp_eq_u32_e32 vcc, 1, v7
	s_nop 1
	v_cndmask_b32_e32 v5, v6, v5, vcc
	v_cndmask_b32_e32 v1, v1, v8, vcc
	v_cmp_ge_u32_e32 vcc, v1, v5
	s_or_b64 s[4:5], vcc, s[4:5]
	s_andn2_b64 exec, exec, s[4:5]
	s_cbranch_execnz .LBB19_14
; %bb.15:
	s_or_b64 exec, exec, s[4:5]
.LBB19_16:
	v_add_u32_e32 v6, v1, v0
	v_mov_b32_e32 v7, 0
	s_waitcnt vmcnt(0)
	global_store_byte v6, v4, s[10:11]
	v_lshl_add_u64 v[6:7], v[6:7], 3, s[14:15]
	global_store_dwordx2 v[6:7], v[2:3], off
.LBB19_17:
	s_or_b64 exec, exec, s[2:3]
	s_mov_b64 s[2:3], 0
.LBB19_18:
	s_andn2_b64 vcc, exec, s[2:3]
	s_cbranch_vccnz .LBB19_24
; %bb.19:
	s_cmp_ge_u32 s12, s16
	v_mov_b32_e32 v1, s13
	s_cbranch_scc1 .LBB19_23
; %bb.20:
	s_mov_b64 s[2:3], 0
	v_mov_b32_e32 v5, s16
	v_mov_b32_e32 v1, s13
.LBB19_21:                              ; =>This Inner Loop Header: Depth=1
	v_add_u32_e32 v6, v1, v5
	v_lshrrev_b32_e32 v6, 1, v6
	global_load_ubyte v7, v6, s[8:9]
	v_add_u32_e32 v8, 1, v6
	s_waitcnt vmcnt(0)
	v_cmp_gt_u16_sdwa s[4:5], v4, v7 src0_sel:BYTE_0 src1_sel:DWORD
	s_nop 1
	v_cndmask_b32_e64 v9, 0, 1, s[4:5]
	v_cmp_le_u16_sdwa s[4:5], v7, v4 src0_sel:DWORD src1_sel:BYTE_0
	s_nop 1
	v_cndmask_b32_e64 v7, 0, 1, s[4:5]
	v_cndmask_b32_e64 v7, v7, v9, s[0:1]
	v_and_b32_e32 v7, 1, v7
	v_cmp_eq_u32_e32 vcc, 1, v7
	s_nop 1
	v_cndmask_b32_e32 v5, v6, v5, vcc
	v_cndmask_b32_e32 v1, v1, v8, vcc
	v_cmp_ge_u32_e32 vcc, v1, v5
	s_or_b64 s[2:3], vcc, s[2:3]
	s_andn2_b64 exec, exec, s[2:3]
	s_cbranch_execnz .LBB19_21
; %bb.22:
	s_or_b64 exec, exec, s[2:3]
.LBB19_23:
	v_add_u32_e32 v0, v1, v0
	v_mov_b32_e32 v1, 0
	s_waitcnt vmcnt(0)
	global_store_byte v0, v4, s[10:11]
	v_lshl_add_u64 v[0:1], v[0:1], 3, s[14:15]
	global_store_dwordx2 v[0:1], v[2:3], off
.LBB19_24:
	s_endpgm
	.section	.rodata,"a",@progbits
	.p2align	6, 0x0
	.amdhsa_kernel _ZN7rocprim17ROCPRIM_304000_NS6detail33device_block_merge_oddeven_kernelINS1_37wrapped_merge_sort_block_merge_configINS0_14default_configEhN2at4cuda3cub6detail10OpaqueTypeILi8EEEEEPhSC_PSA_SD_jNS1_19radix_merge_compareILb0ELb0EhNS0_19identity_decomposerEEEEEvT0_T1_T2_T3_T4_SL_T5_
		.amdhsa_group_segment_fixed_size 0
		.amdhsa_private_segment_fixed_size 0
		.amdhsa_kernarg_size 44
		.amdhsa_user_sgpr_count 2
		.amdhsa_user_sgpr_dispatch_ptr 0
		.amdhsa_user_sgpr_queue_ptr 0
		.amdhsa_user_sgpr_kernarg_segment_ptr 1
		.amdhsa_user_sgpr_dispatch_id 0
		.amdhsa_user_sgpr_kernarg_preload_length 0
		.amdhsa_user_sgpr_kernarg_preload_offset 0
		.amdhsa_user_sgpr_private_segment_size 0
		.amdhsa_uses_dynamic_stack 0
		.amdhsa_enable_private_segment 0
		.amdhsa_system_sgpr_workgroup_id_x 1
		.amdhsa_system_sgpr_workgroup_id_y 0
		.amdhsa_system_sgpr_workgroup_id_z 0
		.amdhsa_system_sgpr_workgroup_info 0
		.amdhsa_system_vgpr_workitem_id 0
		.amdhsa_next_free_vgpr 10
		.amdhsa_next_free_sgpr 22
		.amdhsa_accum_offset 12
		.amdhsa_reserve_vcc 1
		.amdhsa_float_round_mode_32 0
		.amdhsa_float_round_mode_16_64 0
		.amdhsa_float_denorm_mode_32 3
		.amdhsa_float_denorm_mode_16_64 3
		.amdhsa_dx10_clamp 1
		.amdhsa_ieee_mode 1
		.amdhsa_fp16_overflow 0
		.amdhsa_tg_split 0
		.amdhsa_exception_fp_ieee_invalid_op 0
		.amdhsa_exception_fp_denorm_src 0
		.amdhsa_exception_fp_ieee_div_zero 0
		.amdhsa_exception_fp_ieee_overflow 0
		.amdhsa_exception_fp_ieee_underflow 0
		.amdhsa_exception_fp_ieee_inexact 0
		.amdhsa_exception_int_div_zero 0
	.end_amdhsa_kernel
	.section	.text._ZN7rocprim17ROCPRIM_304000_NS6detail33device_block_merge_oddeven_kernelINS1_37wrapped_merge_sort_block_merge_configINS0_14default_configEhN2at4cuda3cub6detail10OpaqueTypeILi8EEEEEPhSC_PSA_SD_jNS1_19radix_merge_compareILb0ELb0EhNS0_19identity_decomposerEEEEEvT0_T1_T2_T3_T4_SL_T5_,"axG",@progbits,_ZN7rocprim17ROCPRIM_304000_NS6detail33device_block_merge_oddeven_kernelINS1_37wrapped_merge_sort_block_merge_configINS0_14default_configEhN2at4cuda3cub6detail10OpaqueTypeILi8EEEEEPhSC_PSA_SD_jNS1_19radix_merge_compareILb0ELb0EhNS0_19identity_decomposerEEEEEvT0_T1_T2_T3_T4_SL_T5_,comdat
.Lfunc_end19:
	.size	_ZN7rocprim17ROCPRIM_304000_NS6detail33device_block_merge_oddeven_kernelINS1_37wrapped_merge_sort_block_merge_configINS0_14default_configEhN2at4cuda3cub6detail10OpaqueTypeILi8EEEEEPhSC_PSA_SD_jNS1_19radix_merge_compareILb0ELb0EhNS0_19identity_decomposerEEEEEvT0_T1_T2_T3_T4_SL_T5_, .Lfunc_end19-_ZN7rocprim17ROCPRIM_304000_NS6detail33device_block_merge_oddeven_kernelINS1_37wrapped_merge_sort_block_merge_configINS0_14default_configEhN2at4cuda3cub6detail10OpaqueTypeILi8EEEEEPhSC_PSA_SD_jNS1_19radix_merge_compareILb0ELb0EhNS0_19identity_decomposerEEEEEvT0_T1_T2_T3_T4_SL_T5_
                                        ; -- End function
	.set _ZN7rocprim17ROCPRIM_304000_NS6detail33device_block_merge_oddeven_kernelINS1_37wrapped_merge_sort_block_merge_configINS0_14default_configEhN2at4cuda3cub6detail10OpaqueTypeILi8EEEEEPhSC_PSA_SD_jNS1_19radix_merge_compareILb0ELb0EhNS0_19identity_decomposerEEEEEvT0_T1_T2_T3_T4_SL_T5_.num_vgpr, 10
	.set _ZN7rocprim17ROCPRIM_304000_NS6detail33device_block_merge_oddeven_kernelINS1_37wrapped_merge_sort_block_merge_configINS0_14default_configEhN2at4cuda3cub6detail10OpaqueTypeILi8EEEEEPhSC_PSA_SD_jNS1_19radix_merge_compareILb0ELb0EhNS0_19identity_decomposerEEEEEvT0_T1_T2_T3_T4_SL_T5_.num_agpr, 0
	.set _ZN7rocprim17ROCPRIM_304000_NS6detail33device_block_merge_oddeven_kernelINS1_37wrapped_merge_sort_block_merge_configINS0_14default_configEhN2at4cuda3cub6detail10OpaqueTypeILi8EEEEEPhSC_PSA_SD_jNS1_19radix_merge_compareILb0ELb0EhNS0_19identity_decomposerEEEEEvT0_T1_T2_T3_T4_SL_T5_.numbered_sgpr, 22
	.set _ZN7rocprim17ROCPRIM_304000_NS6detail33device_block_merge_oddeven_kernelINS1_37wrapped_merge_sort_block_merge_configINS0_14default_configEhN2at4cuda3cub6detail10OpaqueTypeILi8EEEEEPhSC_PSA_SD_jNS1_19radix_merge_compareILb0ELb0EhNS0_19identity_decomposerEEEEEvT0_T1_T2_T3_T4_SL_T5_.num_named_barrier, 0
	.set _ZN7rocprim17ROCPRIM_304000_NS6detail33device_block_merge_oddeven_kernelINS1_37wrapped_merge_sort_block_merge_configINS0_14default_configEhN2at4cuda3cub6detail10OpaqueTypeILi8EEEEEPhSC_PSA_SD_jNS1_19radix_merge_compareILb0ELb0EhNS0_19identity_decomposerEEEEEvT0_T1_T2_T3_T4_SL_T5_.private_seg_size, 0
	.set _ZN7rocprim17ROCPRIM_304000_NS6detail33device_block_merge_oddeven_kernelINS1_37wrapped_merge_sort_block_merge_configINS0_14default_configEhN2at4cuda3cub6detail10OpaqueTypeILi8EEEEEPhSC_PSA_SD_jNS1_19radix_merge_compareILb0ELb0EhNS0_19identity_decomposerEEEEEvT0_T1_T2_T3_T4_SL_T5_.uses_vcc, 1
	.set _ZN7rocprim17ROCPRIM_304000_NS6detail33device_block_merge_oddeven_kernelINS1_37wrapped_merge_sort_block_merge_configINS0_14default_configEhN2at4cuda3cub6detail10OpaqueTypeILi8EEEEEPhSC_PSA_SD_jNS1_19radix_merge_compareILb0ELb0EhNS0_19identity_decomposerEEEEEvT0_T1_T2_T3_T4_SL_T5_.uses_flat_scratch, 0
	.set _ZN7rocprim17ROCPRIM_304000_NS6detail33device_block_merge_oddeven_kernelINS1_37wrapped_merge_sort_block_merge_configINS0_14default_configEhN2at4cuda3cub6detail10OpaqueTypeILi8EEEEEPhSC_PSA_SD_jNS1_19radix_merge_compareILb0ELb0EhNS0_19identity_decomposerEEEEEvT0_T1_T2_T3_T4_SL_T5_.has_dyn_sized_stack, 0
	.set _ZN7rocprim17ROCPRIM_304000_NS6detail33device_block_merge_oddeven_kernelINS1_37wrapped_merge_sort_block_merge_configINS0_14default_configEhN2at4cuda3cub6detail10OpaqueTypeILi8EEEEEPhSC_PSA_SD_jNS1_19radix_merge_compareILb0ELb0EhNS0_19identity_decomposerEEEEEvT0_T1_T2_T3_T4_SL_T5_.has_recursion, 0
	.set _ZN7rocprim17ROCPRIM_304000_NS6detail33device_block_merge_oddeven_kernelINS1_37wrapped_merge_sort_block_merge_configINS0_14default_configEhN2at4cuda3cub6detail10OpaqueTypeILi8EEEEEPhSC_PSA_SD_jNS1_19radix_merge_compareILb0ELb0EhNS0_19identity_decomposerEEEEEvT0_T1_T2_T3_T4_SL_T5_.has_indirect_call, 0
	.section	.AMDGPU.csdata,"",@progbits
; Kernel info:
; codeLenInByte = 700
; TotalNumSgprs: 28
; NumVgprs: 10
; NumAgprs: 0
; TotalNumVgprs: 10
; ScratchSize: 0
; MemoryBound: 0
; FloatMode: 240
; IeeeMode: 1
; LDSByteSize: 0 bytes/workgroup (compile time only)
; SGPRBlocks: 3
; VGPRBlocks: 1
; NumSGPRsForWavesPerEU: 28
; NumVGPRsForWavesPerEU: 10
; AccumOffset: 12
; Occupancy: 8
; WaveLimiterHint : 0
; COMPUTE_PGM_RSRC2:SCRATCH_EN: 0
; COMPUTE_PGM_RSRC2:USER_SGPR: 2
; COMPUTE_PGM_RSRC2:TRAP_HANDLER: 0
; COMPUTE_PGM_RSRC2:TGID_X_EN: 1
; COMPUTE_PGM_RSRC2:TGID_Y_EN: 0
; COMPUTE_PGM_RSRC2:TGID_Z_EN: 0
; COMPUTE_PGM_RSRC2:TIDIG_COMP_CNT: 0
; COMPUTE_PGM_RSRC3_GFX90A:ACCUM_OFFSET: 2
; COMPUTE_PGM_RSRC3_GFX90A:TG_SPLIT: 0
	.section	.text._ZN7rocprim17ROCPRIM_304000_NS6detail45device_block_merge_mergepath_partition_kernelINS1_37wrapped_merge_sort_block_merge_configINS0_14default_configEhN2at4cuda3cub6detail10OpaqueTypeILi8EEEEEPhjNS1_19radix_merge_compareILb0ELb1EhNS0_19identity_decomposerEEEEEvT0_T1_jPSH_T2_SH_,"axG",@progbits,_ZN7rocprim17ROCPRIM_304000_NS6detail45device_block_merge_mergepath_partition_kernelINS1_37wrapped_merge_sort_block_merge_configINS0_14default_configEhN2at4cuda3cub6detail10OpaqueTypeILi8EEEEEPhjNS1_19radix_merge_compareILb0ELb1EhNS0_19identity_decomposerEEEEEvT0_T1_jPSH_T2_SH_,comdat
	.protected	_ZN7rocprim17ROCPRIM_304000_NS6detail45device_block_merge_mergepath_partition_kernelINS1_37wrapped_merge_sort_block_merge_configINS0_14default_configEhN2at4cuda3cub6detail10OpaqueTypeILi8EEEEEPhjNS1_19radix_merge_compareILb0ELb1EhNS0_19identity_decomposerEEEEEvT0_T1_jPSH_T2_SH_ ; -- Begin function _ZN7rocprim17ROCPRIM_304000_NS6detail45device_block_merge_mergepath_partition_kernelINS1_37wrapped_merge_sort_block_merge_configINS0_14default_configEhN2at4cuda3cub6detail10OpaqueTypeILi8EEEEEPhjNS1_19radix_merge_compareILb0ELb1EhNS0_19identity_decomposerEEEEEvT0_T1_jPSH_T2_SH_
	.globl	_ZN7rocprim17ROCPRIM_304000_NS6detail45device_block_merge_mergepath_partition_kernelINS1_37wrapped_merge_sort_block_merge_configINS0_14default_configEhN2at4cuda3cub6detail10OpaqueTypeILi8EEEEEPhjNS1_19radix_merge_compareILb0ELb1EhNS0_19identity_decomposerEEEEEvT0_T1_jPSH_T2_SH_
	.p2align	8
	.type	_ZN7rocprim17ROCPRIM_304000_NS6detail45device_block_merge_mergepath_partition_kernelINS1_37wrapped_merge_sort_block_merge_configINS0_14default_configEhN2at4cuda3cub6detail10OpaqueTypeILi8EEEEEPhjNS1_19radix_merge_compareILb0ELb1EhNS0_19identity_decomposerEEEEEvT0_T1_jPSH_T2_SH_,@function
_ZN7rocprim17ROCPRIM_304000_NS6detail45device_block_merge_mergepath_partition_kernelINS1_37wrapped_merge_sort_block_merge_configINS0_14default_configEhN2at4cuda3cub6detail10OpaqueTypeILi8EEEEEPhjNS1_19radix_merge_compareILb0ELb1EhNS0_19identity_decomposerEEEEEvT0_T1_jPSH_T2_SH_: ; @_ZN7rocprim17ROCPRIM_304000_NS6detail45device_block_merge_mergepath_partition_kernelINS1_37wrapped_merge_sort_block_merge_configINS0_14default_configEhN2at4cuda3cub6detail10OpaqueTypeILi8EEEEEPhjNS1_19radix_merge_compareILb0ELb1EhNS0_19identity_decomposerEEEEEvT0_T1_jPSH_T2_SH_
; %bb.0:
	s_load_dwordx2 s[4:5], s[0:1], 0x8
	v_lshl_or_b32 v0, s2, 7, v0
	s_waitcnt lgkmcnt(0)
	v_cmp_gt_u32_e32 vcc, s5, v0
	s_and_saveexec_b64 s[2:3], vcc
	s_cbranch_execz .LBB20_6
; %bb.1:
	s_load_dwordx2 s[6:7], s[0:1], 0x18
	s_waitcnt lgkmcnt(0)
	s_lshr_b32 s2, s7, 9
	s_and_b32 s2, s2, 0x7ffffe
	s_add_i32 s3, s2, -1
	s_sub_i32 s2, 0, s2
	v_and_b32_e32 v1, s2, v0
	v_and_b32_e32 v2, s3, v0
	v_lshlrev_b32_e32 v1, 10, v1
	v_lshlrev_b32_e32 v3, 10, v2
	v_min_u32_e32 v2, s4, v1
	v_add_u32_e32 v1, s7, v1
	v_min_u32_e32 v4, s4, v1
	v_add_u32_e32 v1, s7, v4
	v_min_u32_e32 v1, s4, v1
	v_sub_u32_e32 v5, v1, v2
	v_min_u32_e32 v10, v5, v3
	v_sub_u32_e32 v3, v4, v2
	v_sub_u32_e32 v1, v1, v4
	v_sub_u32_e64 v1, v10, v1 clamp
	v_min_u32_e32 v11, v10, v3
	v_cmp_lt_u32_e32 vcc, v1, v11
	s_and_saveexec_b64 s[2:3], vcc
	s_cbranch_execz .LBB20_5
; %bb.2:
	s_load_dwordx2 s[8:9], s[0:1], 0x0
	v_mov_b32_e32 v5, 0
	v_mov_b32_e32 v3, v5
	s_mov_b64 s[4:5], 0
	s_movk_i32 s7, 0xff
	s_waitcnt lgkmcnt(0)
	v_lshl_add_u64 v[6:7], s[8:9], 0, v[2:3]
	v_lshl_add_u64 v[8:9], s[8:9], 0, v[4:5]
	v_mov_b32_e32 v3, s6
.LBB20_3:                               ; =>This Inner Loop Header: Depth=1
	v_add_u32_e32 v4, v11, v1
	v_lshrrev_b32_e32 v4, 1, v4
	v_mov_b32_e32 v13, v5
	v_xad_u32 v12, v4, -1, v10
	v_lshl_add_u64 v[14:15], v[6:7], 0, v[4:5]
	v_lshl_add_u64 v[12:13], v[8:9], 0, v[12:13]
	global_load_ubyte v16, v[14:15], off
	global_load_ubyte v17, v[12:13], off
	v_add_u32_e32 v12, 1, v4
	s_waitcnt vmcnt(1)
	v_bitop3_b16 v13, v16, s7, v3 bitop3:0x80
	s_waitcnt vmcnt(0)
	v_bitop3_b16 v14, v17, s7, v3 bitop3:0x80
	v_cmp_gt_u16_e32 vcc, v13, v14
	s_nop 1
	v_cndmask_b32_e32 v11, v11, v4, vcc
	v_cndmask_b32_e32 v1, v12, v1, vcc
	v_cmp_ge_u32_e32 vcc, v1, v11
	s_or_b64 s[4:5], vcc, s[4:5]
	s_andn2_b64 exec, exec, s[4:5]
	s_cbranch_execnz .LBB20_3
; %bb.4:
	s_or_b64 exec, exec, s[4:5]
.LBB20_5:
	s_or_b64 exec, exec, s[2:3]
	s_load_dwordx2 s[0:1], s[0:1], 0x10
	v_add_u32_e32 v2, v1, v2
	v_mov_b32_e32 v1, 0
	s_waitcnt lgkmcnt(0)
	v_lshl_add_u64 v[0:1], v[0:1], 2, s[0:1]
	global_store_dword v[0:1], v2, off
.LBB20_6:
	s_endpgm
	.section	.rodata,"a",@progbits
	.p2align	6, 0x0
	.amdhsa_kernel _ZN7rocprim17ROCPRIM_304000_NS6detail45device_block_merge_mergepath_partition_kernelINS1_37wrapped_merge_sort_block_merge_configINS0_14default_configEhN2at4cuda3cub6detail10OpaqueTypeILi8EEEEEPhjNS1_19radix_merge_compareILb0ELb1EhNS0_19identity_decomposerEEEEEvT0_T1_jPSH_T2_SH_
		.amdhsa_group_segment_fixed_size 0
		.amdhsa_private_segment_fixed_size 0
		.amdhsa_kernarg_size 32
		.amdhsa_user_sgpr_count 2
		.amdhsa_user_sgpr_dispatch_ptr 0
		.amdhsa_user_sgpr_queue_ptr 0
		.amdhsa_user_sgpr_kernarg_segment_ptr 1
		.amdhsa_user_sgpr_dispatch_id 0
		.amdhsa_user_sgpr_kernarg_preload_length 0
		.amdhsa_user_sgpr_kernarg_preload_offset 0
		.amdhsa_user_sgpr_private_segment_size 0
		.amdhsa_uses_dynamic_stack 0
		.amdhsa_enable_private_segment 0
		.amdhsa_system_sgpr_workgroup_id_x 1
		.amdhsa_system_sgpr_workgroup_id_y 0
		.amdhsa_system_sgpr_workgroup_id_z 0
		.amdhsa_system_sgpr_workgroup_info 0
		.amdhsa_system_vgpr_workitem_id 0
		.amdhsa_next_free_vgpr 18
		.amdhsa_next_free_sgpr 10
		.amdhsa_accum_offset 20
		.amdhsa_reserve_vcc 1
		.amdhsa_float_round_mode_32 0
		.amdhsa_float_round_mode_16_64 0
		.amdhsa_float_denorm_mode_32 3
		.amdhsa_float_denorm_mode_16_64 3
		.amdhsa_dx10_clamp 1
		.amdhsa_ieee_mode 1
		.amdhsa_fp16_overflow 0
		.amdhsa_tg_split 0
		.amdhsa_exception_fp_ieee_invalid_op 0
		.amdhsa_exception_fp_denorm_src 0
		.amdhsa_exception_fp_ieee_div_zero 0
		.amdhsa_exception_fp_ieee_overflow 0
		.amdhsa_exception_fp_ieee_underflow 0
		.amdhsa_exception_fp_ieee_inexact 0
		.amdhsa_exception_int_div_zero 0
	.end_amdhsa_kernel
	.section	.text._ZN7rocprim17ROCPRIM_304000_NS6detail45device_block_merge_mergepath_partition_kernelINS1_37wrapped_merge_sort_block_merge_configINS0_14default_configEhN2at4cuda3cub6detail10OpaqueTypeILi8EEEEEPhjNS1_19radix_merge_compareILb0ELb1EhNS0_19identity_decomposerEEEEEvT0_T1_jPSH_T2_SH_,"axG",@progbits,_ZN7rocprim17ROCPRIM_304000_NS6detail45device_block_merge_mergepath_partition_kernelINS1_37wrapped_merge_sort_block_merge_configINS0_14default_configEhN2at4cuda3cub6detail10OpaqueTypeILi8EEEEEPhjNS1_19radix_merge_compareILb0ELb1EhNS0_19identity_decomposerEEEEEvT0_T1_jPSH_T2_SH_,comdat
.Lfunc_end20:
	.size	_ZN7rocprim17ROCPRIM_304000_NS6detail45device_block_merge_mergepath_partition_kernelINS1_37wrapped_merge_sort_block_merge_configINS0_14default_configEhN2at4cuda3cub6detail10OpaqueTypeILi8EEEEEPhjNS1_19radix_merge_compareILb0ELb1EhNS0_19identity_decomposerEEEEEvT0_T1_jPSH_T2_SH_, .Lfunc_end20-_ZN7rocprim17ROCPRIM_304000_NS6detail45device_block_merge_mergepath_partition_kernelINS1_37wrapped_merge_sort_block_merge_configINS0_14default_configEhN2at4cuda3cub6detail10OpaqueTypeILi8EEEEEPhjNS1_19radix_merge_compareILb0ELb1EhNS0_19identity_decomposerEEEEEvT0_T1_jPSH_T2_SH_
                                        ; -- End function
	.set _ZN7rocprim17ROCPRIM_304000_NS6detail45device_block_merge_mergepath_partition_kernelINS1_37wrapped_merge_sort_block_merge_configINS0_14default_configEhN2at4cuda3cub6detail10OpaqueTypeILi8EEEEEPhjNS1_19radix_merge_compareILb0ELb1EhNS0_19identity_decomposerEEEEEvT0_T1_jPSH_T2_SH_.num_vgpr, 18
	.set _ZN7rocprim17ROCPRIM_304000_NS6detail45device_block_merge_mergepath_partition_kernelINS1_37wrapped_merge_sort_block_merge_configINS0_14default_configEhN2at4cuda3cub6detail10OpaqueTypeILi8EEEEEPhjNS1_19radix_merge_compareILb0ELb1EhNS0_19identity_decomposerEEEEEvT0_T1_jPSH_T2_SH_.num_agpr, 0
	.set _ZN7rocprim17ROCPRIM_304000_NS6detail45device_block_merge_mergepath_partition_kernelINS1_37wrapped_merge_sort_block_merge_configINS0_14default_configEhN2at4cuda3cub6detail10OpaqueTypeILi8EEEEEPhjNS1_19radix_merge_compareILb0ELb1EhNS0_19identity_decomposerEEEEEvT0_T1_jPSH_T2_SH_.numbered_sgpr, 10
	.set _ZN7rocprim17ROCPRIM_304000_NS6detail45device_block_merge_mergepath_partition_kernelINS1_37wrapped_merge_sort_block_merge_configINS0_14default_configEhN2at4cuda3cub6detail10OpaqueTypeILi8EEEEEPhjNS1_19radix_merge_compareILb0ELb1EhNS0_19identity_decomposerEEEEEvT0_T1_jPSH_T2_SH_.num_named_barrier, 0
	.set _ZN7rocprim17ROCPRIM_304000_NS6detail45device_block_merge_mergepath_partition_kernelINS1_37wrapped_merge_sort_block_merge_configINS0_14default_configEhN2at4cuda3cub6detail10OpaqueTypeILi8EEEEEPhjNS1_19radix_merge_compareILb0ELb1EhNS0_19identity_decomposerEEEEEvT0_T1_jPSH_T2_SH_.private_seg_size, 0
	.set _ZN7rocprim17ROCPRIM_304000_NS6detail45device_block_merge_mergepath_partition_kernelINS1_37wrapped_merge_sort_block_merge_configINS0_14default_configEhN2at4cuda3cub6detail10OpaqueTypeILi8EEEEEPhjNS1_19radix_merge_compareILb0ELb1EhNS0_19identity_decomposerEEEEEvT0_T1_jPSH_T2_SH_.uses_vcc, 1
	.set _ZN7rocprim17ROCPRIM_304000_NS6detail45device_block_merge_mergepath_partition_kernelINS1_37wrapped_merge_sort_block_merge_configINS0_14default_configEhN2at4cuda3cub6detail10OpaqueTypeILi8EEEEEPhjNS1_19radix_merge_compareILb0ELb1EhNS0_19identity_decomposerEEEEEvT0_T1_jPSH_T2_SH_.uses_flat_scratch, 0
	.set _ZN7rocprim17ROCPRIM_304000_NS6detail45device_block_merge_mergepath_partition_kernelINS1_37wrapped_merge_sort_block_merge_configINS0_14default_configEhN2at4cuda3cub6detail10OpaqueTypeILi8EEEEEPhjNS1_19radix_merge_compareILb0ELb1EhNS0_19identity_decomposerEEEEEvT0_T1_jPSH_T2_SH_.has_dyn_sized_stack, 0
	.set _ZN7rocprim17ROCPRIM_304000_NS6detail45device_block_merge_mergepath_partition_kernelINS1_37wrapped_merge_sort_block_merge_configINS0_14default_configEhN2at4cuda3cub6detail10OpaqueTypeILi8EEEEEPhjNS1_19radix_merge_compareILb0ELb1EhNS0_19identity_decomposerEEEEEvT0_T1_jPSH_T2_SH_.has_recursion, 0
	.set _ZN7rocprim17ROCPRIM_304000_NS6detail45device_block_merge_mergepath_partition_kernelINS1_37wrapped_merge_sort_block_merge_configINS0_14default_configEhN2at4cuda3cub6detail10OpaqueTypeILi8EEEEEPhjNS1_19radix_merge_compareILb0ELb1EhNS0_19identity_decomposerEEEEEvT0_T1_jPSH_T2_SH_.has_indirect_call, 0
	.section	.AMDGPU.csdata,"",@progbits
; Kernel info:
; codeLenInByte = 348
; TotalNumSgprs: 16
; NumVgprs: 18
; NumAgprs: 0
; TotalNumVgprs: 18
; ScratchSize: 0
; MemoryBound: 0
; FloatMode: 240
; IeeeMode: 1
; LDSByteSize: 0 bytes/workgroup (compile time only)
; SGPRBlocks: 1
; VGPRBlocks: 2
; NumSGPRsForWavesPerEU: 16
; NumVGPRsForWavesPerEU: 18
; AccumOffset: 20
; Occupancy: 8
; WaveLimiterHint : 0
; COMPUTE_PGM_RSRC2:SCRATCH_EN: 0
; COMPUTE_PGM_RSRC2:USER_SGPR: 2
; COMPUTE_PGM_RSRC2:TRAP_HANDLER: 0
; COMPUTE_PGM_RSRC2:TGID_X_EN: 1
; COMPUTE_PGM_RSRC2:TGID_Y_EN: 0
; COMPUTE_PGM_RSRC2:TGID_Z_EN: 0
; COMPUTE_PGM_RSRC2:TIDIG_COMP_CNT: 0
; COMPUTE_PGM_RSRC3_GFX90A:ACCUM_OFFSET: 4
; COMPUTE_PGM_RSRC3_GFX90A:TG_SPLIT: 0
	.section	.text._ZN7rocprim17ROCPRIM_304000_NS6detail35device_block_merge_mergepath_kernelINS1_37wrapped_merge_sort_block_merge_configINS0_14default_configEhN2at4cuda3cub6detail10OpaqueTypeILi8EEEEEPhSC_PSA_SD_jNS1_19radix_merge_compareILb0ELb1EhNS0_19identity_decomposerEEEEEvT0_T1_T2_T3_T4_SL_jT5_PKSL_NS1_7vsmem_tE,"axG",@progbits,_ZN7rocprim17ROCPRIM_304000_NS6detail35device_block_merge_mergepath_kernelINS1_37wrapped_merge_sort_block_merge_configINS0_14default_configEhN2at4cuda3cub6detail10OpaqueTypeILi8EEEEEPhSC_PSA_SD_jNS1_19radix_merge_compareILb0ELb1EhNS0_19identity_decomposerEEEEEvT0_T1_T2_T3_T4_SL_jT5_PKSL_NS1_7vsmem_tE,comdat
	.protected	_ZN7rocprim17ROCPRIM_304000_NS6detail35device_block_merge_mergepath_kernelINS1_37wrapped_merge_sort_block_merge_configINS0_14default_configEhN2at4cuda3cub6detail10OpaqueTypeILi8EEEEEPhSC_PSA_SD_jNS1_19radix_merge_compareILb0ELb1EhNS0_19identity_decomposerEEEEEvT0_T1_T2_T3_T4_SL_jT5_PKSL_NS1_7vsmem_tE ; -- Begin function _ZN7rocprim17ROCPRIM_304000_NS6detail35device_block_merge_mergepath_kernelINS1_37wrapped_merge_sort_block_merge_configINS0_14default_configEhN2at4cuda3cub6detail10OpaqueTypeILi8EEEEEPhSC_PSA_SD_jNS1_19radix_merge_compareILb0ELb1EhNS0_19identity_decomposerEEEEEvT0_T1_T2_T3_T4_SL_jT5_PKSL_NS1_7vsmem_tE
	.globl	_ZN7rocprim17ROCPRIM_304000_NS6detail35device_block_merge_mergepath_kernelINS1_37wrapped_merge_sort_block_merge_configINS0_14default_configEhN2at4cuda3cub6detail10OpaqueTypeILi8EEEEEPhSC_PSA_SD_jNS1_19radix_merge_compareILb0ELb1EhNS0_19identity_decomposerEEEEEvT0_T1_T2_T3_T4_SL_jT5_PKSL_NS1_7vsmem_tE
	.p2align	8
	.type	_ZN7rocprim17ROCPRIM_304000_NS6detail35device_block_merge_mergepath_kernelINS1_37wrapped_merge_sort_block_merge_configINS0_14default_configEhN2at4cuda3cub6detail10OpaqueTypeILi8EEEEEPhSC_PSA_SD_jNS1_19radix_merge_compareILb0ELb1EhNS0_19identity_decomposerEEEEEvT0_T1_T2_T3_T4_SL_jT5_PKSL_NS1_7vsmem_tE,@function
_ZN7rocprim17ROCPRIM_304000_NS6detail35device_block_merge_mergepath_kernelINS1_37wrapped_merge_sort_block_merge_configINS0_14default_configEhN2at4cuda3cub6detail10OpaqueTypeILi8EEEEEPhSC_PSA_SD_jNS1_19radix_merge_compareILb0ELb1EhNS0_19identity_decomposerEEEEEvT0_T1_T2_T3_T4_SL_jT5_PKSL_NS1_7vsmem_tE: ; @_ZN7rocprim17ROCPRIM_304000_NS6detail35device_block_merge_mergepath_kernelINS1_37wrapped_merge_sort_block_merge_configINS0_14default_configEhN2at4cuda3cub6detail10OpaqueTypeILi8EEEEEPhSC_PSA_SD_jNS1_19radix_merge_compareILb0ELb1EhNS0_19identity_decomposerEEEEEvT0_T1_T2_T3_T4_SL_jT5_PKSL_NS1_7vsmem_tE
; %bb.0:
	s_load_dwordx2 s[26:27], s[0:1], 0x40
	s_load_dwordx4 s[12:15], s[0:1], 0x20
	s_add_u32 s24, s0, 64
	s_addc_u32 s25, s1, 0
	s_waitcnt lgkmcnt(0)
	s_mul_i32 s4, s27, s4
	s_add_i32 s3, s4, s3
	s_mul_i32 s3, s3, s26
	s_add_i32 s22, s3, s2
	s_cmp_ge_u32 s22, s14
	s_cbranch_scc1 .LBB21_51
; %bb.1:
	s_load_dwordx8 s[4:11], s[0:1], 0x0
	s_load_dwordx2 s[18:19], s[0:1], 0x30
	s_lshr_b32 s14, s12, 10
	s_cmp_lg_u32 s22, s14
	s_mov_b32 s23, 0
	s_cselect_b64 s[16:17], -1, 0
	s_lshl_b64 s[0:1], s[22:23], 2
	s_waitcnt lgkmcnt(0)
	s_add_u32 s0, s18, s0
	s_addc_u32 s1, s19, s1
	s_load_dwordx2 s[18:19], s[0:1], 0x0
	s_lshr_b32 s0, s13, 9
	s_and_b32 s0, s0, 0x7ffffe
	s_sub_i32 s0, 0, s0
	s_and_b32 s1, s22, s0
	s_lshl_b32 s3, s1, 10
	s_lshl_b32 s27, s22, 10
	;; [unrolled: 1-line block ×3, first 2 shown]
	s_sub_i32 s20, s27, s3
	s_add_i32 s1, s1, s13
	s_add_i32 s21, s1, s20
	s_waitcnt lgkmcnt(0)
	s_sub_i32 s20, s21, s18
	s_sub_i32 s21, s21, s19
	;; [unrolled: 1-line block ×3, first 2 shown]
	s_min_u32 s20, s12, s20
	s_addk_i32 s21, 0x400
	s_or_b32 s0, s22, s0
	s_min_u32 s3, s12, s1
	s_add_i32 s1, s1, s13
	s_cmp_eq_u32 s0, -1
	s_cselect_b32 s0, s1, s21
	s_cselect_b32 s1, s3, s19
	s_min_u32 s0, s0, s12
	s_sub_i32 s13, s1, s18
	s_sub_i32 s28, s0, s20
	s_add_u32 s0, s4, s18
	s_addc_u32 s1, s5, 0
	s_add_u32 s4, s4, s20
	s_addc_u32 s5, s5, 0
	s_cmp_lt_u32 s2, s26
	v_mov_b32_e32 v1, 0
	s_cselect_b32 s2, 12, 18
	global_load_dword v2, v1, s[24:25] offset:14
	s_add_u32 s2, s24, s2
	s_addc_u32 s3, s25, 0
	global_load_ushort v3, v1, s[2:3]
	s_mov_b32 s19, s23
	s_mov_b32 s21, s23
	s_cmp_eq_u32 s22, s14
	s_waitcnt vmcnt(1)
	v_lshrrev_b32_e32 v4, 16, v2
	v_and_b32_e32 v2, 0xffff, v2
	v_mul_lo_u32 v2, v2, v4
	s_waitcnt vmcnt(0)
	v_mul_lo_u32 v2, v2, v3
	v_add_u32_e32 v2, v2, v0
	s_cbranch_scc1 .LBB21_3
; %bb.2:
	v_subrev_co_u32_e32 v6, vcc, s13, v0
	v_mov_b32_e32 v7, v1
	v_lshl_add_u64 v[4:5], s[0:1], 0, v[0:1]
	v_lshl_add_u64 v[6:7], s[4:5], 0, v[6:7]
	v_cndmask_b32_e32 v5, v7, v5, vcc
	v_cndmask_b32_e32 v4, v6, v4, vcc
	v_mov_b32_e32 v3, v1
	v_subrev_co_u32_e32 v8, vcc, s13, v2
	v_mov_b32_e32 v9, v1
	v_lshl_add_u64 v[6:7], s[0:1], 0, v[2:3]
	v_lshl_add_u64 v[8:9], s[4:5], 0, v[8:9]
	v_cndmask_b32_e32 v7, v9, v7, vcc
	v_cndmask_b32_e32 v6, v8, v6, vcc
	global_load_ubyte v1, v[4:5], off
	global_load_ubyte v3, v[6:7], off
	s_mov_b32 s14, 0xc0c0004
	s_add_i32 s22, s28, s13
	v_mov_b32_e32 v8, s22
	s_waitcnt vmcnt(0)
	v_perm_b32 v6, v1, v3, s14
	s_cbranch_execz .LBB21_4
	s_branch .LBB21_9
.LBB21_3:
                                        ; implicit-def: $vgpr6
                                        ; implicit-def: $vgpr8
.LBB21_4:
	s_add_i32 s14, s28, s13
	v_cmp_gt_u32_e32 vcc, s14, v0
	v_mov_b32_e32 v6, 0
	s_and_saveexec_b64 s[2:3], vcc
	s_cbranch_execz .LBB21_6
; %bb.5:
	v_mov_b32_e32 v1, 0
	v_subrev_co_u32_e32 v6, vcc, s13, v0
	v_mov_b32_e32 v7, v1
	v_lshl_add_u64 v[4:5], s[0:1], 0, v[0:1]
	v_lshl_add_u64 v[6:7], s[4:5], 0, v[6:7]
	v_cndmask_b32_e32 v5, v7, v5, vcc
	v_cndmask_b32_e32 v4, v6, v4, vcc
	global_load_ubyte v6, v[4:5], off
.LBB21_6:
	s_or_b64 exec, exec, s[2:3]
	v_cmp_gt_u32_e32 vcc, s14, v2
	s_and_saveexec_b64 s[2:3], vcc
	s_cbranch_execz .LBB21_8
; %bb.7:
	v_mov_b32_e32 v3, 0
	v_lshl_add_u64 v[4:5], s[0:1], 0, v[2:3]
	v_subrev_co_u32_e32 v2, vcc, s13, v2
	v_lshl_add_u64 v[2:3], s[4:5], 0, v[2:3]
	s_nop 0
	v_cndmask_b32_e32 v3, v3, v5, vcc
	v_cndmask_b32_e32 v2, v2, v4, vcc
	global_load_ubyte v1, v[2:3], off
	s_waitcnt vmcnt(0)
	v_lshlrev_b16_e32 v1, 8, v1
	v_or_b32_e32 v1, v6, v1
	v_and_b32_e32 v6, 0xffff, v1
.LBB21_8:
	s_or_b64 exec, exec, s[2:3]
	v_mov_b32_e32 v8, s14
.LBB21_9:
	v_lshlrev_b32_e32 v7, 1, v0
	s_waitcnt vmcnt(0)
	v_lshrrev_b16_e32 v1, 8, v6
	v_min_u32_e32 v2, v8, v7
	ds_write_b8 v0, v1 offset:512
	v_sub_u32_e64 v1, v2, s28 clamp
	v_min_u32_e32 v3, s13, v2
	v_cmp_lt_u32_e32 vcc, v1, v3
	ds_write_b8 v0, v6
	s_waitcnt lgkmcnt(0)
	s_barrier
	s_and_saveexec_b64 s[0:1], vcc
	s_cbranch_execz .LBB21_13
; %bb.10:
	v_add_u32_e32 v4, s13, v2
	s_mov_b64 s[2:3], 0
	s_movk_i32 s4, 0xff
	v_mov_b32_e32 v5, s15
.LBB21_11:                              ; =>This Inner Loop Header: Depth=1
	v_add_u32_e32 v9, v3, v1
	v_lshrrev_b32_e32 v9, 1, v9
	v_xad_u32 v10, v9, -1, v4
	ds_read_u8 v11, v9
	ds_read_u8 v10, v10
	v_add_u32_e32 v12, 1, v9
	s_waitcnt lgkmcnt(1)
	v_bitop3_b16 v11, v11, s4, v5 bitop3:0x80
	s_waitcnt lgkmcnt(0)
	v_bitop3_b16 v10, v10, s4, v5 bitop3:0x80
	v_cmp_gt_u16_e32 vcc, v11, v10
	s_nop 1
	v_cndmask_b32_e32 v3, v3, v9, vcc
	v_cndmask_b32_e32 v1, v12, v1, vcc
	v_cmp_ge_u32_e32 vcc, v1, v3
	s_or_b64 s[2:3], vcc, s[2:3]
	s_andn2_b64 exec, exec, s[2:3]
	s_cbranch_execnz .LBB21_11
; %bb.12:
	s_or_b64 exec, exec, s[2:3]
.LBB21_13:
	s_or_b64 exec, exec, s[0:1]
	v_sub_u32_e32 v2, v2, v1
	v_add_u32_e32 v2, s13, v2
	v_cmp_ge_u32_e32 vcc, s13, v1
	v_cmp_le_u32_e64 s[0:1], v2, v8
	s_or_b64 s[0:1], vcc, s[0:1]
	v_mov_b32_e32 v9, 0
	v_mov_b32_e32 v10, 0
	s_and_saveexec_b64 s[4:5], s[0:1]
	s_cbranch_execz .LBB21_19
; %bb.14:
	v_cmp_gt_u32_e32 vcc, s13, v1
                                        ; implicit-def: $vgpr3
	s_and_saveexec_b64 s[0:1], vcc
; %bb.15:
	ds_read_u8 v3, v1
; %bb.16:
	s_or_b64 exec, exec, s[0:1]
	v_cmp_ge_u32_e64 s[0:1], v2, v8
	v_cmp_lt_u32_e64 s[2:3], v2, v8
                                        ; implicit-def: $vgpr4
	s_and_saveexec_b64 s[22:23], s[2:3]
; %bb.17:
	ds_read_u8 v4, v2
; %bb.18:
	s_or_b64 exec, exec, s[22:23]
	s_movk_i32 s14, 0xff
	v_mov_b32_e32 v5, s15
	s_waitcnt lgkmcnt(0)
	v_bitop3_b16 v6, v4, s14, v5 bitop3:0x80
	v_bitop3_b16 v9, v3, s14, v5 bitop3:0x80
	v_cmp_le_u16_e64 s[2:3], v9, v6
	s_and_b64 s[2:3], vcc, s[2:3]
	s_or_b64 vcc, s[0:1], s[2:3]
	v_mov_b32_e32 v6, s13
	v_cndmask_b32_e32 v10, v2, v1, vcc
	v_cndmask_b32_e32 v6, v8, v6, vcc
	v_add_u32_e32 v9, 1, v10
	v_add_u32_e32 v6, -1, v6
	v_min_u32_e32 v6, v9, v6
	ds_read_u8 v6, v6
	v_cndmask_b32_e32 v11, v4, v3, vcc
	v_cndmask_b32_e32 v1, v1, v9, vcc
	;; [unrolled: 1-line block ×3, first 2 shown]
	v_cmp_gt_u32_e64 s[0:1], s13, v1
	s_waitcnt lgkmcnt(0)
	v_cndmask_b32_e32 v4, v6, v4, vcc
	v_cndmask_b32_e32 v3, v3, v6, vcc
	v_bitop3_b16 v6, v4, s14, v5 bitop3:0x80
	v_bitop3_b16 v5, v3, s14, v5 bitop3:0x80
	v_cmp_le_u16_e64 s[2:3], v5, v6
	v_cmp_ge_u32_e32 vcc, v2, v8
	s_and_b64 s[0:1], s[0:1], s[2:3]
	s_or_b64 vcc, vcc, s[0:1]
	v_cndmask_b32_e32 v9, v2, v1, vcc
	v_cndmask_b32_sdwa v1, v4, v3, vcc dst_sel:BYTE_1 dst_unused:UNUSED_PAD src0_sel:DWORD src1_sel:DWORD
	s_nop 0
	v_bitop3_b16 v1, v11, v1, s14 bitop3:0xec
	v_and_b32_e32 v6, 0xffff, v1
.LBB21_19:
	s_or_b64 exec, exec, s[4:5]
	s_lshl_b64 s[0:1], s[18:19], 3
	s_add_u32 s14, s8, s0
	s_addc_u32 s15, s9, s1
	s_lshl_b64 s[0:1], s[20:21], 3
	s_add_u32 s8, s8, s0
	v_cndmask_b32_e64 v2, 0, 1, s[16:17]
	v_mov_b32_e32 v1, 0
	s_addc_u32 s9, s9, s1
	v_cmp_gt_u32_e64 s[4:5], s13, v0
	v_cmp_ne_u32_e64 s[0:1], 1, v2
	s_andn2_b64 vcc, exec, s[16:17]
	v_cmp_le_u32_e64 s[2:3], s13, v0
	s_barrier
	s_cbranch_vccnz .LBB21_21
; %bb.20:
	v_subrev_u32_e32 v4, s13, v0
	v_lshlrev_b32_e32 v2, 3, v0
	v_mov_b32_e32 v3, v1
	v_lshlrev_b32_e32 v4, 3, v4
	v_mov_b32_e32 v5, v1
	v_lshl_add_u64 v[2:3], s[14:15], 0, v[2:3]
	v_lshl_add_u64 v[4:5], s[8:9], 0, v[4:5]
	v_cndmask_b32_e64 v3, v5, v3, s[4:5]
	v_cndmask_b32_e64 v2, v4, v2, s[4:5]
	global_load_dwordx2 v[12:13], v[2:3], off
	v_or_b32_e32 v11, 0x200, v0
	v_mov_b32_e32 v2, s9
	v_mov_b32_e32 v3, s15
	;; [unrolled: 1-line block ×4, first 2 shown]
	v_subrev_u32_e32 v4, s13, v11
	v_cmp_gt_u32_e32 vcc, s13, v11
	v_mad_u32_u24 v5, v0, 7, v0
	s_nop 0
	v_cndmask_b32_e32 v3, v2, v3, vcc
	v_min_u32_e32 v4, v11, v4
	v_cndmask_b32_e32 v2, v14, v15, vcc
	s_mov_b64 s[4:5], -1
	s_waitcnt vmcnt(0)
	ds_write_b64 v5, v[12:13]
	s_cbranch_execz .LBB21_22
	s_branch .LBB21_31
.LBB21_21:
	s_mov_b64 s[4:5], 0
                                        ; implicit-def: $vgpr11
                                        ; implicit-def: $vgpr2_vgpr3
                                        ; implicit-def: $vgpr4
.LBB21_22:
	s_and_saveexec_b64 s[4:5], s[2:3]
	s_xor_b64 s[2:3], exec, s[4:5]
	s_cbranch_execz .LBB21_26
; %bb.23:
	v_subrev_u32_e32 v2, s13, v0
	v_cmp_gt_u32_e32 vcc, s28, v2
	s_and_saveexec_b64 s[4:5], vcc
	s_cbranch_execz .LBB21_25
; %bb.24:
	v_lshlrev_b32_e32 v2, 3, v2
	global_load_dwordx2 v[2:3], v2, s[8:9]
	v_mad_u32_u24 v4, v0, 7, v0
	s_waitcnt vmcnt(0)
	ds_write_b64 v4, v[2:3]
.LBB21_25:
	s_or_b64 exec, exec, s[4:5]
.LBB21_26:
	s_andn2_saveexec_b64 s[2:3], s[2:3]
	s_cbranch_execz .LBB21_28
; %bb.27:
	v_lshlrev_b32_e32 v2, 3, v0
	global_load_dwordx2 v[2:3], v2, s[14:15]
	v_mad_u32_u24 v4, v0, 7, v0
	s_waitcnt vmcnt(0)
	ds_write_b64 v4, v[2:3]
.LBB21_28:
	s_or_b64 exec, exec, s[2:3]
	v_or_b32_e32 v11, 0x200, v0
	v_cmp_le_u32_e32 vcc, s13, v11
	s_mov_b64 s[4:5], -1
	v_mov_b64_e32 v[2:3], s[14:15]
	v_mov_b32_e32 v4, v11
	s_and_saveexec_b64 s[2:3], vcc
; %bb.29:
	v_subrev_u32_e32 v4, s13, v11
	v_cmp_gt_u32_e32 vcc, s28, v4
	v_mov_b64_e32 v[2:3], s[8:9]
	s_orn2_b64 s[4:5], vcc, exec
; %bb.30:
	s_or_b64 exec, exec, s[2:3]
.LBB21_31:
	s_and_saveexec_b64 s[2:3], s[4:5]
	s_cbranch_execz .LBB21_33
; %bb.32:
	v_mov_b32_e32 v5, 0
	v_lshl_add_u64 v[2:3], v[4:5], 3, v[2:3]
	global_load_dwordx2 v[2:3], v[2:3], off
	v_lshlrev_b32_e32 v4, 3, v11
	s_waitcnt vmcnt(0)
	ds_write_b64 v4, v[2:3]
.LBB21_33:
	s_or_b64 exec, exec, s[2:3]
	s_and_b64 vcc, exec, s[0:1]
	v_add_u32_e32 v2, s27, v7
	s_waitcnt lgkmcnt(0)
	s_barrier
	s_cbranch_vccnz .LBB21_35
; %bb.34:
	v_lshlrev_b32_e32 v3, 3, v10
	ds_read_b64 v[4:5], v3
	v_mov_b32_e32 v3, 0
	v_lshl_add_u64 v[12:13], v[2:3], 3, s[10:11]
	s_mov_b64 s[0:1], -1
	s_waitcnt lgkmcnt(0)
	global_store_dwordx2 v[12:13], v[4:5], off
	s_cbranch_execz .LBB21_36
	s_branch .LBB21_41
.LBB21_35:
	s_mov_b64 s[0:1], 0
.LBB21_36:
	v_cmp_lt_u32_e32 vcc, v7, v8
	s_and_saveexec_b64 s[2:3], vcc
	s_cbranch_execz .LBB21_38
; %bb.37:
	v_lshlrev_b32_e32 v3, 3, v10
	ds_read_b64 v[4:5], v3
	v_mov_b32_e32 v3, 0
	v_lshl_add_u64 v[10:11], v[2:3], 3, s[10:11]
	s_waitcnt lgkmcnt(0)
	global_store_dwordx2 v[10:11], v[4:5], off
.LBB21_38:
	s_or_b64 exec, exec, s[2:3]
	v_or_b32_e32 v3, 1, v7
	v_cmp_lt_u32_e32 vcc, v3, v8
	s_and_saveexec_b64 s[2:3], vcc
; %bb.39:
	v_mov_b32_e32 v3, 0
	s_or_b64 s[0:1], s[0:1], exec
; %bb.40:
	s_or_b64 exec, exec, s[2:3]
.LBB21_41:
	s_and_saveexec_b64 s[2:3], s[0:1]
	s_cbranch_execz .LBB21_43
; %bb.42:
	v_lshlrev_b32_e32 v4, 3, v9
	ds_read_b64 v[4:5], v4
	v_lshl_add_u64 v[2:3], v[2:3], 3, s[10:11]
	s_waitcnt lgkmcnt(0)
	global_store_dwordx2 v[2:3], v[4:5], off offset:8
.LBB21_43:
	s_or_b64 exec, exec, s[2:3]
	v_lshrrev_b32_e32 v2, 4, v0
	v_and_b32_e32 v2, 28, v2
	v_add_u32_e32 v2, v2, v7
	s_barrier
	s_barrier
	ds_write_b16 v2, v6
	v_lshrrev_b32_e32 v2, 5, v0
	v_or_b32_e32 v4, 0x200, v0
	s_add_u32 s0, s6, s27
	v_and_b32_e32 v5, 12, v2
	v_lshrrev_b32_e32 v2, 5, v4
	s_addc_u32 s1, s7, 0
	v_and_b32_e32 v6, 28, v2
	v_lshl_add_u64 v[2:3], s[0:1], 0, v[0:1]
	s_and_b64 vcc, exec, s[16:17]
	v_add_u32_e32 v6, v6, v0
	s_waitcnt lgkmcnt(0)
	s_cbranch_vccz .LBB21_45
; %bb.44:
	v_add_u32_e32 v1, v5, v0
	s_barrier
	ds_read_u8 v7, v1
	ds_read_u8 v1, v6 offset:512
	s_mov_b64 s[0:1], -1
	s_waitcnt lgkmcnt(1)
	global_store_byte v[2:3], v7, off
	s_cbranch_execz .LBB21_46
	s_branch .LBB21_49
.LBB21_45:
	s_mov_b64 s[0:1], 0
                                        ; implicit-def: $vgpr1
.LBB21_46:
	s_barrier
	s_waitcnt lgkmcnt(0)
	ds_read_u8 v1, v6 offset:512
	s_sub_i32 s2, s12, s27
	v_cmp_gt_u32_e32 vcc, s2, v0
	s_and_saveexec_b64 s[0:1], vcc
	s_cbranch_execz .LBB21_48
; %bb.47:
	v_add_u32_e32 v0, v5, v0
	ds_read_u8 v0, v0
	s_waitcnt lgkmcnt(0)
	global_store_byte v[2:3], v0, off
.LBB21_48:
	s_or_b64 exec, exec, s[0:1]
	v_cmp_gt_u32_e64 s[0:1], s2, v4
.LBB21_49:
	s_and_saveexec_b64 s[2:3], s[0:1]
	s_cbranch_execz .LBB21_51
; %bb.50:
	s_waitcnt lgkmcnt(0)
	global_store_byte v[2:3], v1, off offset:512
.LBB21_51:
	s_endpgm
	.section	.rodata,"a",@progbits
	.p2align	6, 0x0
	.amdhsa_kernel _ZN7rocprim17ROCPRIM_304000_NS6detail35device_block_merge_mergepath_kernelINS1_37wrapped_merge_sort_block_merge_configINS0_14default_configEhN2at4cuda3cub6detail10OpaqueTypeILi8EEEEEPhSC_PSA_SD_jNS1_19radix_merge_compareILb0ELb1EhNS0_19identity_decomposerEEEEEvT0_T1_T2_T3_T4_SL_jT5_PKSL_NS1_7vsmem_tE
		.amdhsa_group_segment_fixed_size 8208
		.amdhsa_private_segment_fixed_size 0
		.amdhsa_kernarg_size 320
		.amdhsa_user_sgpr_count 2
		.amdhsa_user_sgpr_dispatch_ptr 0
		.amdhsa_user_sgpr_queue_ptr 0
		.amdhsa_user_sgpr_kernarg_segment_ptr 1
		.amdhsa_user_sgpr_dispatch_id 0
		.amdhsa_user_sgpr_kernarg_preload_length 0
		.amdhsa_user_sgpr_kernarg_preload_offset 0
		.amdhsa_user_sgpr_private_segment_size 0
		.amdhsa_uses_dynamic_stack 0
		.amdhsa_enable_private_segment 0
		.amdhsa_system_sgpr_workgroup_id_x 1
		.amdhsa_system_sgpr_workgroup_id_y 1
		.amdhsa_system_sgpr_workgroup_id_z 1
		.amdhsa_system_sgpr_workgroup_info 0
		.amdhsa_system_vgpr_workitem_id 0
		.amdhsa_next_free_vgpr 16
		.amdhsa_next_free_sgpr 29
		.amdhsa_accum_offset 16
		.amdhsa_reserve_vcc 1
		.amdhsa_float_round_mode_32 0
		.amdhsa_float_round_mode_16_64 0
		.amdhsa_float_denorm_mode_32 3
		.amdhsa_float_denorm_mode_16_64 3
		.amdhsa_dx10_clamp 1
		.amdhsa_ieee_mode 1
		.amdhsa_fp16_overflow 0
		.amdhsa_tg_split 0
		.amdhsa_exception_fp_ieee_invalid_op 0
		.amdhsa_exception_fp_denorm_src 0
		.amdhsa_exception_fp_ieee_div_zero 0
		.amdhsa_exception_fp_ieee_overflow 0
		.amdhsa_exception_fp_ieee_underflow 0
		.amdhsa_exception_fp_ieee_inexact 0
		.amdhsa_exception_int_div_zero 0
	.end_amdhsa_kernel
	.section	.text._ZN7rocprim17ROCPRIM_304000_NS6detail35device_block_merge_mergepath_kernelINS1_37wrapped_merge_sort_block_merge_configINS0_14default_configEhN2at4cuda3cub6detail10OpaqueTypeILi8EEEEEPhSC_PSA_SD_jNS1_19radix_merge_compareILb0ELb1EhNS0_19identity_decomposerEEEEEvT0_T1_T2_T3_T4_SL_jT5_PKSL_NS1_7vsmem_tE,"axG",@progbits,_ZN7rocprim17ROCPRIM_304000_NS6detail35device_block_merge_mergepath_kernelINS1_37wrapped_merge_sort_block_merge_configINS0_14default_configEhN2at4cuda3cub6detail10OpaqueTypeILi8EEEEEPhSC_PSA_SD_jNS1_19radix_merge_compareILb0ELb1EhNS0_19identity_decomposerEEEEEvT0_T1_T2_T3_T4_SL_jT5_PKSL_NS1_7vsmem_tE,comdat
.Lfunc_end21:
	.size	_ZN7rocprim17ROCPRIM_304000_NS6detail35device_block_merge_mergepath_kernelINS1_37wrapped_merge_sort_block_merge_configINS0_14default_configEhN2at4cuda3cub6detail10OpaqueTypeILi8EEEEEPhSC_PSA_SD_jNS1_19radix_merge_compareILb0ELb1EhNS0_19identity_decomposerEEEEEvT0_T1_T2_T3_T4_SL_jT5_PKSL_NS1_7vsmem_tE, .Lfunc_end21-_ZN7rocprim17ROCPRIM_304000_NS6detail35device_block_merge_mergepath_kernelINS1_37wrapped_merge_sort_block_merge_configINS0_14default_configEhN2at4cuda3cub6detail10OpaqueTypeILi8EEEEEPhSC_PSA_SD_jNS1_19radix_merge_compareILb0ELb1EhNS0_19identity_decomposerEEEEEvT0_T1_T2_T3_T4_SL_jT5_PKSL_NS1_7vsmem_tE
                                        ; -- End function
	.set _ZN7rocprim17ROCPRIM_304000_NS6detail35device_block_merge_mergepath_kernelINS1_37wrapped_merge_sort_block_merge_configINS0_14default_configEhN2at4cuda3cub6detail10OpaqueTypeILi8EEEEEPhSC_PSA_SD_jNS1_19radix_merge_compareILb0ELb1EhNS0_19identity_decomposerEEEEEvT0_T1_T2_T3_T4_SL_jT5_PKSL_NS1_7vsmem_tE.num_vgpr, 16
	.set _ZN7rocprim17ROCPRIM_304000_NS6detail35device_block_merge_mergepath_kernelINS1_37wrapped_merge_sort_block_merge_configINS0_14default_configEhN2at4cuda3cub6detail10OpaqueTypeILi8EEEEEPhSC_PSA_SD_jNS1_19radix_merge_compareILb0ELb1EhNS0_19identity_decomposerEEEEEvT0_T1_T2_T3_T4_SL_jT5_PKSL_NS1_7vsmem_tE.num_agpr, 0
	.set _ZN7rocprim17ROCPRIM_304000_NS6detail35device_block_merge_mergepath_kernelINS1_37wrapped_merge_sort_block_merge_configINS0_14default_configEhN2at4cuda3cub6detail10OpaqueTypeILi8EEEEEPhSC_PSA_SD_jNS1_19radix_merge_compareILb0ELb1EhNS0_19identity_decomposerEEEEEvT0_T1_T2_T3_T4_SL_jT5_PKSL_NS1_7vsmem_tE.numbered_sgpr, 29
	.set _ZN7rocprim17ROCPRIM_304000_NS6detail35device_block_merge_mergepath_kernelINS1_37wrapped_merge_sort_block_merge_configINS0_14default_configEhN2at4cuda3cub6detail10OpaqueTypeILi8EEEEEPhSC_PSA_SD_jNS1_19radix_merge_compareILb0ELb1EhNS0_19identity_decomposerEEEEEvT0_T1_T2_T3_T4_SL_jT5_PKSL_NS1_7vsmem_tE.num_named_barrier, 0
	.set _ZN7rocprim17ROCPRIM_304000_NS6detail35device_block_merge_mergepath_kernelINS1_37wrapped_merge_sort_block_merge_configINS0_14default_configEhN2at4cuda3cub6detail10OpaqueTypeILi8EEEEEPhSC_PSA_SD_jNS1_19radix_merge_compareILb0ELb1EhNS0_19identity_decomposerEEEEEvT0_T1_T2_T3_T4_SL_jT5_PKSL_NS1_7vsmem_tE.private_seg_size, 0
	.set _ZN7rocprim17ROCPRIM_304000_NS6detail35device_block_merge_mergepath_kernelINS1_37wrapped_merge_sort_block_merge_configINS0_14default_configEhN2at4cuda3cub6detail10OpaqueTypeILi8EEEEEPhSC_PSA_SD_jNS1_19radix_merge_compareILb0ELb1EhNS0_19identity_decomposerEEEEEvT0_T1_T2_T3_T4_SL_jT5_PKSL_NS1_7vsmem_tE.uses_vcc, 1
	.set _ZN7rocprim17ROCPRIM_304000_NS6detail35device_block_merge_mergepath_kernelINS1_37wrapped_merge_sort_block_merge_configINS0_14default_configEhN2at4cuda3cub6detail10OpaqueTypeILi8EEEEEPhSC_PSA_SD_jNS1_19radix_merge_compareILb0ELb1EhNS0_19identity_decomposerEEEEEvT0_T1_T2_T3_T4_SL_jT5_PKSL_NS1_7vsmem_tE.uses_flat_scratch, 0
	.set _ZN7rocprim17ROCPRIM_304000_NS6detail35device_block_merge_mergepath_kernelINS1_37wrapped_merge_sort_block_merge_configINS0_14default_configEhN2at4cuda3cub6detail10OpaqueTypeILi8EEEEEPhSC_PSA_SD_jNS1_19radix_merge_compareILb0ELb1EhNS0_19identity_decomposerEEEEEvT0_T1_T2_T3_T4_SL_jT5_PKSL_NS1_7vsmem_tE.has_dyn_sized_stack, 0
	.set _ZN7rocprim17ROCPRIM_304000_NS6detail35device_block_merge_mergepath_kernelINS1_37wrapped_merge_sort_block_merge_configINS0_14default_configEhN2at4cuda3cub6detail10OpaqueTypeILi8EEEEEPhSC_PSA_SD_jNS1_19radix_merge_compareILb0ELb1EhNS0_19identity_decomposerEEEEEvT0_T1_T2_T3_T4_SL_jT5_PKSL_NS1_7vsmem_tE.has_recursion, 0
	.set _ZN7rocprim17ROCPRIM_304000_NS6detail35device_block_merge_mergepath_kernelINS1_37wrapped_merge_sort_block_merge_configINS0_14default_configEhN2at4cuda3cub6detail10OpaqueTypeILi8EEEEEPhSC_PSA_SD_jNS1_19radix_merge_compareILb0ELb1EhNS0_19identity_decomposerEEEEEvT0_T1_T2_T3_T4_SL_jT5_PKSL_NS1_7vsmem_tE.has_indirect_call, 0
	.section	.AMDGPU.csdata,"",@progbits
; Kernel info:
; codeLenInByte = 1884
; TotalNumSgprs: 35
; NumVgprs: 16
; NumAgprs: 0
; TotalNumVgprs: 16
; ScratchSize: 0
; MemoryBound: 0
; FloatMode: 240
; IeeeMode: 1
; LDSByteSize: 8208 bytes/workgroup (compile time only)
; SGPRBlocks: 4
; VGPRBlocks: 1
; NumSGPRsForWavesPerEU: 35
; NumVGPRsForWavesPerEU: 16
; AccumOffset: 16
; Occupancy: 8
; WaveLimiterHint : 1
; COMPUTE_PGM_RSRC2:SCRATCH_EN: 0
; COMPUTE_PGM_RSRC2:USER_SGPR: 2
; COMPUTE_PGM_RSRC2:TRAP_HANDLER: 0
; COMPUTE_PGM_RSRC2:TGID_X_EN: 1
; COMPUTE_PGM_RSRC2:TGID_Y_EN: 1
; COMPUTE_PGM_RSRC2:TGID_Z_EN: 1
; COMPUTE_PGM_RSRC2:TIDIG_COMP_CNT: 0
; COMPUTE_PGM_RSRC3_GFX90A:ACCUM_OFFSET: 3
; COMPUTE_PGM_RSRC3_GFX90A:TG_SPLIT: 0
	.section	.text._ZN7rocprim17ROCPRIM_304000_NS6detail33device_block_merge_oddeven_kernelINS1_37wrapped_merge_sort_block_merge_configINS0_14default_configEhN2at4cuda3cub6detail10OpaqueTypeILi8EEEEEPhSC_PSA_SD_jNS1_19radix_merge_compareILb0ELb1EhNS0_19identity_decomposerEEEEEvT0_T1_T2_T3_T4_SL_T5_,"axG",@progbits,_ZN7rocprim17ROCPRIM_304000_NS6detail33device_block_merge_oddeven_kernelINS1_37wrapped_merge_sort_block_merge_configINS0_14default_configEhN2at4cuda3cub6detail10OpaqueTypeILi8EEEEEPhSC_PSA_SD_jNS1_19radix_merge_compareILb0ELb1EhNS0_19identity_decomposerEEEEEvT0_T1_T2_T3_T4_SL_T5_,comdat
	.protected	_ZN7rocprim17ROCPRIM_304000_NS6detail33device_block_merge_oddeven_kernelINS1_37wrapped_merge_sort_block_merge_configINS0_14default_configEhN2at4cuda3cub6detail10OpaqueTypeILi8EEEEEPhSC_PSA_SD_jNS1_19radix_merge_compareILb0ELb1EhNS0_19identity_decomposerEEEEEvT0_T1_T2_T3_T4_SL_T5_ ; -- Begin function _ZN7rocprim17ROCPRIM_304000_NS6detail33device_block_merge_oddeven_kernelINS1_37wrapped_merge_sort_block_merge_configINS0_14default_configEhN2at4cuda3cub6detail10OpaqueTypeILi8EEEEEPhSC_PSA_SD_jNS1_19radix_merge_compareILb0ELb1EhNS0_19identity_decomposerEEEEEvT0_T1_T2_T3_T4_SL_T5_
	.globl	_ZN7rocprim17ROCPRIM_304000_NS6detail33device_block_merge_oddeven_kernelINS1_37wrapped_merge_sort_block_merge_configINS0_14default_configEhN2at4cuda3cub6detail10OpaqueTypeILi8EEEEEPhSC_PSA_SD_jNS1_19radix_merge_compareILb0ELb1EhNS0_19identity_decomposerEEEEEvT0_T1_T2_T3_T4_SL_T5_
	.p2align	8
	.type	_ZN7rocprim17ROCPRIM_304000_NS6detail33device_block_merge_oddeven_kernelINS1_37wrapped_merge_sort_block_merge_configINS0_14default_configEhN2at4cuda3cub6detail10OpaqueTypeILi8EEEEEPhSC_PSA_SD_jNS1_19radix_merge_compareILb0ELb1EhNS0_19identity_decomposerEEEEEvT0_T1_T2_T3_T4_SL_T5_,@function
_ZN7rocprim17ROCPRIM_304000_NS6detail33device_block_merge_oddeven_kernelINS1_37wrapped_merge_sort_block_merge_configINS0_14default_configEhN2at4cuda3cub6detail10OpaqueTypeILi8EEEEEPhSC_PSA_SD_jNS1_19radix_merge_compareILb0ELb1EhNS0_19identity_decomposerEEEEEvT0_T1_T2_T3_T4_SL_T5_: ; @_ZN7rocprim17ROCPRIM_304000_NS6detail33device_block_merge_oddeven_kernelINS1_37wrapped_merge_sort_block_merge_configINS0_14default_configEhN2at4cuda3cub6detail10OpaqueTypeILi8EEEEEPhSC_PSA_SD_jNS1_19radix_merge_compareILb0ELb1EhNS0_19identity_decomposerEEEEEvT0_T1_T2_T3_T4_SL_T5_
; %bb.0:
	s_load_dwordx4 s[16:19], s[0:1], 0x20
	s_waitcnt lgkmcnt(0)
	s_lshr_b32 s3, s16, 8
	s_cmp_eq_u32 s2, s3
	s_cselect_b64 s[6:7], -1, 0
	s_cmp_lg_u32 s2, s3
	s_cselect_b64 s[8:9], -1, 0
	s_lshl_b32 s20, s2, 8
	s_sub_i32 s3, s16, s20
	v_cmp_gt_u32_e64 s[4:5], s3, v0
	s_or_b64 s[8:9], s[8:9], s[4:5]
	s_and_saveexec_b64 s[10:11], s[8:9]
	s_cbranch_execz .LBB22_24
; %bb.1:
	s_load_dwordx8 s[8:15], s[0:1], 0x0
	s_mov_b32 s21, 0
	v_lshlrev_b32_e32 v1, 3, v0
	s_waitcnt lgkmcnt(0)
	s_add_u32 s0, s8, s20
	s_addc_u32 s1, s9, 0
	s_lshl_b64 s[22:23], s[20:21], 3
	s_add_u32 s12, s12, s22
	s_addc_u32 s13, s13, s23
	global_load_dwordx2 v[2:3], v1, s[12:13]
	global_load_ubyte v4, v0, s[0:1]
	s_lshr_b32 s0, s17, 8
	s_sub_i32 s1, 0, s0
	s_and_b32 s1, s2, s1
	s_and_b32 s0, s1, s0
	s_lshl_b32 s19, s1, 8
	s_sub_i32 s12, 0, s17
	s_cmp_eq_u32 s0, 0
	s_cselect_b64 s[0:1], -1, 0
	s_and_b64 s[2:3], s[0:1], exec
	s_cselect_b32 s12, s17, s12
	s_add_i32 s12, s12, s19
	s_mov_b64 s[2:3], -1
	s_cmp_gt_u32 s16, s12
	v_add_u32_e32 v0, s20, v0
	s_cbranch_scc1 .LBB22_9
; %bb.2:
	s_and_b64 vcc, exec, s[6:7]
	s_cbranch_vccz .LBB22_6
; %bb.3:
	v_cmp_gt_u32_e32 vcc, s16, v0
	s_and_saveexec_b64 s[2:3], vcc
	s_cbranch_execz .LBB22_5
; %bb.4:
	v_mov_b32_e32 v1, 0
	v_lshl_add_u64 v[6:7], v[0:1], 3, s[14:15]
	s_waitcnt vmcnt(0)
	global_store_byte v0, v4, s[10:11]
	global_store_dwordx2 v[6:7], v[2:3], off
.LBB22_5:
	s_or_b64 exec, exec, s[2:3]
	s_mov_b64 s[2:3], 0
.LBB22_6:
	s_andn2_b64 vcc, exec, s[2:3]
	s_cbranch_vccnz .LBB22_8
; %bb.7:
	v_mov_b32_e32 v1, 0
	v_lshl_add_u64 v[6:7], v[0:1], 3, s[14:15]
	s_waitcnt vmcnt(0)
	global_store_byte v0, v4, s[10:11]
	global_store_dwordx2 v[6:7], v[2:3], off
.LBB22_8:
	s_mov_b64 s[2:3], 0
.LBB22_9:
	s_andn2_b64 vcc, exec, s[2:3]
	s_cbranch_vccnz .LBB22_24
; %bb.10:
	s_min_u32 s13, s12, s16
	s_add_i32 s2, s13, s17
	s_min_u32 s16, s2, s16
	s_min_u32 s2, s19, s13
	s_add_i32 s19, s19, s13
	v_subrev_u32_e32 v0, s19, v0
	v_add_u32_e32 v0, s2, v0
	s_waitcnt vmcnt(0)
	v_and_b32_e32 v1, s18, v4
	s_mov_b64 s[2:3], -1
	s_and_b64 vcc, exec, s[6:7]
	s_cbranch_vccz .LBB22_18
; %bb.11:
	s_and_saveexec_b64 s[2:3], s[4:5]
	s_cbranch_execz .LBB22_17
; %bb.12:
	s_cmp_ge_u32 s12, s16
	v_mov_b32_e32 v5, s13
	s_cbranch_scc1 .LBB22_16
; %bb.13:
	s_mov_b64 s[4:5], 0
	v_mov_b32_e32 v6, s16
	v_mov_b32_e32 v5, s13
	s_and_b32 s6, s18, 0xff
.LBB22_14:                              ; =>This Inner Loop Header: Depth=1
	v_add_u32_e32 v7, v5, v6
	v_lshrrev_b32_e32 v7, 1, v7
	global_load_ubyte v8, v7, s[8:9]
	v_add_u32_e32 v9, 1, v7
	s_waitcnt vmcnt(0)
	v_and_b32_e32 v8, s6, v8
	v_cmp_gt_u16_sdwa s[20:21], v1, v8 src0_sel:BYTE_0 src1_sel:DWORD
	s_nop 1
	v_cndmask_b32_e64 v10, 0, 1, s[20:21]
	v_cmp_le_u16_sdwa s[20:21], v8, v1 src0_sel:DWORD src1_sel:BYTE_0
	s_nop 1
	v_cndmask_b32_e64 v8, 0, 1, s[20:21]
	v_cndmask_b32_e64 v8, v8, v10, s[0:1]
	v_and_b32_e32 v8, 1, v8
	v_cmp_eq_u32_e32 vcc, 1, v8
	s_nop 1
	v_cndmask_b32_e32 v6, v7, v6, vcc
	v_cndmask_b32_e32 v5, v5, v9, vcc
	v_cmp_ge_u32_e32 vcc, v5, v6
	s_or_b64 s[4:5], vcc, s[4:5]
	s_andn2_b64 exec, exec, s[4:5]
	s_cbranch_execnz .LBB22_14
; %bb.15:
	s_or_b64 exec, exec, s[4:5]
.LBB22_16:
	v_add_u32_e32 v6, v5, v0
	v_mov_b32_e32 v7, 0
	global_store_byte v6, v4, s[10:11]
	v_lshl_add_u64 v[6:7], v[6:7], 3, s[14:15]
	global_store_dwordx2 v[6:7], v[2:3], off
.LBB22_17:
	s_or_b64 exec, exec, s[2:3]
	s_mov_b64 s[2:3], 0
.LBB22_18:
	s_andn2_b64 vcc, exec, s[2:3]
	s_cbranch_vccnz .LBB22_24
; %bb.19:
	s_cmp_ge_u32 s12, s16
	v_mov_b32_e32 v5, s13
	s_cbranch_scc1 .LBB22_23
; %bb.20:
	s_mov_b64 s[2:3], 0
	v_mov_b32_e32 v6, s16
	v_mov_b32_e32 v5, s13
	s_and_b32 s4, s18, 0xff
.LBB22_21:                              ; =>This Inner Loop Header: Depth=1
	v_add_u32_e32 v7, v5, v6
	v_lshrrev_b32_e32 v7, 1, v7
	global_load_ubyte v8, v7, s[8:9]
	v_add_u32_e32 v9, 1, v7
	s_waitcnt vmcnt(0)
	v_and_b32_e32 v8, s4, v8
	v_cmp_gt_u16_sdwa s[6:7], v1, v8 src0_sel:BYTE_0 src1_sel:DWORD
	s_nop 1
	v_cndmask_b32_e64 v10, 0, 1, s[6:7]
	v_cmp_le_u16_sdwa s[6:7], v8, v1 src0_sel:DWORD src1_sel:BYTE_0
	s_nop 1
	v_cndmask_b32_e64 v8, 0, 1, s[6:7]
	v_cndmask_b32_e64 v8, v8, v10, s[0:1]
	v_and_b32_e32 v8, 1, v8
	v_cmp_eq_u32_e32 vcc, 1, v8
	s_nop 1
	v_cndmask_b32_e32 v6, v7, v6, vcc
	v_cndmask_b32_e32 v5, v5, v9, vcc
	v_cmp_ge_u32_e32 vcc, v5, v6
	s_or_b64 s[2:3], vcc, s[2:3]
	s_andn2_b64 exec, exec, s[2:3]
	s_cbranch_execnz .LBB22_21
; %bb.22:
	s_or_b64 exec, exec, s[2:3]
.LBB22_23:
	v_add_u32_e32 v0, v5, v0
	v_mov_b32_e32 v1, 0
	global_store_byte v0, v4, s[10:11]
	v_lshl_add_u64 v[0:1], v[0:1], 3, s[14:15]
	global_store_dwordx2 v[0:1], v[2:3], off
.LBB22_24:
	s_endpgm
	.section	.rodata,"a",@progbits
	.p2align	6, 0x0
	.amdhsa_kernel _ZN7rocprim17ROCPRIM_304000_NS6detail33device_block_merge_oddeven_kernelINS1_37wrapped_merge_sort_block_merge_configINS0_14default_configEhN2at4cuda3cub6detail10OpaqueTypeILi8EEEEEPhSC_PSA_SD_jNS1_19radix_merge_compareILb0ELb1EhNS0_19identity_decomposerEEEEEvT0_T1_T2_T3_T4_SL_T5_
		.amdhsa_group_segment_fixed_size 0
		.amdhsa_private_segment_fixed_size 0
		.amdhsa_kernarg_size 44
		.amdhsa_user_sgpr_count 2
		.amdhsa_user_sgpr_dispatch_ptr 0
		.amdhsa_user_sgpr_queue_ptr 0
		.amdhsa_user_sgpr_kernarg_segment_ptr 1
		.amdhsa_user_sgpr_dispatch_id 0
		.amdhsa_user_sgpr_kernarg_preload_length 0
		.amdhsa_user_sgpr_kernarg_preload_offset 0
		.amdhsa_user_sgpr_private_segment_size 0
		.amdhsa_uses_dynamic_stack 0
		.amdhsa_enable_private_segment 0
		.amdhsa_system_sgpr_workgroup_id_x 1
		.amdhsa_system_sgpr_workgroup_id_y 0
		.amdhsa_system_sgpr_workgroup_id_z 0
		.amdhsa_system_sgpr_workgroup_info 0
		.amdhsa_system_vgpr_workitem_id 0
		.amdhsa_next_free_vgpr 11
		.amdhsa_next_free_sgpr 24
		.amdhsa_accum_offset 12
		.amdhsa_reserve_vcc 1
		.amdhsa_float_round_mode_32 0
		.amdhsa_float_round_mode_16_64 0
		.amdhsa_float_denorm_mode_32 3
		.amdhsa_float_denorm_mode_16_64 3
		.amdhsa_dx10_clamp 1
		.amdhsa_ieee_mode 1
		.amdhsa_fp16_overflow 0
		.amdhsa_tg_split 0
		.amdhsa_exception_fp_ieee_invalid_op 0
		.amdhsa_exception_fp_denorm_src 0
		.amdhsa_exception_fp_ieee_div_zero 0
		.amdhsa_exception_fp_ieee_overflow 0
		.amdhsa_exception_fp_ieee_underflow 0
		.amdhsa_exception_fp_ieee_inexact 0
		.amdhsa_exception_int_div_zero 0
	.end_amdhsa_kernel
	.section	.text._ZN7rocprim17ROCPRIM_304000_NS6detail33device_block_merge_oddeven_kernelINS1_37wrapped_merge_sort_block_merge_configINS0_14default_configEhN2at4cuda3cub6detail10OpaqueTypeILi8EEEEEPhSC_PSA_SD_jNS1_19radix_merge_compareILb0ELb1EhNS0_19identity_decomposerEEEEEvT0_T1_T2_T3_T4_SL_T5_,"axG",@progbits,_ZN7rocprim17ROCPRIM_304000_NS6detail33device_block_merge_oddeven_kernelINS1_37wrapped_merge_sort_block_merge_configINS0_14default_configEhN2at4cuda3cub6detail10OpaqueTypeILi8EEEEEPhSC_PSA_SD_jNS1_19radix_merge_compareILb0ELb1EhNS0_19identity_decomposerEEEEEvT0_T1_T2_T3_T4_SL_T5_,comdat
.Lfunc_end22:
	.size	_ZN7rocprim17ROCPRIM_304000_NS6detail33device_block_merge_oddeven_kernelINS1_37wrapped_merge_sort_block_merge_configINS0_14default_configEhN2at4cuda3cub6detail10OpaqueTypeILi8EEEEEPhSC_PSA_SD_jNS1_19radix_merge_compareILb0ELb1EhNS0_19identity_decomposerEEEEEvT0_T1_T2_T3_T4_SL_T5_, .Lfunc_end22-_ZN7rocprim17ROCPRIM_304000_NS6detail33device_block_merge_oddeven_kernelINS1_37wrapped_merge_sort_block_merge_configINS0_14default_configEhN2at4cuda3cub6detail10OpaqueTypeILi8EEEEEPhSC_PSA_SD_jNS1_19radix_merge_compareILb0ELb1EhNS0_19identity_decomposerEEEEEvT0_T1_T2_T3_T4_SL_T5_
                                        ; -- End function
	.set _ZN7rocprim17ROCPRIM_304000_NS6detail33device_block_merge_oddeven_kernelINS1_37wrapped_merge_sort_block_merge_configINS0_14default_configEhN2at4cuda3cub6detail10OpaqueTypeILi8EEEEEPhSC_PSA_SD_jNS1_19radix_merge_compareILb0ELb1EhNS0_19identity_decomposerEEEEEvT0_T1_T2_T3_T4_SL_T5_.num_vgpr, 11
	.set _ZN7rocprim17ROCPRIM_304000_NS6detail33device_block_merge_oddeven_kernelINS1_37wrapped_merge_sort_block_merge_configINS0_14default_configEhN2at4cuda3cub6detail10OpaqueTypeILi8EEEEEPhSC_PSA_SD_jNS1_19radix_merge_compareILb0ELb1EhNS0_19identity_decomposerEEEEEvT0_T1_T2_T3_T4_SL_T5_.num_agpr, 0
	.set _ZN7rocprim17ROCPRIM_304000_NS6detail33device_block_merge_oddeven_kernelINS1_37wrapped_merge_sort_block_merge_configINS0_14default_configEhN2at4cuda3cub6detail10OpaqueTypeILi8EEEEEPhSC_PSA_SD_jNS1_19radix_merge_compareILb0ELb1EhNS0_19identity_decomposerEEEEEvT0_T1_T2_T3_T4_SL_T5_.numbered_sgpr, 24
	.set _ZN7rocprim17ROCPRIM_304000_NS6detail33device_block_merge_oddeven_kernelINS1_37wrapped_merge_sort_block_merge_configINS0_14default_configEhN2at4cuda3cub6detail10OpaqueTypeILi8EEEEEPhSC_PSA_SD_jNS1_19radix_merge_compareILb0ELb1EhNS0_19identity_decomposerEEEEEvT0_T1_T2_T3_T4_SL_T5_.num_named_barrier, 0
	.set _ZN7rocprim17ROCPRIM_304000_NS6detail33device_block_merge_oddeven_kernelINS1_37wrapped_merge_sort_block_merge_configINS0_14default_configEhN2at4cuda3cub6detail10OpaqueTypeILi8EEEEEPhSC_PSA_SD_jNS1_19radix_merge_compareILb0ELb1EhNS0_19identity_decomposerEEEEEvT0_T1_T2_T3_T4_SL_T5_.private_seg_size, 0
	.set _ZN7rocprim17ROCPRIM_304000_NS6detail33device_block_merge_oddeven_kernelINS1_37wrapped_merge_sort_block_merge_configINS0_14default_configEhN2at4cuda3cub6detail10OpaqueTypeILi8EEEEEPhSC_PSA_SD_jNS1_19radix_merge_compareILb0ELb1EhNS0_19identity_decomposerEEEEEvT0_T1_T2_T3_T4_SL_T5_.uses_vcc, 1
	.set _ZN7rocprim17ROCPRIM_304000_NS6detail33device_block_merge_oddeven_kernelINS1_37wrapped_merge_sort_block_merge_configINS0_14default_configEhN2at4cuda3cub6detail10OpaqueTypeILi8EEEEEPhSC_PSA_SD_jNS1_19radix_merge_compareILb0ELb1EhNS0_19identity_decomposerEEEEEvT0_T1_T2_T3_T4_SL_T5_.uses_flat_scratch, 0
	.set _ZN7rocprim17ROCPRIM_304000_NS6detail33device_block_merge_oddeven_kernelINS1_37wrapped_merge_sort_block_merge_configINS0_14default_configEhN2at4cuda3cub6detail10OpaqueTypeILi8EEEEEPhSC_PSA_SD_jNS1_19radix_merge_compareILb0ELb1EhNS0_19identity_decomposerEEEEEvT0_T1_T2_T3_T4_SL_T5_.has_dyn_sized_stack, 0
	.set _ZN7rocprim17ROCPRIM_304000_NS6detail33device_block_merge_oddeven_kernelINS1_37wrapped_merge_sort_block_merge_configINS0_14default_configEhN2at4cuda3cub6detail10OpaqueTypeILi8EEEEEPhSC_PSA_SD_jNS1_19radix_merge_compareILb0ELb1EhNS0_19identity_decomposerEEEEEvT0_T1_T2_T3_T4_SL_T5_.has_recursion, 0
	.set _ZN7rocprim17ROCPRIM_304000_NS6detail33device_block_merge_oddeven_kernelINS1_37wrapped_merge_sort_block_merge_configINS0_14default_configEhN2at4cuda3cub6detail10OpaqueTypeILi8EEEEEPhSC_PSA_SD_jNS1_19radix_merge_compareILb0ELb1EhNS0_19identity_decomposerEEEEEvT0_T1_T2_T3_T4_SL_T5_.has_indirect_call, 0
	.section	.AMDGPU.csdata,"",@progbits
; Kernel info:
; codeLenInByte = 724
; TotalNumSgprs: 30
; NumVgprs: 11
; NumAgprs: 0
; TotalNumVgprs: 11
; ScratchSize: 0
; MemoryBound: 0
; FloatMode: 240
; IeeeMode: 1
; LDSByteSize: 0 bytes/workgroup (compile time only)
; SGPRBlocks: 3
; VGPRBlocks: 1
; NumSGPRsForWavesPerEU: 30
; NumVGPRsForWavesPerEU: 11
; AccumOffset: 12
; Occupancy: 8
; WaveLimiterHint : 0
; COMPUTE_PGM_RSRC2:SCRATCH_EN: 0
; COMPUTE_PGM_RSRC2:USER_SGPR: 2
; COMPUTE_PGM_RSRC2:TRAP_HANDLER: 0
; COMPUTE_PGM_RSRC2:TGID_X_EN: 1
; COMPUTE_PGM_RSRC2:TGID_Y_EN: 0
; COMPUTE_PGM_RSRC2:TGID_Z_EN: 0
; COMPUTE_PGM_RSRC2:TIDIG_COMP_CNT: 0
; COMPUTE_PGM_RSRC3_GFX90A:ACCUM_OFFSET: 2
; COMPUTE_PGM_RSRC3_GFX90A:TG_SPLIT: 0
	.section	.text._ZN7rocprim17ROCPRIM_304000_NS6detail26onesweep_histograms_kernelINS1_34wrapped_radix_sort_onesweep_configINS0_14default_configEhN2at4cuda3cub6detail10OpaqueTypeILi8EEEEELb0EPKhmNS0_19identity_decomposerEEEvT1_PT2_SG_SG_T3_jj,"axG",@progbits,_ZN7rocprim17ROCPRIM_304000_NS6detail26onesweep_histograms_kernelINS1_34wrapped_radix_sort_onesweep_configINS0_14default_configEhN2at4cuda3cub6detail10OpaqueTypeILi8EEEEELb0EPKhmNS0_19identity_decomposerEEEvT1_PT2_SG_SG_T3_jj,comdat
	.protected	_ZN7rocprim17ROCPRIM_304000_NS6detail26onesweep_histograms_kernelINS1_34wrapped_radix_sort_onesweep_configINS0_14default_configEhN2at4cuda3cub6detail10OpaqueTypeILi8EEEEELb0EPKhmNS0_19identity_decomposerEEEvT1_PT2_SG_SG_T3_jj ; -- Begin function _ZN7rocprim17ROCPRIM_304000_NS6detail26onesweep_histograms_kernelINS1_34wrapped_radix_sort_onesweep_configINS0_14default_configEhN2at4cuda3cub6detail10OpaqueTypeILi8EEEEELb0EPKhmNS0_19identity_decomposerEEEvT1_PT2_SG_SG_T3_jj
	.globl	_ZN7rocprim17ROCPRIM_304000_NS6detail26onesweep_histograms_kernelINS1_34wrapped_radix_sort_onesweep_configINS0_14default_configEhN2at4cuda3cub6detail10OpaqueTypeILi8EEEEELb0EPKhmNS0_19identity_decomposerEEEvT1_PT2_SG_SG_T3_jj
	.p2align	8
	.type	_ZN7rocprim17ROCPRIM_304000_NS6detail26onesweep_histograms_kernelINS1_34wrapped_radix_sort_onesweep_configINS0_14default_configEhN2at4cuda3cub6detail10OpaqueTypeILi8EEEEELb0EPKhmNS0_19identity_decomposerEEEvT1_PT2_SG_SG_T3_jj,@function
_ZN7rocprim17ROCPRIM_304000_NS6detail26onesweep_histograms_kernelINS1_34wrapped_radix_sort_onesweep_configINS0_14default_configEhN2at4cuda3cub6detail10OpaqueTypeILi8EEEEELb0EPKhmNS0_19identity_decomposerEEEvT1_PT2_SG_SG_T3_jj: ; @_ZN7rocprim17ROCPRIM_304000_NS6detail26onesweep_histograms_kernelINS1_34wrapped_radix_sort_onesweep_configINS0_14default_configEhN2at4cuda3cub6detail10OpaqueTypeILi8EEEEELb0EPKhmNS0_19identity_decomposerEEEvT1_PT2_SG_SG_T3_jj
; %bb.0:
	s_load_dwordx8 s[8:15], s[0:1], 0x0
	s_load_dwordx2 s[16:17], s[0:1], 0x24
	v_mov_b32_e32 v1, 0
	v_mov_b32_e32 v2, s2
	;; [unrolled: 1-line block ×3, first 2 shown]
	s_mul_hi_u32 s0, s2, 0xc00
	s_mulk_i32 s2, 0xc00
	s_waitcnt lgkmcnt(0)
	v_cmp_le_u64_e32 vcc, s[14:15], v[2:3]
	s_add_u32 s18, s8, s2
	s_addc_u32 s19, s9, s0
	s_mov_b64 s[0:1], -1
	s_cbranch_vccz .LBB23_50
; %bb.1:
	s_mulk_i32 s14, 0xf400
	s_add_i32 s14, s14, s12
	v_lshl_add_u64 v[2:3], s[18:19], 0, v[0:1]
	v_cmp_gt_u32_e64 s[8:9], s14, v0
	v_mov_b32_e32 v8, 0
	s_and_saveexec_b64 s[0:1], s[8:9]
	s_cbranch_execz .LBB23_3
; %bb.2:
	global_load_ubyte v8, v[2:3], off
.LBB23_3:
	s_or_b64 exec, exec, s[0:1]
	v_or_b32_e32 v4, 0x200, v0
	v_cmp_gt_u32_e64 s[6:7], s14, v4
	s_and_saveexec_b64 s[0:1], s[6:7]
	s_cbranch_execz .LBB23_5
; %bb.4:
	global_load_ubyte v1, v[2:3], off offset:512
.LBB23_5:
	s_or_b64 exec, exec, s[0:1]
	v_or_b32_e32 v4, 0x400, v0
	v_cmp_gt_u32_e64 s[4:5], s14, v4
	v_mov_b32_e32 v6, 0
	v_mov_b32_e32 v7, 0
	s_and_saveexec_b64 s[0:1], s[4:5]
	s_cbranch_execz .LBB23_7
; %bb.6:
	global_load_ubyte v7, v[2:3], off offset:1024
.LBB23_7:
	s_or_b64 exec, exec, s[0:1]
	v_or_b32_e32 v4, 0x600, v0
	v_cmp_gt_u32_e64 s[2:3], s14, v4
	s_and_saveexec_b64 s[0:1], s[2:3]
	s_cbranch_execz .LBB23_9
; %bb.8:
	global_load_ubyte v6, v[2:3], off offset:1536
.LBB23_9:
	s_or_b64 exec, exec, s[0:1]
	v_or_b32_e32 v4, 0x800, v0
	v_cmp_gt_u32_e64 s[0:1], s14, v4
	v_mov_b32_e32 v4, 0
	v_mov_b32_e32 v5, 0
	s_and_saveexec_b64 s[12:13], s[0:1]
	s_cbranch_execz .LBB23_11
; %bb.10:
	global_load_ubyte v5, v[2:3], off offset:2048
.LBB23_11:
	s_or_b64 exec, exec, s[12:13]
	v_or_b32_e32 v9, 0xa00, v0
	v_cmp_gt_u32_e32 vcc, s14, v9
	s_and_saveexec_b64 s[12:13], vcc
	s_cbranch_execz .LBB23_13
; %bb.12:
	global_load_ubyte v4, v[2:3], off offset:2560
.LBB23_13:
	s_or_b64 exec, exec, s[12:13]
	s_mov_b32 s12, 0
	s_mov_b32 s13, 1
	v_lshlrev_b32_e32 v2, 2, v0
	s_mov_b64 s[14:15], 0
	v_mov_b32_e32 v3, 0
	s_mov_b32 s20, s12
	s_branch .LBB23_15
.LBB23_14:                              ;   in Loop: Header=BB23_15 Depth=1
	s_or_b64 exec, exec, s[24:25]
	s_add_i32 s20, s20, 2
	v_cmp_eq_u32_e64 s[22:23], 2, s20
	s_or_b64 s[14:15], s[22:23], s[14:15]
	v_add_u32_e32 v2, 0x1000, v2
	s_andn2_b64 exec, exec, s[14:15]
	s_cbranch_execz .LBB23_19
.LBB23_15:                              ; =>This Inner Loop Header: Depth=1
	s_mov_b32 s21, s20
	s_or_b64 s[24:25], s[20:21], s[12:13]
	v_cmp_le_u32_e64 s[22:23], s25, 1
	v_cmp_le_u32_e64 s[26:27], s24, 1
	s_and_saveexec_b64 s[24:25], s[26:27]
; %bb.16:                               ;   in Loop: Header=BB23_15 Depth=1
	ds_write_b32 v2, v3
; %bb.17:                               ;   in Loop: Header=BB23_15 Depth=1
	s_or_b64 exec, exec, s[24:25]
	s_and_saveexec_b64 s[24:25], s[22:23]
	s_cbranch_execz .LBB23_14
; %bb.18:                               ;   in Loop: Header=BB23_15 Depth=1
	ds_write_b32 v2, v3 offset:2048
	s_branch .LBB23_14
.LBB23_19:
	s_or_b64 exec, exec, s[14:15]
	s_cmp_gt_u32 s17, s16
	s_cselect_b64 s[12:13], -1, 0
	s_cmp_le_u32 s17, s16
	s_waitcnt lgkmcnt(0)
	s_barrier
	s_cbranch_scc1 .LBB23_44
; %bb.20:
	v_and_b32_e32 v2, 3, v0
	v_lshlrev_b32_e32 v2, 2, v2
	s_sub_i32 s20, s17, s16
	v_mov_b32_e32 v3, 1
	s_mov_b32 s21, s20
	v_mov_b32_e32 v9, v2
	s_mov_b32 s22, s16
	s_branch .LBB23_22
.LBB23_21:                              ;   in Loop: Header=BB23_22 Depth=1
	s_or_b64 exec, exec, s[14:15]
	s_add_i32 s22, s22, 8
	s_add_i32 s21, s21, -8
	s_cmp_lt_u32 s22, s17
	v_add_u32_e32 v9, 0x1000, v9
	s_cbranch_scc0 .LBB23_24
.LBB23_22:                              ; =>This Inner Loop Header: Depth=1
	s_and_saveexec_b64 s[14:15], s[8:9]
	s_cbranch_execz .LBB23_21
; %bb.23:                               ;   in Loop: Header=BB23_22 Depth=1
	s_min_u32 s23, s21, 8
	s_waitcnt vmcnt(0)
	v_lshrrev_b32_e32 v10, s22, v8
	v_bfe_u32 v10, v10, 0, s23
	v_lshl_add_u32 v10, v10, 4, v9
	ds_add_u32 v10, v3
	s_branch .LBB23_21
.LBB23_24:
	v_mov_b32_e32 v3, 1
	s_mov_b32 s14, s20
	s_waitcnt vmcnt(0)
	v_mov_b32_e32 v8, v2
	s_mov_b32 s15, s16
	s_branch .LBB23_26
.LBB23_25:                              ;   in Loop: Header=BB23_26 Depth=1
	s_or_b64 exec, exec, s[8:9]
	s_add_i32 s15, s15, 8
	s_add_i32 s14, s14, -8
	s_cmp_lt_u32 s15, s17
	v_add_u32_e32 v8, 0x1000, v8
	s_cbranch_scc0 .LBB23_28
.LBB23_26:                              ; =>This Inner Loop Header: Depth=1
	s_and_saveexec_b64 s[8:9], s[6:7]
	s_cbranch_execz .LBB23_25
; %bb.27:                               ;   in Loop: Header=BB23_26 Depth=1
	s_min_u32 s21, s14, 8
	v_lshrrev_b32_e32 v9, s15, v1
	v_bfe_u32 v9, v9, 0, s21
	v_lshl_add_u32 v9, v9, 4, v8
	ds_add_u32 v9, v3
	s_branch .LBB23_25
.LBB23_28:
	v_mov_b32_e32 v1, 1
	s_mov_b32 s8, s20
	v_mov_b32_e32 v3, v2
	s_mov_b32 s9, s16
	s_branch .LBB23_30
.LBB23_29:                              ;   in Loop: Header=BB23_30 Depth=1
	s_or_b64 exec, exec, s[6:7]
	s_add_i32 s9, s9, 8
	s_add_i32 s8, s8, -8
	s_cmp_lt_u32 s9, s17
	v_add_u32_e32 v3, 0x1000, v3
	s_cbranch_scc0 .LBB23_32
.LBB23_30:                              ; =>This Inner Loop Header: Depth=1
	s_and_saveexec_b64 s[6:7], s[4:5]
	s_cbranch_execz .LBB23_29
; %bb.31:                               ;   in Loop: Header=BB23_30 Depth=1
	s_min_u32 s14, s8, 8
	v_lshrrev_b32_e32 v8, s9, v7
	v_bfe_u32 v8, v8, 0, s14
	v_lshl_add_u32 v8, v8, 4, v3
	ds_add_u32 v8, v1
	s_branch .LBB23_29
.LBB23_32:
	v_mov_b32_e32 v1, 1
	s_mov_b32 s6, s20
	;; [unrolled: 23-line block ×4, first 2 shown]
	s_branch .LBB23_42
.LBB23_41:                              ;   in Loop: Header=BB23_42 Depth=1
	s_or_b64 exec, exec, s[0:1]
	s_add_i32 s2, s2, 8
	s_add_i32 s20, s20, -8
	s_cmp_lt_u32 s2, s17
	v_add_u32_e32 v2, 0x1000, v2
	s_cbranch_scc0 .LBB23_44
.LBB23_42:                              ; =>This Inner Loop Header: Depth=1
	s_and_saveexec_b64 s[0:1], vcc
	s_cbranch_execz .LBB23_41
; %bb.43:                               ;   in Loop: Header=BB23_42 Depth=1
	s_min_u32 s3, s20, 8
	v_lshrrev_b32_e32 v3, s2, v4
	v_bfe_u32 v3, v3, 0, s3
	v_lshl_add_u32 v3, v3, 4, v2
	ds_add_u32 v3, v1
	s_branch .LBB23_41
.LBB23_44:
	s_and_b64 vcc, exec, s[12:13]
	s_waitcnt lgkmcnt(0)
	s_barrier
	s_cbranch_vccz .LBB23_49
; %bb.45:
	s_movk_i32 s0, 0x100
	v_cmp_gt_u32_e32 vcc, s0, v0
	s_waitcnt vmcnt(0)
	v_lshlrev_b32_e32 v1, 4, v0
	v_mov_b32_e32 v3, 0
	v_mov_b32_e32 v2, v0
	s_mov_b32 s2, s16
	s_branch .LBB23_47
.LBB23_46:                              ;   in Loop: Header=BB23_47 Depth=1
	s_or_b64 exec, exec, s[0:1]
	s_add_i32 s2, s2, 8
	v_add_u32_e32 v2, 0x100, v2
	s_cmp_lt_u32 s2, s17
	v_add_u32_e32 v1, 0x1000, v1
	s_cbranch_scc0 .LBB23_49
.LBB23_47:                              ; =>This Inner Loop Header: Depth=1
	s_and_saveexec_b64 s[0:1], vcc
	s_cbranch_execz .LBB23_46
; %bb.48:                               ;   in Loop: Header=BB23_47 Depth=1
	ds_read2_b32 v[4:5], v1 offset1:1
	ds_read2_b32 v[6:7], v1 offset0:2 offset1:3
	v_lshl_add_u64 v[8:9], v[2:3], 3, s[10:11]
	s_waitcnt lgkmcnt(1)
	v_add_u32_e32 v4, v5, v4
	s_waitcnt lgkmcnt(0)
	v_add3_u32 v4, v4, v6, v7
	v_mov_b32_e32 v5, v3
	global_atomic_add_x2 v[8:9], v[4:5], off
	s_branch .LBB23_46
.LBB23_49:
	s_mov_b64 s[0:1], 0
.LBB23_50:
	s_and_b64 vcc, exec, s[0:1]
	s_cbranch_vccz .LBB23_86
; %bb.51:
	global_load_ubyte v1, v0, s[18:19]
	global_load_ubyte v4, v0, s[18:19] offset:512
	global_load_ubyte v5, v0, s[18:19] offset:1024
	;; [unrolled: 1-line block ×5, first 2 shown]
	s_cmp_eq_u32 s16, 0
	s_cselect_b64 s[2:3], -1, 0
	s_cmp_eq_u32 s17, 8
	s_cselect_b64 s[4:5], -1, 0
	s_mov_b32 s0, 0
	s_and_b64 s[4:5], s[2:3], s[4:5]
	s_mov_b32 s1, 1
	v_mov_b32_e32 v2, 0
	s_mov_b64 s[2:3], -1
	s_and_b64 vcc, exec, s[4:5]
	v_lshlrev_b32_e32 v9, 2, v0
	s_cbranch_vccnz .LBB23_77
; %bb.52:
	v_lshlrev_b32_e32 v3, 2, v0
	s_mov_b64 s[2:3], 0
	s_mov_b32 s4, s0
	s_branch .LBB23_54
.LBB23_53:                              ;   in Loop: Header=BB23_54 Depth=1
	s_or_b64 exec, exec, s[8:9]
	s_add_i32 s4, s4, 2
	v_cmp_eq_u32_e64 s[6:7], 2, s4
	s_or_b64 s[2:3], s[6:7], s[2:3]
	v_add_u32_e32 v3, 0x1000, v3
	s_andn2_b64 exec, exec, s[2:3]
	s_cbranch_execz .LBB23_58
.LBB23_54:                              ; =>This Inner Loop Header: Depth=1
	s_mov_b32 s5, s4
	s_or_b64 s[8:9], s[4:5], s[0:1]
	v_cmp_le_u32_e64 s[6:7], s9, 1
	v_cmp_le_u32_e64 s[12:13], s8, 1
	s_and_saveexec_b64 s[8:9], s[12:13]
; %bb.55:                               ;   in Loop: Header=BB23_54 Depth=1
	ds_write_b32 v3, v2
; %bb.56:                               ;   in Loop: Header=BB23_54 Depth=1
	s_or_b64 exec, exec, s[8:9]
	s_and_saveexec_b64 s[8:9], s[6:7]
	s_cbranch_execz .LBB23_53
; %bb.57:                               ;   in Loop: Header=BB23_54 Depth=1
	ds_write_b32 v3, v2 offset:2048
	s_branch .LBB23_53
.LBB23_58:
	s_or_b64 exec, exec, s[2:3]
	s_cmp_gt_u32 s17, s16
	s_cselect_b64 s[0:1], -1, 0
	s_cmp_le_u32 s17, s16
	s_waitcnt lgkmcnt(0)
	s_barrier
	s_cbranch_scc1 .LBB23_71
; %bb.59:
	v_and_b32_e32 v2, 3, v0
	v_lshlrev_b32_e32 v2, 2, v2
	s_sub_i32 s2, s17, s16
	v_mov_b32_e32 v3, 1
	s_mov_b32 s3, s2
	v_mov_b32_e32 v10, v2
	s_mov_b32 s4, s16
.LBB23_60:                              ; =>This Inner Loop Header: Depth=1
	s_min_u32 s5, s3, 8
	s_waitcnt vmcnt(5)
	v_lshrrev_b32_sdwa v11, s4, v1 dst_sel:DWORD dst_unused:UNUSED_PAD src0_sel:DWORD src1_sel:BYTE_0
	v_bfe_u32 v11, v11, 0, s5
	v_lshl_add_u32 v11, v11, 4, v10
	ds_add_u32 v11, v3
	s_add_i32 s4, s4, 8
	s_add_i32 s3, s3, -8
	s_cmp_ge_u32 s4, s17
	v_add_u32_e32 v10, 0x1000, v10
	s_cbranch_scc0 .LBB23_60
; %bb.61:
	v_mov_b32_e32 v3, 1
	s_mov_b32 s3, s2
	v_mov_b32_e32 v10, v2
	s_mov_b32 s4, s16
.LBB23_62:                              ; =>This Inner Loop Header: Depth=1
	s_min_u32 s5, s3, 8
	s_waitcnt vmcnt(4)
	v_lshrrev_b32_sdwa v11, s4, v4 dst_sel:DWORD dst_unused:UNUSED_PAD src0_sel:DWORD src1_sel:BYTE_0
	v_bfe_u32 v11, v11, 0, s5
	v_lshl_add_u32 v11, v11, 4, v10
	ds_add_u32 v11, v3
	s_add_i32 s4, s4, 8
	s_add_i32 s3, s3, -8
	s_cmp_lt_u32 s4, s17
	v_add_u32_e32 v10, 0x1000, v10
	s_cbranch_scc1 .LBB23_62
; %bb.63:
	v_mov_b32_e32 v3, 1
	s_mov_b32 s3, s2
	v_mov_b32_e32 v10, v2
	s_mov_b32 s4, s16
.LBB23_64:                              ; =>This Inner Loop Header: Depth=1
	s_min_u32 s5, s3, 8
	s_waitcnt vmcnt(3)
	v_lshrrev_b32_sdwa v11, s4, v5 dst_sel:DWORD dst_unused:UNUSED_PAD src0_sel:DWORD src1_sel:BYTE_0
	v_bfe_u32 v11, v11, 0, s5
	v_lshl_add_u32 v11, v11, 4, v10
	ds_add_u32 v11, v3
	s_add_i32 s4, s4, 8
	s_add_i32 s3, s3, -8
	s_cmp_lt_u32 s4, s17
	v_add_u32_e32 v10, 0x1000, v10
	s_cbranch_scc1 .LBB23_64
; %bb.65:
	v_mov_b32_e32 v3, 1
	s_mov_b32 s3, s2
	v_mov_b32_e32 v10, v2
	s_mov_b32 s4, s16
.LBB23_66:                              ; =>This Inner Loop Header: Depth=1
	s_min_u32 s5, s3, 8
	s_waitcnt vmcnt(2)
	v_lshrrev_b32_sdwa v11, s4, v6 dst_sel:DWORD dst_unused:UNUSED_PAD src0_sel:DWORD src1_sel:BYTE_0
	v_bfe_u32 v11, v11, 0, s5
	v_lshl_add_u32 v11, v11, 4, v10
	ds_add_u32 v11, v3
	s_add_i32 s4, s4, 8
	s_add_i32 s3, s3, -8
	s_cmp_lt_u32 s4, s17
	v_add_u32_e32 v10, 0x1000, v10
	s_cbranch_scc1 .LBB23_66
; %bb.67:
	v_mov_b32_e32 v3, 1
	s_mov_b32 s3, s2
	v_mov_b32_e32 v10, v2
	s_mov_b32 s4, s16
.LBB23_68:                              ; =>This Inner Loop Header: Depth=1
	s_min_u32 s5, s3, 8
	s_waitcnt vmcnt(1)
	v_lshrrev_b32_sdwa v11, s4, v7 dst_sel:DWORD dst_unused:UNUSED_PAD src0_sel:DWORD src1_sel:BYTE_0
	v_bfe_u32 v11, v11, 0, s5
	v_lshl_add_u32 v11, v11, 4, v10
	ds_add_u32 v11, v3
	s_add_i32 s4, s4, 8
	s_add_i32 s3, s3, -8
	s_cmp_lt_u32 s4, s17
	v_add_u32_e32 v10, 0x1000, v10
	s_cbranch_scc1 .LBB23_68
; %bb.69:
	v_mov_b32_e32 v3, 1
	s_mov_b32 s3, s16
.LBB23_70:                              ; =>This Inner Loop Header: Depth=1
	s_min_u32 s4, s2, 8
	s_waitcnt vmcnt(0)
	v_lshrrev_b32_sdwa v10, s3, v8 dst_sel:DWORD dst_unused:UNUSED_PAD src0_sel:DWORD src1_sel:BYTE_0
	v_bfe_u32 v10, v10, 0, s4
	v_lshl_add_u32 v10, v10, 4, v2
	ds_add_u32 v10, v3
	s_add_i32 s3, s3, 8
	s_add_i32 s2, s2, -8
	s_cmp_lt_u32 s3, s17
	v_add_u32_e32 v2, 0x1000, v2
	s_cbranch_scc1 .LBB23_70
.LBB23_71:
	s_and_b64 vcc, exec, s[0:1]
	s_waitcnt lgkmcnt(0)
	s_barrier
	s_cbranch_vccz .LBB23_76
; %bb.72:
	s_movk_i32 s0, 0x100
	v_cmp_gt_u32_e32 vcc, s0, v0
	v_lshlrev_b32_e32 v10, 4, v0
	v_mov_b32_e32 v3, 0
	v_mov_b32_e32 v2, v0
	s_branch .LBB23_74
.LBB23_73:                              ;   in Loop: Header=BB23_74 Depth=1
	s_or_b64 exec, exec, s[0:1]
	s_add_i32 s16, s16, 8
	v_add_u32_e32 v2, 0x100, v2
	s_cmp_ge_u32 s16, s17
	v_add_u32_e32 v10, 0x1000, v10
	s_cbranch_scc1 .LBB23_76
.LBB23_74:                              ; =>This Inner Loop Header: Depth=1
	s_and_saveexec_b64 s[0:1], vcc
	s_cbranch_execz .LBB23_73
; %bb.75:                               ;   in Loop: Header=BB23_74 Depth=1
	ds_read2_b32 v[12:13], v10 offset1:1
	ds_read2_b32 v[14:15], v10 offset0:2 offset1:3
	v_lshl_add_u64 v[16:17], v[2:3], 3, s[10:11]
	s_waitcnt lgkmcnt(1)
	v_add_u32_e32 v11, v13, v12
	s_waitcnt lgkmcnt(0)
	v_add3_u32 v12, v11, v14, v15
	v_mov_b32_e32 v13, v3
	global_atomic_add_x2 v[16:17], v[12:13], off
	s_branch .LBB23_73
.LBB23_76:
	s_mov_b64 s[2:3], 0
.LBB23_77:
	s_and_b64 vcc, exec, s[2:3]
	s_cbranch_vccz .LBB23_86
; %bb.78:
	s_mov_b32 s0, 0
	s_mov_b32 s1, 1
	s_mov_b64 s[2:3], 0
	v_mov_b32_e32 v2, 0
	s_mov_b32 s4, s0
	s_branch .LBB23_80
.LBB23_79:                              ;   in Loop: Header=BB23_80 Depth=1
	s_or_b64 exec, exec, s[8:9]
	s_add_i32 s4, s4, 2
	v_cmp_eq_u32_e64 s[6:7], 2, s4
	s_or_b64 s[2:3], s[6:7], s[2:3]
	v_add_u32_e32 v9, 0x1000, v9
	s_andn2_b64 exec, exec, s[2:3]
	s_cbranch_execz .LBB23_84
.LBB23_80:                              ; =>This Inner Loop Header: Depth=1
	s_mov_b32 s5, s4
	s_or_b64 s[8:9], s[4:5], s[0:1]
	v_cmp_le_u32_e64 s[6:7], s9, 1
	v_cmp_le_u32_e64 s[12:13], s8, 1
	s_and_saveexec_b64 s[8:9], s[12:13]
; %bb.81:                               ;   in Loop: Header=BB23_80 Depth=1
	ds_write_b32 v9, v2
; %bb.82:                               ;   in Loop: Header=BB23_80 Depth=1
	s_or_b64 exec, exec, s[8:9]
	s_and_saveexec_b64 s[8:9], s[6:7]
	s_cbranch_execz .LBB23_79
; %bb.83:                               ;   in Loop: Header=BB23_80 Depth=1
	ds_write_b32 v9, v2 offset:2048
	s_branch .LBB23_79
.LBB23_84:
	s_or_b64 exec, exec, s[2:3]
	s_waitcnt vmcnt(3)
	v_and_b32_e32 v3, 0xff, v5
	s_waitcnt vmcnt(1)
	v_and_b32_e32 v5, 0xff, v7
	v_and_b32_e32 v7, 3, v0
	;; [unrolled: 1-line block ×3, first 2 shown]
	v_lshlrev_b32_e32 v7, 2, v7
	v_and_b32_e32 v2, 0xff, v4
	v_and_b32_e32 v4, 0xff, v6
	s_waitcnt vmcnt(0)
	v_and_b32_e32 v6, 0xff, v8
	v_lshl_or_b32 v1, v1, 4, v7
	v_mov_b32_e32 v8, 1
	s_waitcnt lgkmcnt(0)
	s_barrier
	ds_add_u32 v1, v8
	v_lshl_or_b32 v1, v2, 4, v7
	ds_add_u32 v1, v8
	v_lshl_or_b32 v1, v3, 4, v7
	;; [unrolled: 2-line block ×5, first 2 shown]
	ds_add_u32 v1, v8
	s_movk_i32 s0, 0x100
	v_cmp_gt_u32_e32 vcc, s0, v0
	s_waitcnt lgkmcnt(0)
	s_barrier
	s_and_saveexec_b64 s[0:1], vcc
	s_cbranch_execz .LBB23_86
; %bb.85:
	v_lshlrev_b32_e32 v1, 4, v0
	ds_read2_b32 v[2:3], v1 offset1:1
	ds_read2_b32 v[4:5], v1 offset0:2 offset1:3
	v_lshlrev_b32_e32 v6, 3, v0
	v_mov_b32_e32 v1, 0
	s_waitcnt lgkmcnt(1)
	v_add_u32_e32 v0, v3, v2
	s_waitcnt lgkmcnt(0)
	v_add3_u32 v0, v0, v4, v5
	global_atomic_add_x2 v6, v[0:1], s[10:11]
.LBB23_86:
	s_endpgm
	.section	.rodata,"a",@progbits
	.p2align	6, 0x0
	.amdhsa_kernel _ZN7rocprim17ROCPRIM_304000_NS6detail26onesweep_histograms_kernelINS1_34wrapped_radix_sort_onesweep_configINS0_14default_configEhN2at4cuda3cub6detail10OpaqueTypeILi8EEEEELb0EPKhmNS0_19identity_decomposerEEEvT1_PT2_SG_SG_T3_jj
		.amdhsa_group_segment_fixed_size 4096
		.amdhsa_private_segment_fixed_size 0
		.amdhsa_kernarg_size 44
		.amdhsa_user_sgpr_count 2
		.amdhsa_user_sgpr_dispatch_ptr 0
		.amdhsa_user_sgpr_queue_ptr 0
		.amdhsa_user_sgpr_kernarg_segment_ptr 1
		.amdhsa_user_sgpr_dispatch_id 0
		.amdhsa_user_sgpr_kernarg_preload_length 0
		.amdhsa_user_sgpr_kernarg_preload_offset 0
		.amdhsa_user_sgpr_private_segment_size 0
		.amdhsa_uses_dynamic_stack 0
		.amdhsa_enable_private_segment 0
		.amdhsa_system_sgpr_workgroup_id_x 1
		.amdhsa_system_sgpr_workgroup_id_y 0
		.amdhsa_system_sgpr_workgroup_id_z 0
		.amdhsa_system_sgpr_workgroup_info 0
		.amdhsa_system_vgpr_workitem_id 0
		.amdhsa_next_free_vgpr 18
		.amdhsa_next_free_sgpr 28
		.amdhsa_accum_offset 20
		.amdhsa_reserve_vcc 1
		.amdhsa_float_round_mode_32 0
		.amdhsa_float_round_mode_16_64 0
		.amdhsa_float_denorm_mode_32 3
		.amdhsa_float_denorm_mode_16_64 3
		.amdhsa_dx10_clamp 1
		.amdhsa_ieee_mode 1
		.amdhsa_fp16_overflow 0
		.amdhsa_tg_split 0
		.amdhsa_exception_fp_ieee_invalid_op 0
		.amdhsa_exception_fp_denorm_src 0
		.amdhsa_exception_fp_ieee_div_zero 0
		.amdhsa_exception_fp_ieee_overflow 0
		.amdhsa_exception_fp_ieee_underflow 0
		.amdhsa_exception_fp_ieee_inexact 0
		.amdhsa_exception_int_div_zero 0
	.end_amdhsa_kernel
	.section	.text._ZN7rocprim17ROCPRIM_304000_NS6detail26onesweep_histograms_kernelINS1_34wrapped_radix_sort_onesweep_configINS0_14default_configEhN2at4cuda3cub6detail10OpaqueTypeILi8EEEEELb0EPKhmNS0_19identity_decomposerEEEvT1_PT2_SG_SG_T3_jj,"axG",@progbits,_ZN7rocprim17ROCPRIM_304000_NS6detail26onesweep_histograms_kernelINS1_34wrapped_radix_sort_onesweep_configINS0_14default_configEhN2at4cuda3cub6detail10OpaqueTypeILi8EEEEELb0EPKhmNS0_19identity_decomposerEEEvT1_PT2_SG_SG_T3_jj,comdat
.Lfunc_end23:
	.size	_ZN7rocprim17ROCPRIM_304000_NS6detail26onesweep_histograms_kernelINS1_34wrapped_radix_sort_onesweep_configINS0_14default_configEhN2at4cuda3cub6detail10OpaqueTypeILi8EEEEELb0EPKhmNS0_19identity_decomposerEEEvT1_PT2_SG_SG_T3_jj, .Lfunc_end23-_ZN7rocprim17ROCPRIM_304000_NS6detail26onesweep_histograms_kernelINS1_34wrapped_radix_sort_onesweep_configINS0_14default_configEhN2at4cuda3cub6detail10OpaqueTypeILi8EEEEELb0EPKhmNS0_19identity_decomposerEEEvT1_PT2_SG_SG_T3_jj
                                        ; -- End function
	.set _ZN7rocprim17ROCPRIM_304000_NS6detail26onesweep_histograms_kernelINS1_34wrapped_radix_sort_onesweep_configINS0_14default_configEhN2at4cuda3cub6detail10OpaqueTypeILi8EEEEELb0EPKhmNS0_19identity_decomposerEEEvT1_PT2_SG_SG_T3_jj.num_vgpr, 18
	.set _ZN7rocprim17ROCPRIM_304000_NS6detail26onesweep_histograms_kernelINS1_34wrapped_radix_sort_onesweep_configINS0_14default_configEhN2at4cuda3cub6detail10OpaqueTypeILi8EEEEELb0EPKhmNS0_19identity_decomposerEEEvT1_PT2_SG_SG_T3_jj.num_agpr, 0
	.set _ZN7rocprim17ROCPRIM_304000_NS6detail26onesweep_histograms_kernelINS1_34wrapped_radix_sort_onesweep_configINS0_14default_configEhN2at4cuda3cub6detail10OpaqueTypeILi8EEEEELb0EPKhmNS0_19identity_decomposerEEEvT1_PT2_SG_SG_T3_jj.numbered_sgpr, 28
	.set _ZN7rocprim17ROCPRIM_304000_NS6detail26onesweep_histograms_kernelINS1_34wrapped_radix_sort_onesweep_configINS0_14default_configEhN2at4cuda3cub6detail10OpaqueTypeILi8EEEEELb0EPKhmNS0_19identity_decomposerEEEvT1_PT2_SG_SG_T3_jj.num_named_barrier, 0
	.set _ZN7rocprim17ROCPRIM_304000_NS6detail26onesweep_histograms_kernelINS1_34wrapped_radix_sort_onesweep_configINS0_14default_configEhN2at4cuda3cub6detail10OpaqueTypeILi8EEEEELb0EPKhmNS0_19identity_decomposerEEEvT1_PT2_SG_SG_T3_jj.private_seg_size, 0
	.set _ZN7rocprim17ROCPRIM_304000_NS6detail26onesweep_histograms_kernelINS1_34wrapped_radix_sort_onesweep_configINS0_14default_configEhN2at4cuda3cub6detail10OpaqueTypeILi8EEEEELb0EPKhmNS0_19identity_decomposerEEEvT1_PT2_SG_SG_T3_jj.uses_vcc, 1
	.set _ZN7rocprim17ROCPRIM_304000_NS6detail26onesweep_histograms_kernelINS1_34wrapped_radix_sort_onesweep_configINS0_14default_configEhN2at4cuda3cub6detail10OpaqueTypeILi8EEEEELb0EPKhmNS0_19identity_decomposerEEEvT1_PT2_SG_SG_T3_jj.uses_flat_scratch, 0
	.set _ZN7rocprim17ROCPRIM_304000_NS6detail26onesweep_histograms_kernelINS1_34wrapped_radix_sort_onesweep_configINS0_14default_configEhN2at4cuda3cub6detail10OpaqueTypeILi8EEEEELb0EPKhmNS0_19identity_decomposerEEEvT1_PT2_SG_SG_T3_jj.has_dyn_sized_stack, 0
	.set _ZN7rocprim17ROCPRIM_304000_NS6detail26onesweep_histograms_kernelINS1_34wrapped_radix_sort_onesweep_configINS0_14default_configEhN2at4cuda3cub6detail10OpaqueTypeILi8EEEEELb0EPKhmNS0_19identity_decomposerEEEvT1_PT2_SG_SG_T3_jj.has_recursion, 0
	.set _ZN7rocprim17ROCPRIM_304000_NS6detail26onesweep_histograms_kernelINS1_34wrapped_radix_sort_onesweep_configINS0_14default_configEhN2at4cuda3cub6detail10OpaqueTypeILi8EEEEELb0EPKhmNS0_19identity_decomposerEEEvT1_PT2_SG_SG_T3_jj.has_indirect_call, 0
	.section	.AMDGPU.csdata,"",@progbits
; Kernel info:
; codeLenInByte = 2436
; TotalNumSgprs: 34
; NumVgprs: 18
; NumAgprs: 0
; TotalNumVgprs: 18
; ScratchSize: 0
; MemoryBound: 0
; FloatMode: 240
; IeeeMode: 1
; LDSByteSize: 4096 bytes/workgroup (compile time only)
; SGPRBlocks: 4
; VGPRBlocks: 2
; NumSGPRsForWavesPerEU: 34
; NumVGPRsForWavesPerEU: 18
; AccumOffset: 20
; Occupancy: 8
; WaveLimiterHint : 1
; COMPUTE_PGM_RSRC2:SCRATCH_EN: 0
; COMPUTE_PGM_RSRC2:USER_SGPR: 2
; COMPUTE_PGM_RSRC2:TRAP_HANDLER: 0
; COMPUTE_PGM_RSRC2:TGID_X_EN: 1
; COMPUTE_PGM_RSRC2:TGID_Y_EN: 0
; COMPUTE_PGM_RSRC2:TGID_Z_EN: 0
; COMPUTE_PGM_RSRC2:TIDIG_COMP_CNT: 0
; COMPUTE_PGM_RSRC3_GFX90A:ACCUM_OFFSET: 4
; COMPUTE_PGM_RSRC3_GFX90A:TG_SPLIT: 0
	.section	.text._ZN7rocprim17ROCPRIM_304000_NS6detail25onesweep_iteration_kernelINS1_34wrapped_radix_sort_onesweep_configINS0_14default_configEhN2at4cuda3cub6detail10OpaqueTypeILi8EEEEELb0EPKhPhPKSA_PSA_mNS0_19identity_decomposerEEEvT1_T2_T3_T4_jPT5_SO_PNS1_23onesweep_lookback_stateET6_jjj,"axG",@progbits,_ZN7rocprim17ROCPRIM_304000_NS6detail25onesweep_iteration_kernelINS1_34wrapped_radix_sort_onesweep_configINS0_14default_configEhN2at4cuda3cub6detail10OpaqueTypeILi8EEEEELb0EPKhPhPKSA_PSA_mNS0_19identity_decomposerEEEvT1_T2_T3_T4_jPT5_SO_PNS1_23onesweep_lookback_stateET6_jjj,comdat
	.protected	_ZN7rocprim17ROCPRIM_304000_NS6detail25onesweep_iteration_kernelINS1_34wrapped_radix_sort_onesweep_configINS0_14default_configEhN2at4cuda3cub6detail10OpaqueTypeILi8EEEEELb0EPKhPhPKSA_PSA_mNS0_19identity_decomposerEEEvT1_T2_T3_T4_jPT5_SO_PNS1_23onesweep_lookback_stateET6_jjj ; -- Begin function _ZN7rocprim17ROCPRIM_304000_NS6detail25onesweep_iteration_kernelINS1_34wrapped_radix_sort_onesweep_configINS0_14default_configEhN2at4cuda3cub6detail10OpaqueTypeILi8EEEEELb0EPKhPhPKSA_PSA_mNS0_19identity_decomposerEEEvT1_T2_T3_T4_jPT5_SO_PNS1_23onesweep_lookback_stateET6_jjj
	.globl	_ZN7rocprim17ROCPRIM_304000_NS6detail25onesweep_iteration_kernelINS1_34wrapped_radix_sort_onesweep_configINS0_14default_configEhN2at4cuda3cub6detail10OpaqueTypeILi8EEEEELb0EPKhPhPKSA_PSA_mNS0_19identity_decomposerEEEvT1_T2_T3_T4_jPT5_SO_PNS1_23onesweep_lookback_stateET6_jjj
	.p2align	8
	.type	_ZN7rocprim17ROCPRIM_304000_NS6detail25onesweep_iteration_kernelINS1_34wrapped_radix_sort_onesweep_configINS0_14default_configEhN2at4cuda3cub6detail10OpaqueTypeILi8EEEEELb0EPKhPhPKSA_PSA_mNS0_19identity_decomposerEEEvT1_T2_T3_T4_jPT5_SO_PNS1_23onesweep_lookback_stateET6_jjj,@function
_ZN7rocprim17ROCPRIM_304000_NS6detail25onesweep_iteration_kernelINS1_34wrapped_radix_sort_onesweep_configINS0_14default_configEhN2at4cuda3cub6detail10OpaqueTypeILi8EEEEELb0EPKhPhPKSA_PSA_mNS0_19identity_decomposerEEEvT1_T2_T3_T4_jPT5_SO_PNS1_23onesweep_lookback_stateET6_jjj: ; @_ZN7rocprim17ROCPRIM_304000_NS6detail25onesweep_iteration_kernelINS1_34wrapped_radix_sort_onesweep_configINS0_14default_configEhN2at4cuda3cub6detail10OpaqueTypeILi8EEEEELb0EPKhPhPKSA_PSA_mNS0_19identity_decomposerEEEvT1_T2_T3_T4_jPT5_SO_PNS1_23onesweep_lookback_stateET6_jjj
; %bb.0:
	s_load_dwordx4 s[44:47], s[0:1], 0x44
	s_load_dwordx8 s[36:43], s[0:1], 0x0
	s_load_dwordx4 s[28:31], s[0:1], 0x28
	s_load_dwordx2 s[48:49], s[0:1], 0x38
	s_mov_b64 s[4:5], -1
	s_waitcnt lgkmcnt(0)
	s_cmp_ge_u32 s2, s46
	s_mul_i32 s34, s2, 0xc00
	v_mbcnt_lo_u32_b32 v1, -1, 0
	s_cbranch_scc0 .LBB24_96
; %bb.1:
	s_load_dword s3, s[0:1], 0x20
	s_mul_i32 s33, s46, 0xfffff400
	v_and_b32_e32 v15, 0x1c0, v0
	v_mbcnt_hi_u32_b32 v6, -1, v1
	v_mul_u32_u24_e32 v4, 6, v15
	s_waitcnt lgkmcnt(0)
	s_add_i32 s33, s33, s3
	s_add_u32 s4, s36, s34
	s_addc_u32 s5, s37, 0
	v_mov_b32_e32 v7, 0
	v_lshl_add_u64 v[2:3], s[4:5], 0, v[6:7]
	v_mov_b32_e32 v5, v7
	v_or_b32_e32 v11, v6, v4
	s_mov_b32 s35, 0
	v_lshl_add_u64 v[8:9], v[2:3], 0, v[4:5]
	v_cmp_gt_u32_e32 vcc, s33, v11
	v_mov_b32_e32 v10, 0xff
	v_mov_b32_e32 v3, 0xff
	;; [unrolled: 1-line block ×3, first 2 shown]
	s_and_saveexec_b64 s[4:5], vcc
	s_cbranch_execz .LBB24_3
; %bb.2:
	global_load_ubyte v5, v[8:9], off
	s_waitcnt vmcnt(0)
	v_and_b32_e32 v10, 0xff, v5
.LBB24_3:
	s_or_b64 exec, exec, s[4:5]
	v_add_u32_e32 v2, 64, v11
	v_cmp_gt_u32_e64 s[26:27], s33, v2
	v_mov_b32_e32 v18, 0xff
	s_and_saveexec_b64 s[4:5], s[26:27]
	s_cbranch_execz .LBB24_5
; %bb.4:
	global_load_ubyte v3, v[8:9], off offset:64
	s_waitcnt vmcnt(0)
	v_and_b32_e32 v18, 0xff, v3
.LBB24_5:
	s_or_b64 exec, exec, s[4:5]
	v_add_u32_e32 v2, 0x80, v11
	v_cmp_gt_u32_e64 s[4:5], s33, v2
	v_mov_b32_e32 v22, 0xff
	v_mov_b32_e32 v7, 0xff
	;; [unrolled: 1-line block ×3, first 2 shown]
	s_and_saveexec_b64 s[6:7], s[4:5]
	s_cbranch_execz .LBB24_7
; %bb.6:
	global_load_ubyte v12, v[8:9], off offset:128
	s_waitcnt vmcnt(0)
	v_and_b32_e32 v22, 0xff, v12
.LBB24_7:
	s_or_b64 exec, exec, s[6:7]
	v_add_u32_e32 v2, 0xc0, v11
	v_cmp_gt_u32_e64 s[6:7], s33, v2
	v_mov_b32_e32 v27, 0xff
	s_and_saveexec_b64 s[8:9], s[6:7]
	s_cbranch_execz .LBB24_9
; %bb.8:
	global_load_ubyte v7, v[8:9], off offset:192
	s_waitcnt vmcnt(0)
	v_and_b32_e32 v27, 0xff, v7
.LBB24_9:
	s_or_b64 exec, exec, s[8:9]
	v_add_u32_e32 v2, 0x100, v11
	v_cmp_gt_u32_e64 s[8:9], s33, v2
	v_mov_b32_e32 v23, 0xff
	v_mov_b32_e32 v13, 0xff
	v_mov_b32_e32 v14, 0xff
	s_and_saveexec_b64 s[10:11], s[8:9]
	s_cbranch_execz .LBB24_11
; %bb.10:
	global_load_ubyte v14, v[8:9], off offset:256
	s_waitcnt vmcnt(0)
	v_and_b32_e32 v23, 0xff, v14
.LBB24_11:
	s_or_b64 exec, exec, s[10:11]
	v_add_u32_e32 v11, 0x140, v11
	v_and_b32_e32 v2, 0x3ff, v0
	v_cmp_gt_u32_e64 s[10:11], s33, v11
	v_mov_b32_e32 v20, 0xff
	s_and_saveexec_b64 s[12:13], s[10:11]
	s_cbranch_execz .LBB24_13
; %bb.12:
	global_load_ubyte v13, v[8:9], off offset:320
	s_waitcnt vmcnt(0)
	v_and_b32_e32 v20, 0xff, v13
.LBB24_13:
	s_or_b64 exec, exec, s[12:13]
	s_load_dword s12, s[0:1], 0x5c
	s_load_dword s3, s[0:1], 0x50
	s_add_u32 s13, s0, 0x50
	s_addc_u32 s14, s1, 0
	v_mov_b32_e32 v9, 0
	s_waitcnt lgkmcnt(0)
	s_lshr_b32 s15, s12, 16
	s_cmp_lt_u32 s2, s3
	s_cselect_b32 s12, 12, 18
	s_add_u32 s12, s13, s12
	s_addc_u32 s13, s14, 0
	global_load_ushort v17, v9, s[12:13]
	v_lshrrev_b32_e32 v19, s44, v10
	s_lshl_b32 s12, -1, s45
	v_bfe_u32 v8, v0, 10, 10
	v_bfe_u32 v11, v0, 20, 10
	v_bitop3_b32 v19, v19, s12, v19 bitop3:0x30
	v_mad_u32_u24 v21, v11, s15, v8
	v_and_b32_e32 v8, 1, v19
	v_lshlrev_b32_e32 v11, 30, v19
	v_mov_b32_e32 v10, v9
	v_mov_b32_e32 v28, v9
	s_not_b32 s50, s12
	v_lshlrev_b32_e32 v25, 29, v19
	v_lshlrev_b32_e32 v29, 28, v19
	v_lshl_add_u64 v[38:39], v[8:9], 0, -1
	v_cmp_ne_u32_e64 s[12:13], 0, v8
	v_not_b32_e32 v8, v11
	v_mov_b32_e32 v24, v9
	v_mov_b32_e32 v30, v9
	v_lshlrev_b32_e32 v31, 27, v19
	v_cmp_gt_i64_e64 s[14:15], 0, v[10:11]
	v_not_b32_e32 v10, v25
	v_cmp_gt_i64_e64 s[18:19], 0, v[28:29]
	v_xor_b32_e32 v28, s13, v39
	v_ashrrev_i32_e32 v8, 31, v8
	v_cmp_gt_i64_e64 s[16:17], 0, v[24:25]
	v_not_b32_e32 v11, v29
	v_cmp_gt_i64_e64 s[20:21], 0, v[30:31]
	v_xor_b32_e32 v29, s12, v38
	v_ashrrev_i32_e32 v10, 31, v10
	v_and_b32_e32 v28, exec_hi, v28
	v_xor_b32_e32 v30, s15, v8
	v_mov_b32_e32 v32, v9
	v_mul_u32_u24_e32 v26, 36, v19
	v_lshlrev_b32_e32 v33, 26, v19
	v_lshlrev_b32_e32 v35, 25, v19
	;; [unrolled: 1-line block ×3, first 2 shown]
	v_not_b32_e32 v19, v31
	v_ashrrev_i32_e32 v11, 31, v11
	v_and_b32_e32 v29, exec_lo, v29
	v_xor_b32_e32 v8, s14, v8
	v_xor_b32_e32 v31, s17, v10
	v_and_b32_e32 v28, v28, v30
	v_cmp_gt_i64_e64 s[22:23], 0, v[32:33]
	v_not_b32_e32 v24, v33
	v_ashrrev_i32_e32 v19, 31, v19
	v_xor_b32_e32 v10, s16, v10
	v_xor_b32_e32 v32, s19, v11
	v_and_b32_e32 v8, v29, v8
	v_and_b32_e32 v28, v28, v31
	v_mov_b32_e32 v34, v9
	v_not_b32_e32 v25, v35
	v_ashrrev_i32_e32 v24, 31, v24
	v_xor_b32_e32 v33, s21, v19
	v_and_b32_e32 v8, v8, v10
	v_and_b32_e32 v10, v28, v32
	v_cmp_gt_i64_e64 s[24:25], 0, v[34:35]
	v_ashrrev_i32_e32 v25, 31, v25
	v_xor_b32_e32 v11, s18, v11
	v_xor_b32_e32 v34, s23, v24
	v_and_b32_e32 v10, v10, v33
	v_xor_b32_e32 v19, s20, v19
	v_xor_b32_e32 v35, s25, v25
	v_and_b32_e32 v8, v8, v11
	v_and_b32_e32 v10, v10, v34
	v_xor_b32_e32 v24, s22, v24
	v_and_b32_e32 v8, v8, v19
	v_and_b32_e32 v19, v10, v35
	v_xor_b32_e32 v25, s24, v25
	v_and_b32_e32 v8, v8, v24
	v_mov_b32_e32 v36, v9
	v_and_b32_e32 v8, v8, v25
	v_mul_u32_u24_e32 v16, 20, v2
	ds_write2_b32 v16, v9, v9 offset0:8 offset1:9
	ds_write2_b32 v16, v9, v9 offset0:10 offset1:11
	ds_write_b32 v16, v9 offset:48
	s_waitcnt lgkmcnt(0)
	s_barrier
	s_waitcnt vmcnt(0)
	; wave barrier
	v_mad_u64_u32 v[10:11], s[12:13], v21, v17, v[2:3]
	v_lshrrev_b32_e32 v10, 4, v10
	v_and_b32_e32 v25, 0xffffffc, v10
	v_not_b32_e32 v10, v37
	v_cmp_gt_i64_e64 s[12:13], 0, v[36:37]
	v_ashrrev_i32_e32 v10, 31, v10
	s_nop 0
	v_xor_b32_e32 v11, s13, v10
	v_xor_b32_e32 v10, s12, v10
	v_and_b32_e32 v10, v8, v10
	v_and_b32_e32 v11, v19, v11
	v_mbcnt_lo_u32_b32 v8, v10, 0
	v_mbcnt_hi_u32_b32 v17, v11, v8
	v_cmp_eq_u32_e64 s[12:13], 0, v17
	v_cmp_ne_u64_e64 s[14:15], 0, v[10:11]
	s_and_b64 s[14:15], s[14:15], s[12:13]
	v_add_u32_e32 v19, v25, v26
	s_and_saveexec_b64 s[12:13], s[14:15]
; %bb.14:
	v_bcnt_u32_b32 v8, v10, 0
	v_bcnt_u32_b32 v8, v11, v8
	ds_write_b32 v19, v8 offset:32
; %bb.15:
	s_or_b64 exec, exec, s[12:13]
	v_lshrrev_b32_e32 v8, s44, v18
	v_and_b32_e32 v21, s50, v8
	v_mad_u32_u24 v8, v21, 36, v25
	; wave barrier
	ds_read_b32 v18, v8 offset:32
	v_and_b32_e32 v8, 1, v21
	v_lshl_add_u64 v[10:11], v[8:9], 0, -1
	v_cmp_ne_u32_e64 s[12:13], 0, v8
	v_mul_u32_u24_e32 v24, 36, v21
	v_add_u32_e32 v24, v25, v24
	v_xor_b32_e32 v10, s12, v10
	v_xor_b32_e32 v8, s13, v11
	v_and_b32_e32 v26, exec_lo, v10
	v_lshlrev_b32_e32 v11, 30, v21
	v_mov_b32_e32 v10, v9
	v_cmp_gt_i64_e64 s[12:13], 0, v[10:11]
	v_not_b32_e32 v10, v11
	v_ashrrev_i32_e32 v10, 31, v10
	v_and_b32_e32 v8, exec_hi, v8
	v_xor_b32_e32 v11, s13, v10
	v_xor_b32_e32 v10, s12, v10
	v_and_b32_e32 v8, v8, v11
	v_and_b32_e32 v26, v26, v10
	v_lshlrev_b32_e32 v11, 29, v21
	v_mov_b32_e32 v10, v9
	v_cmp_gt_i64_e64 s[12:13], 0, v[10:11]
	v_not_b32_e32 v10, v11
	v_ashrrev_i32_e32 v10, 31, v10
	v_xor_b32_e32 v11, s13, v10
	v_xor_b32_e32 v10, s12, v10
	v_and_b32_e32 v8, v8, v11
	v_and_b32_e32 v26, v26, v10
	v_lshlrev_b32_e32 v11, 28, v21
	v_mov_b32_e32 v10, v9
	v_cmp_gt_i64_e64 s[12:13], 0, v[10:11]
	v_not_b32_e32 v10, v11
	v_ashrrev_i32_e32 v10, 31, v10
	;; [unrolled: 9-line block ×5, first 2 shown]
	v_xor_b32_e32 v11, s13, v10
	v_xor_b32_e32 v10, s12, v10
	v_and_b32_e32 v8, v8, v11
	v_lshlrev_b32_e32 v11, 24, v21
	v_and_b32_e32 v26, v26, v10
	v_mov_b32_e32 v10, v9
	v_not_b32_e32 v9, v11
	v_cmp_gt_i64_e64 s[12:13], 0, v[10:11]
	v_ashrrev_i32_e32 v9, 31, v9
	s_nop 0
	v_xor_b32_e32 v10, s13, v9
	v_xor_b32_e32 v11, s12, v9
	v_and_b32_e32 v9, v8, v10
	v_and_b32_e32 v8, v26, v11
	v_mbcnt_lo_u32_b32 v10, v8, 0
	v_mbcnt_hi_u32_b32 v21, v9, v10
	v_cmp_eq_u32_e64 s[12:13], 0, v21
	v_cmp_ne_u64_e64 s[14:15], 0, v[8:9]
	s_and_b64 s[14:15], s[14:15], s[12:13]
	; wave barrier
	s_and_saveexec_b64 s[12:13], s[14:15]
	s_cbranch_execz .LBB24_17
; %bb.16:
	v_bcnt_u32_b32 v8, v8, 0
	v_bcnt_u32_b32 v8, v9, v8
	s_waitcnt lgkmcnt(0)
	v_add_u32_e32 v8, v18, v8
	ds_write_b32 v24, v8 offset:32
.LBB24_17:
	s_or_b64 exec, exec, s[12:13]
	v_lshrrev_b32_e32 v8, s44, v22
	v_and_b32_e32 v26, s50, v8
	v_mad_u32_u24 v8, v26, 36, v25
	; wave barrier
	ds_read_b32 v22, v8 offset:32
	v_and_b32_e32 v8, 1, v26
	v_mov_b32_e32 v9, 0
	v_lshl_add_u64 v[10:11], v[8:9], 0, -1
	v_cmp_ne_u32_e64 s[12:13], 0, v8
	v_mul_u32_u24_e32 v28, 36, v26
	v_add_u32_e32 v28, v25, v28
	v_xor_b32_e32 v10, s12, v10
	v_xor_b32_e32 v8, s13, v11
	v_and_b32_e32 v29, exec_lo, v10
	v_lshlrev_b32_e32 v11, 30, v26
	v_mov_b32_e32 v10, v9
	v_cmp_gt_i64_e64 s[12:13], 0, v[10:11]
	v_not_b32_e32 v10, v11
	v_ashrrev_i32_e32 v10, 31, v10
	v_and_b32_e32 v8, exec_hi, v8
	v_xor_b32_e32 v11, s13, v10
	v_xor_b32_e32 v10, s12, v10
	v_and_b32_e32 v8, v8, v11
	v_and_b32_e32 v29, v29, v10
	v_lshlrev_b32_e32 v11, 29, v26
	v_mov_b32_e32 v10, v9
	v_cmp_gt_i64_e64 s[12:13], 0, v[10:11]
	v_not_b32_e32 v10, v11
	v_ashrrev_i32_e32 v10, 31, v10
	v_xor_b32_e32 v11, s13, v10
	v_xor_b32_e32 v10, s12, v10
	v_and_b32_e32 v8, v8, v11
	v_and_b32_e32 v29, v29, v10
	v_lshlrev_b32_e32 v11, 28, v26
	v_mov_b32_e32 v10, v9
	v_cmp_gt_i64_e64 s[12:13], 0, v[10:11]
	v_not_b32_e32 v10, v11
	v_ashrrev_i32_e32 v10, 31, v10
	;; [unrolled: 9-line block ×6, first 2 shown]
	v_xor_b32_e32 v11, s13, v10
	v_xor_b32_e32 v10, s12, v10
	v_and_b32_e32 v10, v29, v10
	v_and_b32_e32 v11, v8, v11
	v_mbcnt_lo_u32_b32 v8, v10, 0
	v_mbcnt_hi_u32_b32 v26, v11, v8
	v_cmp_eq_u32_e64 s[12:13], 0, v26
	v_cmp_ne_u64_e64 s[14:15], 0, v[10:11]
	s_and_b64 s[14:15], s[14:15], s[12:13]
	; wave barrier
	s_and_saveexec_b64 s[12:13], s[14:15]
	s_cbranch_execz .LBB24_19
; %bb.18:
	v_bcnt_u32_b32 v8, v10, 0
	v_bcnt_u32_b32 v8, v11, v8
	s_waitcnt lgkmcnt(0)
	v_add_u32_e32 v8, v22, v8
	ds_write_b32 v28, v8 offset:32
.LBB24_19:
	s_or_b64 exec, exec, s[12:13]
	v_lshrrev_b32_e32 v8, s44, v27
	v_and_b32_e32 v29, s50, v8
	v_mad_u32_u24 v8, v29, 36, v25
	; wave barrier
	ds_read_b32 v27, v8 offset:32
	v_and_b32_e32 v8, 1, v29
	v_lshl_add_u64 v[10:11], v[8:9], 0, -1
	v_cmp_ne_u32_e64 s[12:13], 0, v8
	v_mul_u32_u24_e32 v31, 36, v29
	s_nop 0
	v_xor_b32_e32 v10, s12, v10
	v_xor_b32_e32 v8, s13, v11
	v_and_b32_e32 v30, exec_lo, v10
	v_lshlrev_b32_e32 v11, 30, v29
	v_mov_b32_e32 v10, v9
	v_cmp_gt_i64_e64 s[12:13], 0, v[10:11]
	v_not_b32_e32 v10, v11
	v_ashrrev_i32_e32 v10, 31, v10
	v_and_b32_e32 v8, exec_hi, v8
	v_xor_b32_e32 v11, s13, v10
	v_xor_b32_e32 v10, s12, v10
	v_and_b32_e32 v8, v8, v11
	v_and_b32_e32 v30, v30, v10
	v_lshlrev_b32_e32 v11, 29, v29
	v_mov_b32_e32 v10, v9
	v_cmp_gt_i64_e64 s[12:13], 0, v[10:11]
	v_not_b32_e32 v10, v11
	v_ashrrev_i32_e32 v10, 31, v10
	v_xor_b32_e32 v11, s13, v10
	v_xor_b32_e32 v10, s12, v10
	v_and_b32_e32 v8, v8, v11
	v_and_b32_e32 v30, v30, v10
	v_lshlrev_b32_e32 v11, 28, v29
	v_mov_b32_e32 v10, v9
	v_cmp_gt_i64_e64 s[12:13], 0, v[10:11]
	v_not_b32_e32 v10, v11
	v_ashrrev_i32_e32 v10, 31, v10
	;; [unrolled: 9-line block ×5, first 2 shown]
	v_xor_b32_e32 v11, s13, v10
	v_xor_b32_e32 v10, s12, v10
	v_and_b32_e32 v8, v8, v11
	v_lshlrev_b32_e32 v11, 24, v29
	v_and_b32_e32 v30, v30, v10
	v_mov_b32_e32 v10, v9
	v_not_b32_e32 v9, v11
	v_cmp_gt_i64_e64 s[12:13], 0, v[10:11]
	v_ashrrev_i32_e32 v9, 31, v9
	v_add_u32_e32 v29, v25, v31
	v_xor_b32_e32 v10, s13, v9
	v_xor_b32_e32 v11, s12, v9
	v_and_b32_e32 v9, v8, v10
	v_and_b32_e32 v8, v30, v11
	v_mbcnt_lo_u32_b32 v10, v8, 0
	v_mbcnt_hi_u32_b32 v30, v9, v10
	v_cmp_eq_u32_e64 s[12:13], 0, v30
	v_cmp_ne_u64_e64 s[14:15], 0, v[8:9]
	s_and_b64 s[14:15], s[14:15], s[12:13]
	; wave barrier
	s_and_saveexec_b64 s[12:13], s[14:15]
	s_cbranch_execz .LBB24_21
; %bb.20:
	v_bcnt_u32_b32 v8, v8, 0
	v_bcnt_u32_b32 v8, v9, v8
	s_waitcnt lgkmcnt(0)
	v_add_u32_e32 v8, v27, v8
	ds_write_b32 v29, v8 offset:32
.LBB24_21:
	s_or_b64 exec, exec, s[12:13]
	v_lshrrev_b32_e32 v8, s44, v23
	v_and_b32_e32 v31, s50, v8
	v_mad_u32_u24 v8, v31, 36, v25
	; wave barrier
	ds_read_b32 v23, v8 offset:32
	v_and_b32_e32 v8, 1, v31
	v_mov_b32_e32 v9, 0
	v_lshl_add_u64 v[10:11], v[8:9], 0, -1
	v_cmp_ne_u32_e64 s[12:13], 0, v8
	v_mul_u32_u24_e32 v32, 36, v31
	v_add_u32_e32 v32, v25, v32
	v_xor_b32_e32 v10, s12, v10
	v_xor_b32_e32 v8, s13, v11
	v_and_b32_e32 v33, exec_lo, v10
	v_lshlrev_b32_e32 v11, 30, v31
	v_mov_b32_e32 v10, v9
	v_cmp_gt_i64_e64 s[12:13], 0, v[10:11]
	v_not_b32_e32 v10, v11
	v_ashrrev_i32_e32 v10, 31, v10
	v_and_b32_e32 v8, exec_hi, v8
	v_xor_b32_e32 v11, s13, v10
	v_xor_b32_e32 v10, s12, v10
	v_and_b32_e32 v8, v8, v11
	v_and_b32_e32 v33, v33, v10
	v_lshlrev_b32_e32 v11, 29, v31
	v_mov_b32_e32 v10, v9
	v_cmp_gt_i64_e64 s[12:13], 0, v[10:11]
	v_not_b32_e32 v10, v11
	v_ashrrev_i32_e32 v10, 31, v10
	v_xor_b32_e32 v11, s13, v10
	v_xor_b32_e32 v10, s12, v10
	v_and_b32_e32 v8, v8, v11
	v_and_b32_e32 v33, v33, v10
	v_lshlrev_b32_e32 v11, 28, v31
	v_mov_b32_e32 v10, v9
	v_cmp_gt_i64_e64 s[12:13], 0, v[10:11]
	v_not_b32_e32 v10, v11
	v_ashrrev_i32_e32 v10, 31, v10
	v_xor_b32_e32 v11, s13, v10
	v_xor_b32_e32 v10, s12, v10
	v_and_b32_e32 v8, v8, v11
	v_and_b32_e32 v33, v33, v10
	v_lshlrev_b32_e32 v11, 27, v31
	v_mov_b32_e32 v10, v9
	v_cmp_gt_i64_e64 s[12:13], 0, v[10:11]
	v_not_b32_e32 v10, v11
	v_ashrrev_i32_e32 v10, 31, v10
	v_xor_b32_e32 v11, s13, v10
	v_xor_b32_e32 v10, s12, v10
	v_and_b32_e32 v8, v8, v11
	v_and_b32_e32 v33, v33, v10
	v_lshlrev_b32_e32 v11, 26, v31
	v_mov_b32_e32 v10, v9
	v_cmp_gt_i64_e64 s[12:13], 0, v[10:11]
	v_not_b32_e32 v10, v11
	v_ashrrev_i32_e32 v10, 31, v10
	v_xor_b32_e32 v11, s13, v10
	v_xor_b32_e32 v10, s12, v10
	v_and_b32_e32 v8, v8, v11
	v_and_b32_e32 v33, v33, v10
	v_lshlrev_b32_e32 v11, 25, v31
	v_mov_b32_e32 v10, v9
	v_cmp_gt_i64_e64 s[12:13], 0, v[10:11]
	v_not_b32_e32 v10, v11
	v_ashrrev_i32_e32 v10, 31, v10
	v_xor_b32_e32 v11, s13, v10
	v_xor_b32_e32 v10, s12, v10
	v_and_b32_e32 v8, v8, v11
	v_and_b32_e32 v33, v33, v10
	v_lshlrev_b32_e32 v11, 24, v31
	v_mov_b32_e32 v10, v9
	v_cmp_gt_i64_e64 s[12:13], 0, v[10:11]
	v_not_b32_e32 v10, v11
	v_ashrrev_i32_e32 v10, 31, v10
	v_xor_b32_e32 v11, s13, v10
	v_xor_b32_e32 v10, s12, v10
	v_and_b32_e32 v10, v33, v10
	v_and_b32_e32 v11, v8, v11
	v_mbcnt_lo_u32_b32 v8, v10, 0
	v_mbcnt_hi_u32_b32 v31, v11, v8
	v_cmp_eq_u32_e64 s[12:13], 0, v31
	v_cmp_ne_u64_e64 s[14:15], 0, v[10:11]
	s_and_b64 s[14:15], s[14:15], s[12:13]
	; wave barrier
	s_and_saveexec_b64 s[12:13], s[14:15]
	s_cbranch_execz .LBB24_23
; %bb.22:
	v_bcnt_u32_b32 v8, v10, 0
	v_bcnt_u32_b32 v8, v11, v8
	s_waitcnt lgkmcnt(0)
	v_add_u32_e32 v8, v23, v8
	ds_write_b32 v32, v8 offset:32
.LBB24_23:
	s_or_b64 exec, exec, s[12:13]
	v_lshrrev_b32_e32 v8, s44, v20
	v_and_b32_e32 v33, s50, v8
	v_mad_u32_u24 v8, v33, 36, v25
	; wave barrier
	ds_read_b32 v20, v8 offset:32
	v_and_b32_e32 v8, 1, v33
	v_lshl_add_u64 v[10:11], v[8:9], 0, -1
	v_cmp_ne_u32_e64 s[12:13], 0, v8
	v_mul_u32_u24_e32 v34, 36, v33
	v_add_u32_e32 v25, v25, v34
	v_xor_b32_e32 v10, s12, v10
	v_xor_b32_e32 v8, s13, v11
	v_and_b32_e32 v35, exec_lo, v10
	v_lshlrev_b32_e32 v11, 30, v33
	v_mov_b32_e32 v10, v9
	v_cmp_gt_i64_e64 s[12:13], 0, v[10:11]
	v_not_b32_e32 v10, v11
	v_ashrrev_i32_e32 v10, 31, v10
	v_and_b32_e32 v8, exec_hi, v8
	v_xor_b32_e32 v11, s13, v10
	v_xor_b32_e32 v10, s12, v10
	v_and_b32_e32 v8, v8, v11
	v_and_b32_e32 v35, v35, v10
	v_lshlrev_b32_e32 v11, 29, v33
	v_mov_b32_e32 v10, v9
	v_cmp_gt_i64_e64 s[12:13], 0, v[10:11]
	v_not_b32_e32 v10, v11
	v_ashrrev_i32_e32 v10, 31, v10
	v_xor_b32_e32 v11, s13, v10
	v_xor_b32_e32 v10, s12, v10
	v_and_b32_e32 v8, v8, v11
	v_and_b32_e32 v35, v35, v10
	v_lshlrev_b32_e32 v11, 28, v33
	v_mov_b32_e32 v10, v9
	v_cmp_gt_i64_e64 s[12:13], 0, v[10:11]
	v_not_b32_e32 v10, v11
	v_ashrrev_i32_e32 v10, 31, v10
	;; [unrolled: 9-line block ×5, first 2 shown]
	v_xor_b32_e32 v11, s13, v10
	v_xor_b32_e32 v10, s12, v10
	v_and_b32_e32 v8, v8, v11
	v_lshlrev_b32_e32 v11, 24, v33
	v_and_b32_e32 v35, v35, v10
	v_mov_b32_e32 v10, v9
	v_not_b32_e32 v9, v11
	v_cmp_gt_i64_e64 s[12:13], 0, v[10:11]
	v_ashrrev_i32_e32 v9, 31, v9
	s_nop 0
	v_xor_b32_e32 v10, s13, v9
	v_xor_b32_e32 v11, s12, v9
	v_and_b32_e32 v9, v8, v10
	v_and_b32_e32 v8, v35, v11
	v_mbcnt_lo_u32_b32 v10, v8, 0
	v_mbcnt_hi_u32_b32 v33, v9, v10
	v_cmp_eq_u32_e64 s[12:13], 0, v33
	v_cmp_ne_u64_e64 s[14:15], 0, v[8:9]
	s_and_b64 s[14:15], s[14:15], s[12:13]
	; wave barrier
	s_and_saveexec_b64 s[12:13], s[14:15]
	s_cbranch_execz .LBB24_25
; %bb.24:
	v_bcnt_u32_b32 v8, v8, 0
	v_bcnt_u32_b32 v8, v9, v8
	s_waitcnt lgkmcnt(0)
	v_add_u32_e32 v8, v20, v8
	ds_write_b32 v25, v8 offset:32
.LBB24_25:
	s_or_b64 exec, exec, s[12:13]
	; wave barrier
	s_waitcnt lgkmcnt(0)
	s_barrier
	ds_read2_b32 v[10:11], v16 offset0:8 offset1:9
	ds_read2_b32 v[8:9], v16 offset0:10 offset1:11
	ds_read_b32 v34, v16 offset:48
	v_min_u32_e32 v15, 0x1c0, v15
	v_or_b32_e32 v15, 63, v15
	s_waitcnt lgkmcnt(1)
	v_add3_u32 v35, v11, v10, v8
	s_waitcnt lgkmcnt(0)
	v_add3_u32 v34, v35, v9, v34
	v_and_b32_e32 v35, 15, v6
	v_cmp_ne_u32_e64 s[12:13], 0, v35
	v_mov_b32_dpp v36, v34 row_shr:1 row_mask:0xf bank_mask:0xf
	s_nop 0
	v_cndmask_b32_e64 v36, 0, v36, s[12:13]
	v_add_u32_e32 v34, v36, v34
	v_cmp_lt_u32_e64 s[12:13], 1, v35
	s_nop 0
	v_mov_b32_dpp v36, v34 row_shr:2 row_mask:0xf bank_mask:0xf
	v_cndmask_b32_e64 v36, 0, v36, s[12:13]
	v_add_u32_e32 v34, v34, v36
	v_cmp_lt_u32_e64 s[12:13], 3, v35
	s_nop 0
	v_mov_b32_dpp v36, v34 row_shr:4 row_mask:0xf bank_mask:0xf
	;; [unrolled: 5-line block ×3, first 2 shown]
	v_cndmask_b32_e64 v35, 0, v36, s[12:13]
	v_add_u32_e32 v34, v34, v35
	v_bfe_i32 v36, v6, 4, 1
	v_cmp_lt_u32_e64 s[12:13], 31, v6
	v_mov_b32_dpp v35, v34 row_bcast:15 row_mask:0xf bank_mask:0xf
	v_and_b32_e32 v35, v36, v35
	v_add_u32_e32 v34, v34, v35
	s_nop 1
	v_mov_b32_dpp v35, v34 row_bcast:31 row_mask:0xf bank_mask:0xf
	v_cndmask_b32_e64 v35, 0, v35, s[12:13]
	v_add_u32_e32 v34, v34, v35
	v_lshrrev_b32_e32 v35, 6, v2
	v_cmp_eq_u32_e64 s[12:13], v2, v15
	s_and_saveexec_b64 s[14:15], s[12:13]
; %bb.26:
	v_lshlrev_b32_e32 v15, 2, v35
	ds_write_b32 v15, v34
; %bb.27:
	s_or_b64 exec, exec, s[14:15]
	v_cmp_gt_u32_e64 s[12:13], 8, v2
	s_waitcnt lgkmcnt(0)
	s_barrier
	s_and_saveexec_b64 s[14:15], s[12:13]
	s_cbranch_execz .LBB24_29
; %bb.28:
	v_lshlrev_b32_e32 v15, 2, v2
	ds_read_b32 v36, v15
	v_and_b32_e32 v37, 7, v6
	v_cmp_ne_u32_e64 s[12:13], 0, v37
	s_waitcnt lgkmcnt(0)
	v_mov_b32_dpp v38, v36 row_shr:1 row_mask:0xf bank_mask:0xf
	v_cndmask_b32_e64 v38, 0, v38, s[12:13]
	v_add_u32_e32 v36, v38, v36
	v_cmp_lt_u32_e64 s[12:13], 1, v37
	s_nop 0
	v_mov_b32_dpp v38, v36 row_shr:2 row_mask:0xf bank_mask:0xf
	v_cndmask_b32_e64 v38, 0, v38, s[12:13]
	v_add_u32_e32 v36, v36, v38
	v_cmp_lt_u32_e64 s[12:13], 3, v37
	s_nop 0
	v_mov_b32_dpp v38, v36 row_shr:4 row_mask:0xf bank_mask:0xf
	v_cndmask_b32_e64 v37, 0, v38, s[12:13]
	v_add_u32_e32 v36, v36, v37
	ds_write_b32 v15, v36
.LBB24_29:
	s_or_b64 exec, exec, s[14:15]
	v_cmp_lt_u32_e64 s[12:13], 63, v2
	v_mov_b32_e32 v15, 0
	s_waitcnt lgkmcnt(0)
	s_barrier
	s_and_saveexec_b64 s[14:15], s[12:13]
; %bb.30:
	v_lshl_add_u32 v15, v35, 2, -4
	ds_read_b32 v15, v15
; %bb.31:
	s_or_b64 exec, exec, s[14:15]
	v_add_u32_e32 v35, -1, v6
	v_and_b32_e32 v36, 64, v6
	v_cmp_lt_i32_e64 s[12:13], v35, v36
	s_waitcnt lgkmcnt(0)
	v_add_u32_e32 v34, v15, v34
	s_movk_i32 s16, 0x100
	v_cndmask_b32_e64 v35, v35, v6, s[12:13]
	v_lshlrev_b32_e32 v35, 2, v35
	ds_bpermute_b32 v34, v35, v34
	v_cmp_eq_u32_e64 s[12:13], 0, v6
	v_cmp_gt_u32_e64 s[14:15], s16, v2
	s_waitcnt lgkmcnt(0)
	v_cndmask_b32_e64 v15, v34, v15, s[12:13]
	v_cmp_ne_u32_e64 s[12:13], 0, v2
	s_nop 1
	v_cndmask_b32_e64 v15, 0, v15, s[12:13]
	v_add_u32_e32 v10, v15, v10
	v_add_u32_e32 v11, v10, v11
	;; [unrolled: 1-line block ×4, first 2 shown]
	ds_write2_b32 v16, v15, v10 offset0:8 offset1:9
	ds_write2_b32 v16, v11, v8 offset0:10 offset1:11
	ds_write_b32 v16, v9 offset:48
	s_waitcnt lgkmcnt(0)
	s_barrier
	ds_read_b32 v11, v19 offset:32
	ds_read_b32 v15, v24 offset:32
	;; [unrolled: 1-line block ×6, first 2 shown]
	s_movk_i32 s12, 0xff
	v_cmp_lt_u32_e64 s[12:13], s12, v2
	v_mov_b64_e32 v[8:9], 0
                                        ; implicit-def: $vgpr10
	s_and_saveexec_b64 s[18:19], s[14:15]
	s_cbranch_execz .LBB24_35
; %bb.32:
	v_mul_u32_u24_e32 v8, 36, v2
	ds_read_b32 v8, v8 offset:32
	v_add_u32_e32 v10, 1, v2
	v_cmp_ne_u32_e64 s[16:17], s16, v10
	v_mov_b32_e32 v9, 0xc00
	s_and_saveexec_b64 s[20:21], s[16:17]
; %bb.33:
	v_mul_u32_u24_e32 v9, 36, v10
	ds_read_b32 v9, v9 offset:32
; %bb.34:
	s_or_b64 exec, exec, s[20:21]
	s_waitcnt lgkmcnt(0)
	v_sub_u32_e32 v10, v9, v8
	v_mov_b32_e32 v9, 0
.LBB24_35:
	s_or_b64 exec, exec, s[18:19]
	s_waitcnt lgkmcnt(5)
	v_add_u32_e32 v29, v11, v17
	s_waitcnt lgkmcnt(4)
	v_add3_u32 v28, v21, v18, v15
	s_waitcnt lgkmcnt(3)
	v_add3_u32 v25, v26, v22, v16
	;; [unrolled: 2-line block ×5, first 2 shown]
	s_barrier
	ds_write_b8 v29, v5 offset:2048
	ds_write_b8 v28, v3 offset:2048
	;; [unrolled: 1-line block ×6, first 2 shown]
	v_mov_b32_e32 v13, 0
	v_mov_b32_e32 v3, v13
	v_lshlrev_b32_e32 v11, 3, v2
	s_waitcnt lgkmcnt(0)
	s_barrier
	s_and_saveexec_b64 s[16:17], s[14:15]
	s_cbranch_execz .LBB24_45
; %bb.36:
	v_lshl_add_u32 v12, s2, 8, v2
	v_lshl_add_u64 v[14:15], v[12:13], 2, s[48:49]
	v_or_b32_e32 v5, 2.0, v10
	global_store_dword v[14:15], v5, off sc1
	s_mov_b64 s[18:19], 0
	s_brev_b32 s24, -4
	s_mov_b32 s25, s2
	v_mov_b32_e32 v5, 0
                                        ; implicit-def: $sgpr14_sgpr15
	s_branch .LBB24_39
.LBB24_37:                              ;   in Loop: Header=BB24_39 Depth=1
	s_or_b64 exec, exec, s[22:23]
.LBB24_38:                              ;   in Loop: Header=BB24_39 Depth=1
	s_or_b64 exec, exec, s[20:21]
	v_and_b32_e32 v12, 0x3fffffff, v7
	v_add_u32_e32 v5, v12, v5
	v_cmp_gt_i32_e64 s[14:15], -2.0, v7
	s_and_b64 s[20:21], exec, s[14:15]
	s_or_b64 s[18:19], s[20:21], s[18:19]
	s_andn2_b64 exec, exec, s[18:19]
	s_cbranch_execz .LBB24_44
.LBB24_39:                              ; =>This Loop Header: Depth=1
                                        ;     Child Loop BB24_42 Depth 2
	s_or_b64 s[14:15], s[14:15], exec
	s_cmp_eq_u32 s25, 0
	s_cbranch_scc1 .LBB24_43
; %bb.40:                               ;   in Loop: Header=BB24_39 Depth=1
	s_add_i32 s25, s25, -1
	v_lshl_or_b32 v12, s25, 8, v2
	v_lshl_add_u64 v[16:17], v[12:13], 2, s[48:49]
	global_load_dword v7, v[16:17], off sc1
	s_waitcnt vmcnt(0)
	v_cmp_gt_u32_e64 s[14:15], 2.0, v7
	s_and_saveexec_b64 s[20:21], s[14:15]
	s_cbranch_execz .LBB24_38
; %bb.41:                               ;   in Loop: Header=BB24_39 Depth=1
	s_mov_b64 s[22:23], 0
.LBB24_42:                              ;   Parent Loop BB24_39 Depth=1
                                        ; =>  This Inner Loop Header: Depth=2
	global_load_dword v7, v[16:17], off sc1
	s_waitcnt vmcnt(0)
	v_cmp_lt_u32_e64 s[14:15], s24, v7
	s_or_b64 s[22:23], s[14:15], s[22:23]
	s_andn2_b64 exec, exec, s[22:23]
	s_cbranch_execnz .LBB24_42
	s_branch .LBB24_37
.LBB24_43:                              ;   in Loop: Header=BB24_39 Depth=1
                                        ; implicit-def: $sgpr25
	s_and_b64 s[20:21], exec, s[14:15]
	s_or_b64 s[18:19], s[20:21], s[18:19]
	s_andn2_b64 exec, exec, s[18:19]
	s_cbranch_execnz .LBB24_39
.LBB24_44:
	s_or_b64 exec, exec, s[18:19]
	v_add_u32_e32 v12, v5, v10
	v_or_b32_e32 v12, 0x80000000, v12
	v_lshlrev_b32_e32 v7, 3, v2
	global_store_dword v[14:15], v12, off sc1
	global_load_dwordx2 v[12:13], v7, s[28:29]
	v_sub_co_u32_e64 v14, s[14:15], v5, v8
	s_nop 1
	v_subb_co_u32_e64 v15, s[14:15], 0, v9, s[14:15]
	s_waitcnt vmcnt(0)
	v_lshl_add_u64 v[12:13], v[14:15], 0, v[12:13]
	ds_write_b64 v11, v[12:13]
.LBB24_45:
	s_or_b64 exec, exec, s[16:17]
	v_cmp_gt_u32_e64 s[22:23], s33, v2
	s_waitcnt lgkmcnt(0)
	s_barrier
	s_and_saveexec_b64 s[14:15], s[22:23]
	s_cbranch_execz .LBB24_47
; %bb.46:
	ds_read_u8 v5, v2 offset:2048
	s_waitcnt lgkmcnt(0)
	v_lshrrev_b32_sdwa v7, s44, v5 dst_sel:DWORD dst_unused:UNUSED_PAD src0_sel:DWORD src1_sel:BYTE_0
	v_and_b32_e32 v7, s50, v7
	v_lshlrev_b32_e32 v7, 3, v7
	ds_read_b64 v[12:13], v7
	s_waitcnt lgkmcnt(0)
	v_lshl_add_u64 v[12:13], s[38:39], 0, v[12:13]
	v_lshl_add_u64 v[12:13], v[12:13], 0, v[2:3]
	global_store_byte v[12:13], v5, off
.LBB24_47:
	s_or_b64 exec, exec, s[14:15]
	v_add_u32_e32 v32, 0x200, v2
	v_cmp_gt_u32_e64 s[24:25], s33, v32
	s_and_saveexec_b64 s[14:15], s[24:25]
	s_cbranch_execz .LBB24_49
; %bb.48:
	ds_read_u8 v5, v2 offset:2560
	s_waitcnt lgkmcnt(0)
	v_lshrrev_b32_sdwa v7, s44, v5 dst_sel:DWORD dst_unused:UNUSED_PAD src0_sel:DWORD src1_sel:BYTE_0
	v_and_b32_e32 v7, s50, v7
	v_lshlrev_b32_e32 v7, 3, v7
	ds_read_b64 v[12:13], v7
	s_waitcnt lgkmcnt(0)
	v_lshl_add_u64 v[12:13], s[38:39], 0, v[12:13]
	v_lshl_add_u64 v[12:13], v[12:13], 0, v[2:3]
	global_store_byte v[12:13], v5, off offset:512
.LBB24_49:
	s_or_b64 exec, exec, s[14:15]
	v_or_b32_e32 v31, 0x400, v2
	v_cmp_gt_u32_e64 s[20:21], s33, v31
	s_and_saveexec_b64 s[14:15], s[20:21]
	s_cbranch_execz .LBB24_51
; %bb.50:
	ds_read_u8 v5, v2 offset:3072
	s_waitcnt lgkmcnt(0)
	v_lshrrev_b32_sdwa v7, s44, v5 dst_sel:DWORD dst_unused:UNUSED_PAD src0_sel:DWORD src1_sel:BYTE_0
	v_and_b32_e32 v7, s50, v7
	v_lshlrev_b32_e32 v7, 3, v7
	ds_read_b64 v[12:13], v7
	s_waitcnt lgkmcnt(0)
	v_lshl_add_u64 v[12:13], s[38:39], 0, v[12:13]
	v_lshl_add_u64 v[12:13], v[12:13], 0, v[2:3]
	global_store_byte v[12:13], v5, off offset:1024
.LBB24_51:
	s_or_b64 exec, exec, s[14:15]
	v_add_u32_e32 v30, 0x600, v2
	v_cmp_gt_u32_e64 s[18:19], s33, v30
	s_and_saveexec_b64 s[14:15], s[18:19]
	s_cbranch_execz .LBB24_53
; %bb.52:
	ds_read_u8 v5, v2 offset:3584
	s_waitcnt lgkmcnt(0)
	v_lshrrev_b32_sdwa v7, s44, v5 dst_sel:DWORD dst_unused:UNUSED_PAD src0_sel:DWORD src1_sel:BYTE_0
	v_and_b32_e32 v7, s50, v7
	v_lshlrev_b32_e32 v7, 3, v7
	ds_read_b64 v[12:13], v7
	s_waitcnt lgkmcnt(0)
	v_lshl_add_u64 v[12:13], s[38:39], 0, v[12:13]
	v_lshl_add_u64 v[12:13], v[12:13], 0, v[2:3]
	global_store_byte v[12:13], v5, off offset:1536
.LBB24_53:
	s_or_b64 exec, exec, s[14:15]
	v_or_b32_e32 v27, 0x800, v2
	v_cmp_gt_u32_e64 s[16:17], s33, v27
	s_and_saveexec_b64 s[14:15], s[16:17]
	s_cbranch_execz .LBB24_55
; %bb.54:
	ds_read_u8 v5, v2 offset:4096
	s_waitcnt lgkmcnt(0)
	v_lshrrev_b32_sdwa v7, s44, v5 dst_sel:DWORD dst_unused:UNUSED_PAD src0_sel:DWORD src1_sel:BYTE_0
	v_and_b32_e32 v7, s50, v7
	v_lshlrev_b32_e32 v7, 3, v7
	ds_read_b64 v[12:13], v7
	s_waitcnt lgkmcnt(0)
	v_lshl_add_u64 v[12:13], s[38:39], 0, v[12:13]
	v_lshl_add_u64 v[12:13], v[12:13], 0, v[2:3]
	global_store_byte v[12:13], v5, off offset:2048
.LBB24_55:
	s_or_b64 exec, exec, s[14:15]
	v_add_u32_e32 v26, 0xa00, v2
	v_cmp_gt_u32_e64 s[14:15], s33, v26
	s_and_saveexec_b64 s[46:47], s[14:15]
	s_cbranch_execz .LBB24_57
; %bb.56:
	ds_read_u8 v5, v2 offset:4608
	s_waitcnt lgkmcnt(0)
	v_lshrrev_b32_sdwa v7, s44, v5 dst_sel:DWORD dst_unused:UNUSED_PAD src0_sel:DWORD src1_sel:BYTE_0
	v_and_b32_e32 v7, s50, v7
	v_lshlrev_b32_e32 v7, 3, v7
	ds_read_b64 v[12:13], v7
	s_waitcnt lgkmcnt(0)
	v_lshl_add_u64 v[12:13], s[38:39], 0, v[12:13]
	v_lshl_add_u64 v[12:13], v[12:13], 0, v[2:3]
	global_store_byte v[12:13], v5, off offset:2560
.LBB24_57:
	s_or_b64 exec, exec, s[46:47]
	s_lshl_b64 s[46:47], s[34:35], 3
	s_add_u32 s46, s40, s46
	s_addc_u32 s47, s41, s47
	v_lshlrev_b32_e32 v6, 3, v6
	v_mov_b32_e32 v7, 0
	v_lshl_add_u64 v[12:13], s[46:47], 0, v[6:7]
	v_lshlrev_b32_e32 v6, 3, v4
	v_lshl_add_u64 v[20:21], v[12:13], 0, v[6:7]
                                        ; implicit-def: $vgpr4_vgpr5
	s_and_saveexec_b64 s[46:47], vcc
	s_xor_b64 s[46:47], exec, s[46:47]
	s_cbranch_execz .LBB24_63
; %bb.58:
	global_load_dwordx2 v[4:5], v[20:21], off
	s_or_b64 exec, exec, s[46:47]
                                        ; implicit-def: $vgpr6_vgpr7
	s_and_saveexec_b64 s[46:47], s[26:27]
	s_cbranch_execnz .LBB24_64
.LBB24_59:
	s_or_b64 exec, exec, s[46:47]
                                        ; implicit-def: $vgpr12_vgpr13
	s_and_saveexec_b64 s[26:27], s[4:5]
	s_cbranch_execz .LBB24_65
.LBB24_60:
	global_load_dwordx2 v[12:13], v[20:21], off offset:1024
	s_or_b64 exec, exec, s[26:27]
                                        ; implicit-def: $vgpr14_vgpr15
	s_and_saveexec_b64 s[4:5], s[6:7]
	s_cbranch_execnz .LBB24_66
.LBB24_61:
	s_or_b64 exec, exec, s[4:5]
                                        ; implicit-def: $vgpr16_vgpr17
	s_and_saveexec_b64 s[4:5], s[8:9]
	s_cbranch_execz .LBB24_67
.LBB24_62:
	global_load_dwordx2 v[16:17], v[20:21], off offset:2048
	s_or_b64 exec, exec, s[4:5]
                                        ; implicit-def: $vgpr18_vgpr19
	s_and_saveexec_b64 s[4:5], s[10:11]
	s_cbranch_execnz .LBB24_68
	s_branch .LBB24_69
.LBB24_63:
	s_or_b64 exec, exec, s[46:47]
                                        ; implicit-def: $vgpr6_vgpr7
	s_and_saveexec_b64 s[46:47], s[26:27]
	s_cbranch_execz .LBB24_59
.LBB24_64:
	global_load_dwordx2 v[6:7], v[20:21], off offset:512
	s_or_b64 exec, exec, s[46:47]
                                        ; implicit-def: $vgpr12_vgpr13
	s_and_saveexec_b64 s[26:27], s[4:5]
	s_cbranch_execnz .LBB24_60
.LBB24_65:
	s_or_b64 exec, exec, s[26:27]
                                        ; implicit-def: $vgpr14_vgpr15
	s_and_saveexec_b64 s[4:5], s[6:7]
	s_cbranch_execz .LBB24_61
.LBB24_66:
	global_load_dwordx2 v[14:15], v[20:21], off offset:1536
	s_or_b64 exec, exec, s[4:5]
                                        ; implicit-def: $vgpr16_vgpr17
	s_and_saveexec_b64 s[4:5], s[8:9]
	s_cbranch_execnz .LBB24_62
.LBB24_67:
	s_or_b64 exec, exec, s[4:5]
                                        ; implicit-def: $vgpr18_vgpr19
	s_and_saveexec_b64 s[4:5], s[10:11]
	s_cbranch_execz .LBB24_69
.LBB24_68:
	global_load_dwordx2 v[18:19], v[20:21], off offset:2560
.LBB24_69:
	s_or_b64 exec, exec, s[4:5]
	v_mov_b32_e32 v34, 0
	v_mov_b32_e32 v3, 0
	s_and_saveexec_b64 s[4:5], s[22:23]
	s_cbranch_execz .LBB24_71
; %bb.70:
	ds_read_u8 v3, v2 offset:2048
	s_waitcnt lgkmcnt(0)
	v_lshrrev_b32_e32 v3, s44, v3
	v_and_b32_e32 v3, s50, v3
.LBB24_71:
	s_or_b64 exec, exec, s[4:5]
	s_and_saveexec_b64 s[4:5], s[24:25]
	s_cbranch_execz .LBB24_73
; %bb.72:
	ds_read_u8 v20, v2 offset:2560
	s_waitcnt lgkmcnt(0)
	v_lshrrev_b32_e32 v20, s44, v20
	v_and_b32_e32 v34, s50, v20
.LBB24_73:
	s_or_b64 exec, exec, s[4:5]
	v_mov_b32_e32 v21, 0
	v_mov_b32_e32 v35, 0
	s_and_saveexec_b64 s[4:5], s[20:21]
	s_cbranch_execz .LBB24_75
; %bb.74:
	ds_read_u8 v20, v2 offset:3072
	s_waitcnt lgkmcnt(0)
	v_lshrrev_b32_e32 v20, s44, v20
	v_and_b32_e32 v35, s50, v20
.LBB24_75:
	s_or_b64 exec, exec, s[4:5]
	s_and_saveexec_b64 s[4:5], s[18:19]
	s_cbranch_execz .LBB24_77
; %bb.76:
	ds_read_u8 v20, v2 offset:3584
	s_waitcnt lgkmcnt(0)
	v_lshrrev_b32_e32 v20, s44, v20
	v_and_b32_e32 v21, s50, v20
.LBB24_77:
	s_or_b64 exec, exec, s[4:5]
	v_mov_b32_e32 v20, 0
	v_mov_b32_e32 v33, 0
	s_and_saveexec_b64 s[4:5], s[16:17]
	s_cbranch_execz .LBB24_79
; %bb.78:
	ds_read_u8 v33, v2 offset:4096
	s_waitcnt lgkmcnt(0)
	v_lshrrev_b32_e32 v33, s44, v33
	v_and_b32_e32 v33, s50, v33
.LBB24_79:
	s_or_b64 exec, exec, s[4:5]
	s_and_saveexec_b64 s[4:5], s[14:15]
	s_cbranch_execz .LBB24_81
; %bb.80:
	ds_read_u8 v20, v2 offset:4608
	s_waitcnt lgkmcnt(0)
	v_lshrrev_b32_e32 v20, s44, v20
	v_and_b32_e32 v20, s50, v20
.LBB24_81:
	s_or_b64 exec, exec, s[4:5]
	v_lshlrev_b32_e32 v29, 3, v29
	s_barrier
	s_waitcnt vmcnt(0)
	ds_write_b64 v29, v[4:5] offset:2048
	v_lshlrev_b32_e32 v4, 3, v28
	ds_write_b64 v4, v[6:7] offset:2048
	v_lshlrev_b32_e32 v4, 3, v25
	;; [unrolled: 2-line block ×5, first 2 shown]
	v_lshlrev_b32_e32 v2, 3, v2
	ds_write_b64 v4, v[18:19] offset:2048
	s_waitcnt lgkmcnt(0)
	s_barrier
	s_and_saveexec_b64 s[4:5], s[22:23]
	s_cbranch_execz .LBB24_87
; %bb.82:
	v_lshlrev_b32_e32 v3, 3, v3
	ds_read_b64 v[4:5], v3
	ds_read_b64 v[6:7], v11 offset:2048
	v_mov_b32_e32 v3, 0
	s_waitcnt lgkmcnt(1)
	v_lshl_add_u64 v[4:5], v[4:5], 3, s[42:43]
	v_lshl_add_u64 v[4:5], v[4:5], 0, v[2:3]
	s_waitcnt lgkmcnt(0)
	global_store_dwordx2 v[4:5], v[6:7], off
	s_or_b64 exec, exec, s[4:5]
	s_and_saveexec_b64 s[4:5], s[24:25]
	s_cbranch_execnz .LBB24_88
.LBB24_83:
	s_or_b64 exec, exec, s[4:5]
	s_and_saveexec_b64 s[4:5], s[20:21]
	s_cbranch_execz .LBB24_89
.LBB24_84:
	v_lshlrev_b32_e32 v3, 3, v35
	ds_read_b64 v[4:5], v3
	ds_read_b64 v[6:7], v11 offset:10240
	v_lshlrev_b32_e32 v12, 3, v31
	v_mov_b32_e32 v13, 0
	s_waitcnt lgkmcnt(1)
	v_lshl_add_u64 v[4:5], v[4:5], 3, s[42:43]
	v_lshl_add_u64 v[4:5], v[4:5], 0, v[12:13]
	s_waitcnt lgkmcnt(0)
	global_store_dwordx2 v[4:5], v[6:7], off
	s_or_b64 exec, exec, s[4:5]
	s_and_saveexec_b64 s[4:5], s[18:19]
	s_cbranch_execnz .LBB24_90
.LBB24_85:
	s_or_b64 exec, exec, s[4:5]
	s_and_saveexec_b64 s[4:5], s[16:17]
	s_cbranch_execz .LBB24_91
.LBB24_86:
	v_lshlrev_b32_e32 v3, 3, v33
	ds_read_b64 v[4:5], v3
	ds_read_b64 v[6:7], v11 offset:18432
	v_lshlrev_b32_e32 v12, 3, v27
	v_mov_b32_e32 v13, 0
	s_waitcnt lgkmcnt(1)
	v_lshl_add_u64 v[4:5], v[4:5], 3, s[42:43]
	v_lshl_add_u64 v[4:5], v[4:5], 0, v[12:13]
	s_waitcnt lgkmcnt(0)
	global_store_dwordx2 v[4:5], v[6:7], off
	s_or_b64 exec, exec, s[4:5]
	s_and_saveexec_b64 s[4:5], s[14:15]
	s_cbranch_execnz .LBB24_92
	s_branch .LBB24_93
.LBB24_87:
	s_or_b64 exec, exec, s[4:5]
	s_and_saveexec_b64 s[4:5], s[24:25]
	s_cbranch_execz .LBB24_83
.LBB24_88:
	v_lshlrev_b32_e32 v3, 3, v34
	ds_read_b64 v[4:5], v3
	ds_read_b64 v[6:7], v11 offset:6144
	v_lshlrev_b32_e32 v12, 3, v32
	v_mov_b32_e32 v13, 0
	s_waitcnt lgkmcnt(1)
	v_lshl_add_u64 v[4:5], v[4:5], 3, s[42:43]
	v_lshl_add_u64 v[4:5], v[4:5], 0, v[12:13]
	s_waitcnt lgkmcnt(0)
	global_store_dwordx2 v[4:5], v[6:7], off
	s_or_b64 exec, exec, s[4:5]
	s_and_saveexec_b64 s[4:5], s[20:21]
	s_cbranch_execnz .LBB24_84
.LBB24_89:
	s_or_b64 exec, exec, s[4:5]
	s_and_saveexec_b64 s[4:5], s[18:19]
	s_cbranch_execz .LBB24_85
.LBB24_90:
	v_lshlrev_b32_e32 v3, 3, v21
	ds_read_b64 v[4:5], v3
	ds_read_b64 v[6:7], v11 offset:14336
	v_lshlrev_b32_e32 v12, 3, v30
	v_mov_b32_e32 v13, 0
	s_waitcnt lgkmcnt(1)
	v_lshl_add_u64 v[4:5], v[4:5], 3, s[42:43]
	v_lshl_add_u64 v[4:5], v[4:5], 0, v[12:13]
	s_waitcnt lgkmcnt(0)
	global_store_dwordx2 v[4:5], v[6:7], off
	s_or_b64 exec, exec, s[4:5]
	s_and_saveexec_b64 s[4:5], s[16:17]
	s_cbranch_execnz .LBB24_86
.LBB24_91:
	s_or_b64 exec, exec, s[4:5]
	s_and_saveexec_b64 s[4:5], s[14:15]
	s_cbranch_execz .LBB24_93
.LBB24_92:
	v_lshlrev_b32_e32 v3, 3, v20
	ds_read_b64 v[4:5], v3
	ds_read_b64 v[6:7], v11 offset:22528
	v_lshlrev_b32_e32 v12, 3, v26
	v_mov_b32_e32 v13, 0
	s_waitcnt lgkmcnt(1)
	v_lshl_add_u64 v[4:5], v[4:5], 3, s[42:43]
	v_lshl_add_u64 v[4:5], v[4:5], 0, v[12:13]
	s_waitcnt lgkmcnt(0)
	global_store_dwordx2 v[4:5], v[6:7], off
.LBB24_93:
	s_or_b64 exec, exec, s[4:5]
	s_add_i32 s3, s3, -1
	s_cmp_eq_u32 s2, s3
	s_cselect_b64 s[4:5], -1, 0
	s_xor_b64 s[6:7], s[12:13], -1
	s_and_b64 s[6:7], s[6:7], s[4:5]
	s_and_saveexec_b64 s[4:5], s[6:7]
	s_cbranch_execz .LBB24_95
; %bb.94:
	ds_read_b64 v[4:5], v11
	v_mov_b32_e32 v11, 0
	v_lshl_add_u64 v[6:7], v[8:9], 0, v[10:11]
	s_waitcnt lgkmcnt(0)
	v_lshl_add_u64 v[4:5], v[6:7], 0, v[4:5]
	global_store_dwordx2 v2, v[4:5], s[30:31]
.LBB24_95:
	s_or_b64 exec, exec, s[4:5]
	s_mov_b64 s[4:5], 0
.LBB24_96:
	s_and_b64 vcc, exec, s[4:5]
	s_cbranch_vccz .LBB24_131
; %bb.97:
	s_add_u32 s4, s36, s34
	s_addc_u32 s5, s37, 0
	v_mbcnt_hi_u32_b32 v6, -1, v1
	v_and_b32_e32 v15, 0x1c0, v0
	v_mov_b32_e32 v7, 0
	v_mul_u32_u24_e32 v4, 6, v15
	v_lshl_add_u64 v[2:3], s[4:5], 0, v[6:7]
	v_mov_b32_e32 v5, v7
	v_lshl_add_u64 v[8:9], v[2:3], 0, v[4:5]
	global_load_ubyte v3, v[8:9], off
	s_load_dword s4, s[0:1], 0x5c
	s_load_dword s3, s[0:1], 0x50
	s_add_u32 s0, s0, 0x50
	s_addc_u32 s1, s1, 0
	v_and_b32_e32 v2, 0x3ff, v0
	s_waitcnt lgkmcnt(0)
	s_lshr_b32 s4, s4, 16
	s_cmp_lt_u32 s2, s3
	s_cselect_b32 s5, 12, 18
	s_add_u32 s0, s0, s5
	s_addc_u32 s1, s1, 0
	global_load_ushort v26, v7, s[0:1]
	v_mul_u32_u24_e32 v5, 20, v2
	ds_write2_b32 v5, v7, v7 offset0:8 offset1:9
	ds_write2_b32 v5, v7, v7 offset0:10 offset1:11
	ds_write_b32 v5, v7 offset:48
	global_load_ubyte v10, v[8:9], off offset:64
	global_load_ubyte v11, v[8:9], off offset:128
	;; [unrolled: 1-line block ×5, first 2 shown]
	v_bfe_u32 v17, v0, 10, 10
	v_bfe_u32 v0, v0, 20, 10
	v_mad_u32_u24 v27, v0, s4, v17
	s_lshl_b32 s0, -1, s45
	v_mov_b32_e32 v1, v7
	v_mov_b32_e32 v16, v7
	;; [unrolled: 1-line block ×5, first 2 shown]
	s_not_b32 s12, s0
	v_mov_b32_e32 v24, v7
	s_mov_b32 s35, 0
	s_waitcnt lgkmcnt(0)
	s_barrier
	s_waitcnt vmcnt(6)
	; wave barrier
	v_lshrrev_b32_sdwa v0, s44, v3 dst_sel:DWORD dst_unused:UNUSED_PAD src0_sel:DWORD src1_sel:BYTE_0
	v_bitop3_b32 v28, v0, s0, v0 bitop3:0x30
	v_and_b32_e32 v0, 1, v28
	v_lshlrev_b32_e32 v17, 30, v28
	v_lshlrev_b32_e32 v19, 29, v28
	v_lshl_add_u64 v[8:9], v[0:1], 0, -1
	v_cmp_ne_u32_e32 vcc, 0, v0
	v_not_b32_e32 v0, v17
	v_not_b32_e32 v1, v19
	v_lshlrev_b32_e32 v21, 28, v28
	v_lshlrev_b32_e32 v23, 27, v28
	v_cmp_gt_i64_e64 s[0:1], 0, v[16:17]
	v_cmp_gt_i64_e64 s[4:5], 0, v[18:19]
	v_xor_b32_e32 v9, vcc_hi, v9
	v_xor_b32_e32 v8, vcc_lo, v8
	v_ashrrev_i32_e32 v0, 31, v0
	v_ashrrev_i32_e32 v1, 31, v1
	v_cmp_gt_i64_e64 s[6:7], 0, v[20:21]
	v_not_b32_e32 v16, v21
	v_cmp_gt_i64_e64 s[8:9], 0, v[22:23]
	v_and_b32_e32 v9, exec_hi, v9
	v_and_b32_e32 v8, exec_lo, v8
	v_xor_b32_e32 v19, s1, v0
	v_xor_b32_e32 v20, s0, v0
	;; [unrolled: 1-line block ×4, first 2 shown]
	s_waitcnt vmcnt(5)
	v_mad_u64_u32 v[0:1], s[0:1], v27, v26, v[2:3]
	v_lshlrev_b32_e32 v25, 26, v28
	v_not_b32_e32 v17, v23
	v_ashrrev_i32_e32 v16, 31, v16
	v_and_b32_e32 v1, v9, v19
	v_and_b32_e32 v8, v8, v20
	v_not_b32_e32 v18, v25
	v_ashrrev_i32_e32 v17, 31, v17
	v_xor_b32_e32 v23, s7, v16
	v_xor_b32_e32 v16, s6, v16
	v_lshrrev_b32_e32 v0, 4, v0
	v_and_b32_e32 v1, v1, v21
	v_and_b32_e32 v8, v8, v22
	v_cmp_gt_i64_e64 s[10:11], 0, v[24:25]
	v_xor_b32_e32 v24, s9, v17
	v_xor_b32_e32 v17, s8, v17
	v_and_b32_e32 v20, 0xffffffc, v0
	v_and_b32_e32 v0, v1, v23
	;; [unrolled: 1-line block ×3, first 2 shown]
	v_ashrrev_i32_e32 v8, 31, v18
	v_and_b32_e32 v0, v0, v24
	v_and_b32_e32 v1, v1, v17
	v_xor_b32_e32 v9, s11, v8
	v_xor_b32_e32 v8, s10, v8
	v_and_b32_e32 v9, v0, v9
	v_and_b32_e32 v8, v1, v8
	v_lshlrev_b32_e32 v1, 25, v28
	v_mov_b32_e32 v0, v7
	v_cmp_gt_i64_e32 vcc, 0, v[0:1]
	v_not_b32_e32 v0, v1
	v_ashrrev_i32_e32 v0, 31, v0
	v_xor_b32_e32 v1, vcc_hi, v0
	v_xor_b32_e32 v0, vcc_lo, v0
	v_and_b32_e32 v9, v9, v1
	v_and_b32_e32 v8, v8, v0
	v_lshlrev_b32_e32 v1, 24, v28
	v_mov_b32_e32 v0, v7
	v_cmp_gt_i64_e32 vcc, 0, v[0:1]
	v_not_b32_e32 v0, v1
	v_ashrrev_i32_e32 v0, 31, v0
	v_xor_b32_e32 v1, vcc_hi, v0
	v_xor_b32_e32 v0, vcc_lo, v0
	v_and_b32_e32 v0, v8, v0
	v_and_b32_e32 v1, v9, v1
	v_mbcnt_lo_u32_b32 v8, v0, 0
	v_mbcnt_hi_u32_b32 v16, v1, v8
	v_mul_u32_u24_e32 v29, 36, v28
	v_cmp_eq_u32_e32 vcc, 0, v16
	v_cmp_ne_u64_e64 s[0:1], 0, v[0:1]
	s_and_b64 s[4:5], s[0:1], vcc
	v_add_u32_e32 v18, v20, v29
	s_and_saveexec_b64 s[0:1], s[4:5]
; %bb.98:
	v_bcnt_u32_b32 v0, v0, 0
	v_bcnt_u32_b32 v0, v1, v0
	ds_write_b32 v18, v0 offset:32
; %bb.99:
	s_or_b64 exec, exec, s[0:1]
	s_waitcnt vmcnt(4)
	v_lshrrev_b32_sdwa v0, s44, v10 dst_sel:DWORD dst_unused:UNUSED_PAD src0_sel:DWORD src1_sel:BYTE_0
	v_and_b32_e32 v19, s12, v0
	v_mad_u32_u24 v0, v19, 36, v20
	; wave barrier
	ds_read_b32 v17, v0 offset:32
	v_and_b32_e32 v0, 1, v19
	v_mov_b32_e32 v1, v7
	v_lshl_add_u64 v[8:9], v[0:1], 0, -1
	v_cmp_ne_u32_e32 vcc, 0, v0
	v_mul_u32_u24_e32 v21, 36, v19
	v_add_u32_e32 v21, v20, v21
	v_xor_b32_e32 v0, vcc_hi, v9
	v_xor_b32_e32 v1, vcc_lo, v8
	v_and_b32_e32 v8, exec_hi, v0
	v_and_b32_e32 v9, exec_lo, v1
	v_lshlrev_b32_e32 v1, 30, v19
	v_mov_b32_e32 v0, v7
	v_cmp_gt_i64_e32 vcc, 0, v[0:1]
	v_not_b32_e32 v0, v1
	v_ashrrev_i32_e32 v0, 31, v0
	v_xor_b32_e32 v1, vcc_hi, v0
	v_xor_b32_e32 v0, vcc_lo, v0
	v_and_b32_e32 v8, v8, v1
	v_and_b32_e32 v9, v9, v0
	v_lshlrev_b32_e32 v1, 29, v19
	v_mov_b32_e32 v0, v7
	v_cmp_gt_i64_e32 vcc, 0, v[0:1]
	v_not_b32_e32 v0, v1
	v_ashrrev_i32_e32 v0, 31, v0
	v_xor_b32_e32 v1, vcc_hi, v0
	v_xor_b32_e32 v0, vcc_lo, v0
	v_and_b32_e32 v8, v8, v1
	v_and_b32_e32 v9, v9, v0
	;; [unrolled: 9-line block ×7, first 2 shown]
	v_mbcnt_lo_u32_b32 v7, v0, 0
	v_mbcnt_hi_u32_b32 v7, v1, v7
	v_cmp_eq_u32_e32 vcc, 0, v7
	v_cmp_ne_u64_e64 s[0:1], 0, v[0:1]
	s_and_b64 s[4:5], s[0:1], vcc
	; wave barrier
	s_and_saveexec_b64 s[0:1], s[4:5]
	s_cbranch_execz .LBB24_101
; %bb.100:
	v_bcnt_u32_b32 v0, v0, 0
	v_bcnt_u32_b32 v0, v1, v0
	s_waitcnt lgkmcnt(0)
	v_add_u32_e32 v0, v17, v0
	ds_write_b32 v21, v0 offset:32
.LBB24_101:
	s_or_b64 exec, exec, s[0:1]
	s_waitcnt vmcnt(3)
	v_lshrrev_b32_sdwa v0, s44, v11 dst_sel:DWORD dst_unused:UNUSED_PAD src0_sel:DWORD src1_sel:BYTE_0
	v_and_b32_e32 v22, s12, v0
	v_mad_u32_u24 v0, v22, 36, v20
	; wave barrier
	ds_read_b32 v19, v0 offset:32
	v_and_b32_e32 v0, 1, v22
	v_mov_b32_e32 v1, 0
	v_lshl_add_u64 v[8:9], v[0:1], 0, -1
	v_cmp_ne_u32_e32 vcc, 0, v0
	v_mul_u32_u24_e32 v23, 36, v22
	s_nop 0
	v_xor_b32_e32 v8, vcc_lo, v8
	v_xor_b32_e32 v0, vcc_hi, v9
	v_and_b32_e32 v24, exec_lo, v8
	v_lshlrev_b32_e32 v9, 30, v22
	v_mov_b32_e32 v8, v1
	v_cmp_gt_i64_e32 vcc, 0, v[8:9]
	v_not_b32_e32 v8, v9
	v_ashrrev_i32_e32 v8, 31, v8
	v_and_b32_e32 v0, exec_hi, v0
	v_xor_b32_e32 v9, vcc_hi, v8
	v_xor_b32_e32 v8, vcc_lo, v8
	v_and_b32_e32 v0, v0, v9
	v_and_b32_e32 v24, v24, v8
	v_lshlrev_b32_e32 v9, 29, v22
	v_mov_b32_e32 v8, v1
	v_cmp_gt_i64_e32 vcc, 0, v[8:9]
	v_not_b32_e32 v8, v9
	v_ashrrev_i32_e32 v8, 31, v8
	v_xor_b32_e32 v9, vcc_hi, v8
	v_xor_b32_e32 v8, vcc_lo, v8
	v_and_b32_e32 v0, v0, v9
	v_and_b32_e32 v24, v24, v8
	v_lshlrev_b32_e32 v9, 28, v22
	v_mov_b32_e32 v8, v1
	v_cmp_gt_i64_e32 vcc, 0, v[8:9]
	v_not_b32_e32 v8, v9
	v_ashrrev_i32_e32 v8, 31, v8
	;; [unrolled: 9-line block ×6, first 2 shown]
	v_xor_b32_e32 v9, vcc_hi, v8
	v_xor_b32_e32 v8, vcc_lo, v8
	v_and_b32_e32 v8, v24, v8
	v_and_b32_e32 v9, v0, v9
	v_mbcnt_lo_u32_b32 v0, v8, 0
	v_mbcnt_hi_u32_b32 v22, v9, v0
	v_cmp_eq_u32_e32 vcc, 0, v22
	v_cmp_ne_u64_e64 s[0:1], 0, v[8:9]
	s_and_b64 s[4:5], s[0:1], vcc
	v_add_u32_e32 v24, v20, v23
	; wave barrier
	s_and_saveexec_b64 s[0:1], s[4:5]
	s_cbranch_execz .LBB24_103
; %bb.102:
	v_bcnt_u32_b32 v0, v8, 0
	v_bcnt_u32_b32 v0, v9, v0
	s_waitcnt lgkmcnt(0)
	v_add_u32_e32 v0, v19, v0
	ds_write_b32 v24, v0 offset:32
.LBB24_103:
	s_or_b64 exec, exec, s[0:1]
	s_waitcnt vmcnt(2)
	v_lshrrev_b32_sdwa v0, s44, v12 dst_sel:DWORD dst_unused:UNUSED_PAD src0_sel:DWORD src1_sel:BYTE_0
	v_and_b32_e32 v25, s12, v0
	v_mad_u32_u24 v0, v25, 36, v20
	; wave barrier
	ds_read_b32 v23, v0 offset:32
	v_and_b32_e32 v0, 1, v25
	v_lshl_add_u64 v[8:9], v[0:1], 0, -1
	v_cmp_ne_u32_e32 vcc, 0, v0
	v_mul_u32_u24_e32 v26, 36, v25
	s_nop 0
	v_xor_b32_e32 v8, vcc_lo, v8
	v_xor_b32_e32 v0, vcc_hi, v9
	v_and_b32_e32 v27, exec_lo, v8
	v_lshlrev_b32_e32 v9, 30, v25
	v_mov_b32_e32 v8, v1
	v_cmp_gt_i64_e32 vcc, 0, v[8:9]
	v_not_b32_e32 v8, v9
	v_ashrrev_i32_e32 v8, 31, v8
	v_and_b32_e32 v0, exec_hi, v0
	v_xor_b32_e32 v9, vcc_hi, v8
	v_xor_b32_e32 v8, vcc_lo, v8
	v_and_b32_e32 v0, v0, v9
	v_and_b32_e32 v27, v27, v8
	v_lshlrev_b32_e32 v9, 29, v25
	v_mov_b32_e32 v8, v1
	v_cmp_gt_i64_e32 vcc, 0, v[8:9]
	v_not_b32_e32 v8, v9
	v_ashrrev_i32_e32 v8, 31, v8
	v_xor_b32_e32 v9, vcc_hi, v8
	v_xor_b32_e32 v8, vcc_lo, v8
	v_and_b32_e32 v0, v0, v9
	v_and_b32_e32 v27, v27, v8
	v_lshlrev_b32_e32 v9, 28, v25
	v_mov_b32_e32 v8, v1
	v_cmp_gt_i64_e32 vcc, 0, v[8:9]
	v_not_b32_e32 v8, v9
	v_ashrrev_i32_e32 v8, 31, v8
	;; [unrolled: 9-line block ×5, first 2 shown]
	v_xor_b32_e32 v9, vcc_hi, v8
	v_xor_b32_e32 v8, vcc_lo, v8
	v_and_b32_e32 v0, v0, v9
	v_lshlrev_b32_e32 v9, 24, v25
	v_and_b32_e32 v27, v27, v8
	v_mov_b32_e32 v8, v1
	v_not_b32_e32 v1, v9
	v_cmp_gt_i64_e32 vcc, 0, v[8:9]
	v_ashrrev_i32_e32 v1, 31, v1
	; wave barrier
	s_nop 0
	v_xor_b32_e32 v8, vcc_hi, v1
	v_xor_b32_e32 v9, vcc_lo, v1
	v_and_b32_e32 v1, v0, v8
	v_and_b32_e32 v0, v27, v9
	v_mbcnt_lo_u32_b32 v8, v0, 0
	v_mbcnt_hi_u32_b32 v25, v1, v8
	v_cmp_eq_u32_e32 vcc, 0, v25
	v_cmp_ne_u64_e64 s[0:1], 0, v[0:1]
	s_and_b64 s[4:5], s[0:1], vcc
	v_add_u32_e32 v27, v20, v26
	s_and_saveexec_b64 s[0:1], s[4:5]
	s_cbranch_execz .LBB24_105
; %bb.104:
	v_bcnt_u32_b32 v0, v0, 0
	v_bcnt_u32_b32 v0, v1, v0
	s_waitcnt lgkmcnt(0)
	v_add_u32_e32 v0, v23, v0
	ds_write_b32 v27, v0 offset:32
.LBB24_105:
	s_or_b64 exec, exec, s[0:1]
	s_waitcnt vmcnt(1)
	v_lshrrev_b32_sdwa v0, s44, v13 dst_sel:DWORD dst_unused:UNUSED_PAD src0_sel:DWORD src1_sel:BYTE_0
	v_and_b32_e32 v28, s12, v0
	v_mad_u32_u24 v0, v28, 36, v20
	; wave barrier
	ds_read_b32 v26, v0 offset:32
	v_and_b32_e32 v0, 1, v28
	v_mov_b32_e32 v1, 0
	v_lshl_add_u64 v[8:9], v[0:1], 0, -1
	v_cmp_ne_u32_e32 vcc, 0, v0
	v_mul_u32_u24_e32 v29, 36, v28
	s_nop 0
	v_xor_b32_e32 v8, vcc_lo, v8
	v_xor_b32_e32 v0, vcc_hi, v9
	v_and_b32_e32 v30, exec_lo, v8
	v_lshlrev_b32_e32 v9, 30, v28
	v_mov_b32_e32 v8, v1
	v_cmp_gt_i64_e32 vcc, 0, v[8:9]
	v_not_b32_e32 v8, v9
	v_ashrrev_i32_e32 v8, 31, v8
	v_and_b32_e32 v0, exec_hi, v0
	v_xor_b32_e32 v9, vcc_hi, v8
	v_xor_b32_e32 v8, vcc_lo, v8
	v_and_b32_e32 v0, v0, v9
	v_and_b32_e32 v30, v30, v8
	v_lshlrev_b32_e32 v9, 29, v28
	v_mov_b32_e32 v8, v1
	v_cmp_gt_i64_e32 vcc, 0, v[8:9]
	v_not_b32_e32 v8, v9
	v_ashrrev_i32_e32 v8, 31, v8
	v_xor_b32_e32 v9, vcc_hi, v8
	v_xor_b32_e32 v8, vcc_lo, v8
	v_and_b32_e32 v0, v0, v9
	v_and_b32_e32 v30, v30, v8
	v_lshlrev_b32_e32 v9, 28, v28
	v_mov_b32_e32 v8, v1
	v_cmp_gt_i64_e32 vcc, 0, v[8:9]
	v_not_b32_e32 v8, v9
	v_ashrrev_i32_e32 v8, 31, v8
	;; [unrolled: 9-line block ×6, first 2 shown]
	v_xor_b32_e32 v9, vcc_hi, v8
	v_xor_b32_e32 v8, vcc_lo, v8
	v_and_b32_e32 v8, v30, v8
	v_and_b32_e32 v9, v0, v9
	v_mbcnt_lo_u32_b32 v0, v8, 0
	v_mbcnt_hi_u32_b32 v28, v9, v0
	v_cmp_eq_u32_e32 vcc, 0, v28
	v_cmp_ne_u64_e64 s[0:1], 0, v[8:9]
	s_and_b64 s[4:5], s[0:1], vcc
	v_add_u32_e32 v30, v20, v29
	; wave barrier
	s_and_saveexec_b64 s[0:1], s[4:5]
	s_cbranch_execz .LBB24_107
; %bb.106:
	v_bcnt_u32_b32 v0, v8, 0
	v_bcnt_u32_b32 v0, v9, v0
	s_waitcnt lgkmcnt(0)
	v_add_u32_e32 v0, v26, v0
	ds_write_b32 v30, v0 offset:32
.LBB24_107:
	s_or_b64 exec, exec, s[0:1]
	s_waitcnt vmcnt(0)
	v_lshrrev_b32_sdwa v0, s44, v14 dst_sel:DWORD dst_unused:UNUSED_PAD src0_sel:DWORD src1_sel:BYTE_0
	v_and_b32_e32 v31, s12, v0
	v_mad_u32_u24 v0, v31, 36, v20
	; wave barrier
	ds_read_b32 v29, v0 offset:32
	v_and_b32_e32 v0, 1, v31
	v_lshl_add_u64 v[8:9], v[0:1], 0, -1
	v_cmp_ne_u32_e32 vcc, 0, v0
	v_mul_u32_u24_e32 v32, 36, v31
	v_add_u32_e32 v20, v20, v32
	v_xor_b32_e32 v8, vcc_lo, v8
	v_xor_b32_e32 v0, vcc_hi, v9
	v_and_b32_e32 v33, exec_lo, v8
	v_lshlrev_b32_e32 v9, 30, v31
	v_mov_b32_e32 v8, v1
	v_cmp_gt_i64_e32 vcc, 0, v[8:9]
	v_not_b32_e32 v8, v9
	v_ashrrev_i32_e32 v8, 31, v8
	v_and_b32_e32 v0, exec_hi, v0
	v_xor_b32_e32 v9, vcc_hi, v8
	v_xor_b32_e32 v8, vcc_lo, v8
	v_and_b32_e32 v0, v0, v9
	v_and_b32_e32 v33, v33, v8
	v_lshlrev_b32_e32 v9, 29, v31
	v_mov_b32_e32 v8, v1
	v_cmp_gt_i64_e32 vcc, 0, v[8:9]
	v_not_b32_e32 v8, v9
	v_ashrrev_i32_e32 v8, 31, v8
	v_xor_b32_e32 v9, vcc_hi, v8
	v_xor_b32_e32 v8, vcc_lo, v8
	v_and_b32_e32 v0, v0, v9
	v_and_b32_e32 v33, v33, v8
	v_lshlrev_b32_e32 v9, 28, v31
	v_mov_b32_e32 v8, v1
	v_cmp_gt_i64_e32 vcc, 0, v[8:9]
	v_not_b32_e32 v8, v9
	v_ashrrev_i32_e32 v8, 31, v8
	;; [unrolled: 9-line block ×5, first 2 shown]
	v_xor_b32_e32 v9, vcc_hi, v8
	v_xor_b32_e32 v8, vcc_lo, v8
	v_and_b32_e32 v0, v0, v9
	v_lshlrev_b32_e32 v9, 24, v31
	v_and_b32_e32 v33, v33, v8
	v_mov_b32_e32 v8, v1
	v_not_b32_e32 v1, v9
	v_cmp_gt_i64_e32 vcc, 0, v[8:9]
	v_ashrrev_i32_e32 v1, 31, v1
	s_nop 0
	v_xor_b32_e32 v8, vcc_hi, v1
	v_xor_b32_e32 v9, vcc_lo, v1
	v_and_b32_e32 v1, v0, v8
	v_and_b32_e32 v0, v33, v9
	v_mbcnt_lo_u32_b32 v8, v0, 0
	v_mbcnt_hi_u32_b32 v31, v1, v8
	v_cmp_eq_u32_e32 vcc, 0, v31
	v_cmp_ne_u64_e64 s[0:1], 0, v[0:1]
	s_and_b64 s[4:5], s[0:1], vcc
	; wave barrier
	s_and_saveexec_b64 s[0:1], s[4:5]
	s_cbranch_execz .LBB24_109
; %bb.108:
	v_bcnt_u32_b32 v0, v0, 0
	v_bcnt_u32_b32 v0, v1, v0
	s_waitcnt lgkmcnt(0)
	v_add_u32_e32 v0, v29, v0
	ds_write_b32 v20, v0 offset:32
.LBB24_109:
	s_or_b64 exec, exec, s[0:1]
	; wave barrier
	s_waitcnt lgkmcnt(0)
	s_barrier
	ds_read2_b32 v[8:9], v5 offset0:8 offset1:9
	ds_read2_b32 v[0:1], v5 offset0:10 offset1:11
	ds_read_b32 v32, v5 offset:48
	v_min_u32_e32 v15, 0x1c0, v15
	v_or_b32_e32 v15, 63, v15
	s_waitcnt lgkmcnt(1)
	v_add3_u32 v33, v9, v8, v0
	s_waitcnt lgkmcnt(0)
	v_add3_u32 v32, v33, v1, v32
	v_and_b32_e32 v33, 15, v6
	v_cmp_ne_u32_e32 vcc, 0, v33
	v_mov_b32_dpp v34, v32 row_shr:1 row_mask:0xf bank_mask:0xf
	s_nop 0
	v_cndmask_b32_e32 v34, 0, v34, vcc
	v_add_u32_e32 v32, v34, v32
	v_cmp_lt_u32_e32 vcc, 1, v33
	s_nop 0
	v_mov_b32_dpp v34, v32 row_shr:2 row_mask:0xf bank_mask:0xf
	v_cndmask_b32_e32 v34, 0, v34, vcc
	v_add_u32_e32 v32, v32, v34
	v_cmp_lt_u32_e32 vcc, 3, v33
	s_nop 0
	v_mov_b32_dpp v34, v32 row_shr:4 row_mask:0xf bank_mask:0xf
	v_cndmask_b32_e32 v34, 0, v34, vcc
	v_add_u32_e32 v32, v32, v34
	v_cmp_lt_u32_e32 vcc, 7, v33
	s_nop 0
	v_mov_b32_dpp v34, v32 row_shr:8 row_mask:0xf bank_mask:0xf
	v_cndmask_b32_e32 v33, 0, v34, vcc
	v_add_u32_e32 v32, v32, v33
	v_bfe_i32 v34, v6, 4, 1
	v_cmp_lt_u32_e32 vcc, 31, v6
	v_mov_b32_dpp v33, v32 row_bcast:15 row_mask:0xf bank_mask:0xf
	v_and_b32_e32 v33, v34, v33
	v_add_u32_e32 v32, v32, v33
	s_nop 1
	v_mov_b32_dpp v33, v32 row_bcast:31 row_mask:0xf bank_mask:0xf
	v_cndmask_b32_e32 v33, 0, v33, vcc
	v_add_u32_e32 v32, v32, v33
	v_lshrrev_b32_e32 v33, 6, v2
	v_cmp_eq_u32_e32 vcc, v2, v15
	s_and_saveexec_b64 s[0:1], vcc
; %bb.110:
	v_lshlrev_b32_e32 v15, 2, v33
	ds_write_b32 v15, v32
; %bb.111:
	s_or_b64 exec, exec, s[0:1]
	v_cmp_gt_u32_e32 vcc, 8, v2
	s_waitcnt lgkmcnt(0)
	s_barrier
	s_and_saveexec_b64 s[0:1], vcc
	s_cbranch_execz .LBB24_113
; %bb.112:
	v_lshlrev_b32_e32 v15, 2, v2
	ds_read_b32 v34, v15
	v_and_b32_e32 v35, 7, v6
	v_cmp_ne_u32_e32 vcc, 0, v35
	s_waitcnt lgkmcnt(0)
	v_mov_b32_dpp v36, v34 row_shr:1 row_mask:0xf bank_mask:0xf
	v_cndmask_b32_e32 v36, 0, v36, vcc
	v_add_u32_e32 v34, v36, v34
	v_cmp_lt_u32_e32 vcc, 1, v35
	s_nop 0
	v_mov_b32_dpp v36, v34 row_shr:2 row_mask:0xf bank_mask:0xf
	v_cndmask_b32_e32 v36, 0, v36, vcc
	v_add_u32_e32 v34, v34, v36
	v_cmp_lt_u32_e32 vcc, 3, v35
	s_nop 0
	v_mov_b32_dpp v36, v34 row_shr:4 row_mask:0xf bank_mask:0xf
	v_cndmask_b32_e32 v35, 0, v36, vcc
	v_add_u32_e32 v34, v34, v35
	ds_write_b32 v15, v34
.LBB24_113:
	s_or_b64 exec, exec, s[0:1]
	v_cmp_lt_u32_e32 vcc, 63, v2
	v_mov_b32_e32 v15, 0
	s_waitcnt lgkmcnt(0)
	s_barrier
	s_and_saveexec_b64 s[0:1], vcc
; %bb.114:
	v_lshl_add_u32 v15, v33, 2, -4
	ds_read_b32 v15, v15
; %bb.115:
	s_or_b64 exec, exec, s[0:1]
	v_add_u32_e32 v33, -1, v6
	v_and_b32_e32 v34, 64, v6
	v_cmp_lt_i32_e32 vcc, v33, v34
	s_waitcnt lgkmcnt(0)
	v_add_u32_e32 v32, v15, v32
	s_movk_i32 s0, 0xff
	v_cndmask_b32_e32 v33, v33, v6, vcc
	v_lshlrev_b32_e32 v33, 2, v33
	ds_bpermute_b32 v32, v33, v32
	v_cmp_eq_u32_e32 vcc, 0, v6
	s_movk_i32 s4, 0x100
	s_waitcnt lgkmcnt(0)
	v_cndmask_b32_e32 v15, v32, v15, vcc
	v_cmp_ne_u32_e32 vcc, 0, v2
	s_nop 1
	v_cndmask_b32_e32 v15, 0, v15, vcc
	v_add_u32_e32 v8, v15, v8
	v_add_u32_e32 v9, v8, v9
	;; [unrolled: 1-line block ×4, first 2 shown]
	ds_write2_b32 v5, v15, v8 offset0:8 offset1:9
	ds_write2_b32 v5, v9, v0 offset0:10 offset1:11
	ds_write_b32 v5, v1 offset:48
	s_waitcnt lgkmcnt(0)
	s_barrier
	ds_read_b32 v5, v18 offset:32
	ds_read_b32 v9, v21 offset:32
	;; [unrolled: 1-line block ×6, first 2 shown]
	v_cmp_lt_u32_e32 vcc, s0, v2
	v_cmp_gt_u32_e64 s[0:1], s4, v2
	v_mov_b64_e32 v[0:1], 0
                                        ; implicit-def: $vgpr8
	s_and_saveexec_b64 s[6:7], s[0:1]
	s_cbranch_execz .LBB24_119
; %bb.116:
	v_mul_u32_u24_e32 v0, 36, v2
	ds_read_b32 v0, v0 offset:32
	v_add_u32_e32 v8, 1, v2
	v_cmp_ne_u32_e64 s[4:5], s4, v8
	v_mov_b32_e32 v1, 0xc00
	s_and_saveexec_b64 s[8:9], s[4:5]
; %bb.117:
	v_mul_u32_u24_e32 v1, 36, v8
	ds_read_b32 v1, v1 offset:32
; %bb.118:
	s_or_b64 exec, exec, s[8:9]
	s_waitcnt lgkmcnt(0)
	v_sub_u32_e32 v8, v1, v0
	v_mov_b32_e32 v1, 0
.LBB24_119:
	s_or_b64 exec, exec, s[6:7]
	s_waitcnt lgkmcnt(5)
	v_add_u32_e32 v21, v5, v16
	s_waitcnt lgkmcnt(4)
	v_add3_u32 v20, v7, v17, v9
	s_waitcnt lgkmcnt(3)
	v_add3_u32 v18, v22, v19, v15
	;; [unrolled: 2-line block ×5, first 2 shown]
	s_barrier
	ds_write_b8 v21, v3 offset:2048
	ds_write_b8 v20, v10 offset:2048
	ds_write_b8 v18, v11 offset:2048
	ds_write_b8 v17, v12 offset:2048
	ds_write_b8 v16, v13 offset:2048
	ds_write_b8 v9, v14 offset:2048
	v_mov_b32_e32 v11, 0
	v_mov_b32_e32 v3, v11
	v_lshlrev_b32_e32 v5, 3, v2
	s_waitcnt lgkmcnt(0)
	s_barrier
	s_and_saveexec_b64 s[4:5], s[0:1]
	s_cbranch_execz .LBB24_129
; %bb.120:
	v_lshl_add_u32 v10, s2, 8, v2
	v_lshl_add_u64 v[12:13], v[10:11], 2, s[48:49]
	v_or_b32_e32 v7, 2.0, v8
	global_store_dword v[12:13], v7, off sc1
	s_mov_b64 s[6:7], 0
	s_brev_b32 s13, -4
	s_mov_b32 s14, s2
	v_mov_b32_e32 v7, 0
                                        ; implicit-def: $sgpr0_sgpr1
	s_branch .LBB24_123
.LBB24_121:                             ;   in Loop: Header=BB24_123 Depth=1
	s_or_b64 exec, exec, s[10:11]
.LBB24_122:                             ;   in Loop: Header=BB24_123 Depth=1
	s_or_b64 exec, exec, s[8:9]
	v_and_b32_e32 v14, 0x3fffffff, v10
	v_add_u32_e32 v7, v14, v7
	v_cmp_gt_i32_e64 s[0:1], -2.0, v10
	s_and_b64 s[8:9], exec, s[0:1]
	s_or_b64 s[6:7], s[8:9], s[6:7]
	s_andn2_b64 exec, exec, s[6:7]
	s_cbranch_execz .LBB24_128
.LBB24_123:                             ; =>This Loop Header: Depth=1
                                        ;     Child Loop BB24_126 Depth 2
	s_or_b64 s[0:1], s[0:1], exec
	s_cmp_eq_u32 s14, 0
	s_cbranch_scc1 .LBB24_127
; %bb.124:                              ;   in Loop: Header=BB24_123 Depth=1
	s_add_i32 s14, s14, -1
	v_lshl_or_b32 v10, s14, 8, v2
	v_lshl_add_u64 v[14:15], v[10:11], 2, s[48:49]
	global_load_dword v10, v[14:15], off sc1
	s_waitcnt vmcnt(0)
	v_cmp_gt_u32_e64 s[0:1], 2.0, v10
	s_and_saveexec_b64 s[8:9], s[0:1]
	s_cbranch_execz .LBB24_122
; %bb.125:                              ;   in Loop: Header=BB24_123 Depth=1
	s_mov_b64 s[10:11], 0
.LBB24_126:                             ;   Parent Loop BB24_123 Depth=1
                                        ; =>  This Inner Loop Header: Depth=2
	global_load_dword v10, v[14:15], off sc1
	s_waitcnt vmcnt(0)
	v_cmp_lt_u32_e64 s[0:1], s13, v10
	s_or_b64 s[10:11], s[0:1], s[10:11]
	s_andn2_b64 exec, exec, s[10:11]
	s_cbranch_execnz .LBB24_126
	s_branch .LBB24_121
.LBB24_127:                             ;   in Loop: Header=BB24_123 Depth=1
                                        ; implicit-def: $sgpr14
	s_and_b64 s[8:9], exec, s[0:1]
	s_or_b64 s[6:7], s[8:9], s[6:7]
	s_andn2_b64 exec, exec, s[6:7]
	s_cbranch_execnz .LBB24_123
.LBB24_128:
	s_or_b64 exec, exec, s[6:7]
	v_add_u32_e32 v11, v7, v8
	v_or_b32_e32 v11, 0x80000000, v11
	v_lshlrev_b32_e32 v10, 3, v2
	global_store_dword v[12:13], v11, off sc1
	global_load_dwordx2 v[10:11], v10, s[28:29]
	v_sub_co_u32_e64 v12, s[0:1], v7, v0
	s_nop 1
	v_subb_co_u32_e64 v13, s[0:1], 0, v1, s[0:1]
	s_waitcnt vmcnt(0)
	v_lshl_add_u64 v[10:11], v[12:13], 0, v[10:11]
	ds_write_b64 v5, v[10:11]
.LBB24_129:
	s_or_b64 exec, exec, s[4:5]
	s_waitcnt lgkmcnt(0)
	s_barrier
	ds_read_u8 v7, v2 offset:4096
	ds_read_u8 v19, v2 offset:3072
	;; [unrolled: 1-line block ×5, first 2 shown]
	s_waitcnt lgkmcnt(4)
	v_lshrrev_b32_sdwa v10, s44, v7 dst_sel:DWORD dst_unused:UNUSED_PAD src0_sel:DWORD src1_sel:BYTE_0
	v_and_b32_e32 v10, s12, v10
	v_lshlrev_b32_e32 v32, 3, v10
	s_waitcnt lgkmcnt(1)
	v_lshrrev_b32_sdwa v10, s44, v29 dst_sel:DWORD dst_unused:UNUSED_PAD src0_sel:DWORD src1_sel:BYTE_0
	v_and_b32_e32 v10, s12, v10
	v_lshlrev_b32_e32 v33, 3, v10
	ds_read_u8 v31, v2 offset:2560
	ds_read_b64 v[10:11], v32
	ds_read_b64 v[12:13], v33
	s_waitcnt lgkmcnt(3)
	v_lshrrev_b32_sdwa v14, s44, v30 dst_sel:DWORD dst_unused:UNUSED_PAD src0_sel:DWORD src1_sel:BYTE_0
	v_and_b32_e32 v14, s12, v14
	s_waitcnt lgkmcnt(2)
	v_lshrrev_b32_sdwa v22, s44, v31 dst_sel:DWORD dst_unused:UNUSED_PAD src0_sel:DWORD src1_sel:BYTE_0
	v_lshlrev_b32_e32 v34, 3, v14
	v_and_b32_e32 v22, s12, v22
	ds_read_b64 v[14:15], v34
	v_lshlrev_b32_e32 v35, 3, v22
	v_lshrrev_b32_sdwa v22, s44, v19 dst_sel:DWORD dst_unused:UNUSED_PAD src0_sel:DWORD src1_sel:BYTE_0
	v_and_b32_e32 v22, s12, v22
	v_lshlrev_b32_e32 v36, 3, v22
	v_lshrrev_b32_sdwa v22, s44, v28 dst_sel:DWORD dst_unused:UNUSED_PAD src0_sel:DWORD src1_sel:BYTE_0
	v_and_b32_e32 v22, s12, v22
	v_lshlrev_b32_e32 v37, 3, v22
	ds_read_b64 v[22:23], v35
	ds_read_b64 v[24:25], v36
	;; [unrolled: 1-line block ×3, first 2 shown]
	s_waitcnt lgkmcnt(3)
	v_lshl_add_u64 v[14:15], s[38:39], 0, v[14:15]
	v_lshl_add_u64 v[14:15], v[14:15], 0, v[2:3]
	global_store_byte v[14:15], v30, off
	s_waitcnt lgkmcnt(2)
	v_lshl_add_u64 v[14:15], s[38:39], 0, v[22:23]
	v_lshl_add_u64 v[14:15], v[14:15], 0, v[2:3]
	global_store_byte v[14:15], v31, off offset:512
	s_waitcnt lgkmcnt(1)
	v_lshl_add_u64 v[14:15], s[38:39], 0, v[24:25]
	v_lshl_add_u64 v[14:15], v[14:15], 0, v[2:3]
	global_store_byte v[14:15], v19, off offset:1024
	s_waitcnt lgkmcnt(0)
	v_lshl_add_u64 v[14:15], s[38:39], 0, v[26:27]
	v_lshl_add_u64 v[10:11], s[38:39], 0, v[10:11]
	;; [unrolled: 1-line block ×4, first 2 shown]
	s_lshl_b64 s[0:1], s[34:35], 3
	global_store_byte v[14:15], v28, off offset:1536
	global_store_byte v[10:11], v7, off offset:2048
	v_lshl_add_u64 v[10:11], s[38:39], 0, v[12:13]
	s_add_u32 s0, s40, s0
	v_lshl_add_u64 v[10:11], v[10:11], 0, v[2:3]
	s_addc_u32 s1, s41, s1
	v_lshlrev_b32_e32 v6, 3, v6
	v_mov_b32_e32 v7, 0
	global_store_byte v[10:11], v29, off offset:2560
	v_lshl_add_u64 v[10:11], s[0:1], 0, v[6:7]
	v_lshlrev_b32_e32 v6, 3, v4
	v_lshl_add_u64 v[10:11], v[10:11], 0, v[6:7]
	global_load_dwordx2 v[12:13], v[10:11], off
	global_load_dwordx2 v[14:15], v[10:11], off offset:512
	global_load_dwordx2 v[22:23], v[10:11], off offset:1024
	;; [unrolled: 1-line block ×5, first 2 shown]
	v_lshlrev_b32_e32 v3, 3, v21
	v_lshlrev_b32_e32 v10, 3, v18
	;; [unrolled: 1-line block ×4, first 2 shown]
	v_mad_u32_u24 v38, v2, 7, v2
	v_lshlrev_b32_e32 v4, 3, v20
	v_lshlrev_b32_e32 v9, 3, v9
	;; [unrolled: 1-line block ×3, first 2 shown]
	s_barrier
	v_add_u32_e32 v18, 0x1000, v5
	v_or_b32_e32 v20, 0x2000, v5
	v_mov_b32_e32 v19, v7
	v_mov_b32_e32 v21, v7
	v_add_u32_e32 v30, 0x3000, v5
	v_mov_b32_e32 v31, v7
	s_add_i32 s3, s3, -1
	s_cmp_eq_u32 s2, s3
	s_cselect_b64 s[0:1], -1, 0
	s_xor_b64 s[2:3], vcc, -1
	s_and_b64 s[0:1], s[2:3], s[0:1]
	s_waitcnt vmcnt(5)
	ds_write_b64 v3, v[12:13] offset:2048
	s_waitcnt vmcnt(4)
	ds_write_b64 v4, v[14:15] offset:2048
	;; [unrolled: 2-line block ×6, first 2 shown]
	s_waitcnt lgkmcnt(0)
	s_barrier
	ds_read2st64_b64 v[10:13], v38 offset0:4 offset1:12
	ds_read_b64 v[2:3], v34
	ds_read_b64 v[22:23], v35
	;; [unrolled: 1-line block ×4, first 2 shown]
	ds_read2st64_b64 v[14:17], v38 offset0:20 offset1:28
	s_waitcnt lgkmcnt(4)
	v_lshl_add_u64 v[2:3], v[2:3], 3, s[42:43]
	s_waitcnt lgkmcnt(3)
	v_lshl_add_u64 v[22:23], v[22:23], 3, s[42:43]
	;; [unrolled: 2-line block ×3, first 2 shown]
	v_lshl_add_u64 v[2:3], v[2:3], 0, v[6:7]
	s_waitcnt lgkmcnt(1)
	v_lshl_add_u64 v[26:27], v[26:27], 3, s[42:43]
	v_lshl_add_u64 v[18:19], v[22:23], 0, v[18:19]
	;; [unrolled: 1-line block ×3, first 2 shown]
	global_store_dwordx2 v[2:3], v[10:11], off
	global_store_dwordx2 v[18:19], v[12:13], off
	s_waitcnt lgkmcnt(0)
	global_store_dwordx2 v[20:21], v[14:15], off
	ds_read_b64 v[2:3], v32
	v_lshl_add_u64 v[10:11], v[26:27], 0, v[30:31]
	global_store_dwordx2 v[10:11], v[16:17], off
	ds_read2st64_b64 v[10:13], v38 offset0:36 offset1:44
	ds_read_b64 v[14:15], v33
	v_or_b32_e32 v16, 0x4000, v5
	s_waitcnt lgkmcnt(2)
	v_lshl_add_u64 v[2:3], v[2:3], 3, s[42:43]
	v_mov_b32_e32 v17, v7
	v_lshl_add_u64 v[2:3], v[2:3], 0, v[16:17]
	s_waitcnt lgkmcnt(1)
	global_store_dwordx2 v[2:3], v[10:11], off
	s_waitcnt lgkmcnt(0)
	v_lshl_add_u64 v[2:3], v[14:15], 3, s[42:43]
	v_add_u32_e32 v10, 0x5000, v5
	v_mov_b32_e32 v11, v7
	v_lshl_add_u64 v[2:3], v[2:3], 0, v[10:11]
	global_store_dwordx2 v[2:3], v[12:13], off
	s_and_saveexec_b64 s[2:3], s[0:1]
	s_cbranch_execz .LBB24_131
; %bb.130:
	ds_read_b64 v[2:3], v5
	v_mov_b32_e32 v9, v7
	v_lshl_add_u64 v[0:1], v[0:1], 0, v[8:9]
	s_waitcnt lgkmcnt(0)
	v_lshl_add_u64 v[0:1], v[0:1], 0, v[2:3]
	global_store_dwordx2 v6, v[0:1], s[30:31]
.LBB24_131:
	s_endpgm
	.section	.rodata,"a",@progbits
	.p2align	6, 0x0
	.amdhsa_kernel _ZN7rocprim17ROCPRIM_304000_NS6detail25onesweep_iteration_kernelINS1_34wrapped_radix_sort_onesweep_configINS0_14default_configEhN2at4cuda3cub6detail10OpaqueTypeILi8EEEEELb0EPKhPhPKSA_PSA_mNS0_19identity_decomposerEEEvT1_T2_T3_T4_jPT5_SO_PNS1_23onesweep_lookback_stateET6_jjj
		.amdhsa_group_segment_fixed_size 26624
		.amdhsa_private_segment_fixed_size 0
		.amdhsa_kernarg_size 336
		.amdhsa_user_sgpr_count 2
		.amdhsa_user_sgpr_dispatch_ptr 0
		.amdhsa_user_sgpr_queue_ptr 0
		.amdhsa_user_sgpr_kernarg_segment_ptr 1
		.amdhsa_user_sgpr_dispatch_id 0
		.amdhsa_user_sgpr_kernarg_preload_length 0
		.amdhsa_user_sgpr_kernarg_preload_offset 0
		.amdhsa_user_sgpr_private_segment_size 0
		.amdhsa_uses_dynamic_stack 0
		.amdhsa_enable_private_segment 0
		.amdhsa_system_sgpr_workgroup_id_x 1
		.amdhsa_system_sgpr_workgroup_id_y 0
		.amdhsa_system_sgpr_workgroup_id_z 0
		.amdhsa_system_sgpr_workgroup_info 0
		.amdhsa_system_vgpr_workitem_id 2
		.amdhsa_next_free_vgpr 40
		.amdhsa_next_free_sgpr 51
		.amdhsa_accum_offset 40
		.amdhsa_reserve_vcc 1
		.amdhsa_float_round_mode_32 0
		.amdhsa_float_round_mode_16_64 0
		.amdhsa_float_denorm_mode_32 3
		.amdhsa_float_denorm_mode_16_64 3
		.amdhsa_dx10_clamp 1
		.amdhsa_ieee_mode 1
		.amdhsa_fp16_overflow 0
		.amdhsa_tg_split 0
		.amdhsa_exception_fp_ieee_invalid_op 0
		.amdhsa_exception_fp_denorm_src 0
		.amdhsa_exception_fp_ieee_div_zero 0
		.amdhsa_exception_fp_ieee_overflow 0
		.amdhsa_exception_fp_ieee_underflow 0
		.amdhsa_exception_fp_ieee_inexact 0
		.amdhsa_exception_int_div_zero 0
	.end_amdhsa_kernel
	.section	.text._ZN7rocprim17ROCPRIM_304000_NS6detail25onesweep_iteration_kernelINS1_34wrapped_radix_sort_onesweep_configINS0_14default_configEhN2at4cuda3cub6detail10OpaqueTypeILi8EEEEELb0EPKhPhPKSA_PSA_mNS0_19identity_decomposerEEEvT1_T2_T3_T4_jPT5_SO_PNS1_23onesweep_lookback_stateET6_jjj,"axG",@progbits,_ZN7rocprim17ROCPRIM_304000_NS6detail25onesweep_iteration_kernelINS1_34wrapped_radix_sort_onesweep_configINS0_14default_configEhN2at4cuda3cub6detail10OpaqueTypeILi8EEEEELb0EPKhPhPKSA_PSA_mNS0_19identity_decomposerEEEvT1_T2_T3_T4_jPT5_SO_PNS1_23onesweep_lookback_stateET6_jjj,comdat
.Lfunc_end24:
	.size	_ZN7rocprim17ROCPRIM_304000_NS6detail25onesweep_iteration_kernelINS1_34wrapped_radix_sort_onesweep_configINS0_14default_configEhN2at4cuda3cub6detail10OpaqueTypeILi8EEEEELb0EPKhPhPKSA_PSA_mNS0_19identity_decomposerEEEvT1_T2_T3_T4_jPT5_SO_PNS1_23onesweep_lookback_stateET6_jjj, .Lfunc_end24-_ZN7rocprim17ROCPRIM_304000_NS6detail25onesweep_iteration_kernelINS1_34wrapped_radix_sort_onesweep_configINS0_14default_configEhN2at4cuda3cub6detail10OpaqueTypeILi8EEEEELb0EPKhPhPKSA_PSA_mNS0_19identity_decomposerEEEvT1_T2_T3_T4_jPT5_SO_PNS1_23onesweep_lookback_stateET6_jjj
                                        ; -- End function
	.set _ZN7rocprim17ROCPRIM_304000_NS6detail25onesweep_iteration_kernelINS1_34wrapped_radix_sort_onesweep_configINS0_14default_configEhN2at4cuda3cub6detail10OpaqueTypeILi8EEEEELb0EPKhPhPKSA_PSA_mNS0_19identity_decomposerEEEvT1_T2_T3_T4_jPT5_SO_PNS1_23onesweep_lookback_stateET6_jjj.num_vgpr, 40
	.set _ZN7rocprim17ROCPRIM_304000_NS6detail25onesweep_iteration_kernelINS1_34wrapped_radix_sort_onesweep_configINS0_14default_configEhN2at4cuda3cub6detail10OpaqueTypeILi8EEEEELb0EPKhPhPKSA_PSA_mNS0_19identity_decomposerEEEvT1_T2_T3_T4_jPT5_SO_PNS1_23onesweep_lookback_stateET6_jjj.num_agpr, 0
	.set _ZN7rocprim17ROCPRIM_304000_NS6detail25onesweep_iteration_kernelINS1_34wrapped_radix_sort_onesweep_configINS0_14default_configEhN2at4cuda3cub6detail10OpaqueTypeILi8EEEEELb0EPKhPhPKSA_PSA_mNS0_19identity_decomposerEEEvT1_T2_T3_T4_jPT5_SO_PNS1_23onesweep_lookback_stateET6_jjj.numbered_sgpr, 51
	.set _ZN7rocprim17ROCPRIM_304000_NS6detail25onesweep_iteration_kernelINS1_34wrapped_radix_sort_onesweep_configINS0_14default_configEhN2at4cuda3cub6detail10OpaqueTypeILi8EEEEELb0EPKhPhPKSA_PSA_mNS0_19identity_decomposerEEEvT1_T2_T3_T4_jPT5_SO_PNS1_23onesweep_lookback_stateET6_jjj.num_named_barrier, 0
	.set _ZN7rocprim17ROCPRIM_304000_NS6detail25onesweep_iteration_kernelINS1_34wrapped_radix_sort_onesweep_configINS0_14default_configEhN2at4cuda3cub6detail10OpaqueTypeILi8EEEEELb0EPKhPhPKSA_PSA_mNS0_19identity_decomposerEEEvT1_T2_T3_T4_jPT5_SO_PNS1_23onesweep_lookback_stateET6_jjj.private_seg_size, 0
	.set _ZN7rocprim17ROCPRIM_304000_NS6detail25onesweep_iteration_kernelINS1_34wrapped_radix_sort_onesweep_configINS0_14default_configEhN2at4cuda3cub6detail10OpaqueTypeILi8EEEEELb0EPKhPhPKSA_PSA_mNS0_19identity_decomposerEEEvT1_T2_T3_T4_jPT5_SO_PNS1_23onesweep_lookback_stateET6_jjj.uses_vcc, 1
	.set _ZN7rocprim17ROCPRIM_304000_NS6detail25onesweep_iteration_kernelINS1_34wrapped_radix_sort_onesweep_configINS0_14default_configEhN2at4cuda3cub6detail10OpaqueTypeILi8EEEEELb0EPKhPhPKSA_PSA_mNS0_19identity_decomposerEEEvT1_T2_T3_T4_jPT5_SO_PNS1_23onesweep_lookback_stateET6_jjj.uses_flat_scratch, 0
	.set _ZN7rocprim17ROCPRIM_304000_NS6detail25onesweep_iteration_kernelINS1_34wrapped_radix_sort_onesweep_configINS0_14default_configEhN2at4cuda3cub6detail10OpaqueTypeILi8EEEEELb0EPKhPhPKSA_PSA_mNS0_19identity_decomposerEEEvT1_T2_T3_T4_jPT5_SO_PNS1_23onesweep_lookback_stateET6_jjj.has_dyn_sized_stack, 0
	.set _ZN7rocprim17ROCPRIM_304000_NS6detail25onesweep_iteration_kernelINS1_34wrapped_radix_sort_onesweep_configINS0_14default_configEhN2at4cuda3cub6detail10OpaqueTypeILi8EEEEELb0EPKhPhPKSA_PSA_mNS0_19identity_decomposerEEEvT1_T2_T3_T4_jPT5_SO_PNS1_23onesweep_lookback_stateET6_jjj.has_recursion, 0
	.set _ZN7rocprim17ROCPRIM_304000_NS6detail25onesweep_iteration_kernelINS1_34wrapped_radix_sort_onesweep_configINS0_14default_configEhN2at4cuda3cub6detail10OpaqueTypeILi8EEEEELb0EPKhPhPKSA_PSA_mNS0_19identity_decomposerEEEvT1_T2_T3_T4_jPT5_SO_PNS1_23onesweep_lookback_stateET6_jjj.has_indirect_call, 0
	.section	.AMDGPU.csdata,"",@progbits
; Kernel info:
; codeLenInByte = 10868
; TotalNumSgprs: 57
; NumVgprs: 40
; NumAgprs: 0
; TotalNumVgprs: 40
; ScratchSize: 0
; MemoryBound: 0
; FloatMode: 240
; IeeeMode: 1
; LDSByteSize: 26624 bytes/workgroup (compile time only)
; SGPRBlocks: 7
; VGPRBlocks: 4
; NumSGPRsForWavesPerEU: 57
; NumVGPRsForWavesPerEU: 40
; AccumOffset: 40
; Occupancy: 8
; WaveLimiterHint : 1
; COMPUTE_PGM_RSRC2:SCRATCH_EN: 0
; COMPUTE_PGM_RSRC2:USER_SGPR: 2
; COMPUTE_PGM_RSRC2:TRAP_HANDLER: 0
; COMPUTE_PGM_RSRC2:TGID_X_EN: 1
; COMPUTE_PGM_RSRC2:TGID_Y_EN: 0
; COMPUTE_PGM_RSRC2:TGID_Z_EN: 0
; COMPUTE_PGM_RSRC2:TIDIG_COMP_CNT: 2
; COMPUTE_PGM_RSRC3_GFX90A:ACCUM_OFFSET: 9
; COMPUTE_PGM_RSRC3_GFX90A:TG_SPLIT: 0
	.section	.text._ZN7rocprim17ROCPRIM_304000_NS6detail25onesweep_iteration_kernelINS1_34wrapped_radix_sort_onesweep_configINS0_14default_configEhN2at4cuda3cub6detail10OpaqueTypeILi8EEEEELb0EPhSC_PSA_SD_mNS0_19identity_decomposerEEEvT1_T2_T3_T4_jPT5_SK_PNS1_23onesweep_lookback_stateET6_jjj,"axG",@progbits,_ZN7rocprim17ROCPRIM_304000_NS6detail25onesweep_iteration_kernelINS1_34wrapped_radix_sort_onesweep_configINS0_14default_configEhN2at4cuda3cub6detail10OpaqueTypeILi8EEEEELb0EPhSC_PSA_SD_mNS0_19identity_decomposerEEEvT1_T2_T3_T4_jPT5_SK_PNS1_23onesweep_lookback_stateET6_jjj,comdat
	.protected	_ZN7rocprim17ROCPRIM_304000_NS6detail25onesweep_iteration_kernelINS1_34wrapped_radix_sort_onesweep_configINS0_14default_configEhN2at4cuda3cub6detail10OpaqueTypeILi8EEEEELb0EPhSC_PSA_SD_mNS0_19identity_decomposerEEEvT1_T2_T3_T4_jPT5_SK_PNS1_23onesweep_lookback_stateET6_jjj ; -- Begin function _ZN7rocprim17ROCPRIM_304000_NS6detail25onesweep_iteration_kernelINS1_34wrapped_radix_sort_onesweep_configINS0_14default_configEhN2at4cuda3cub6detail10OpaqueTypeILi8EEEEELb0EPhSC_PSA_SD_mNS0_19identity_decomposerEEEvT1_T2_T3_T4_jPT5_SK_PNS1_23onesweep_lookback_stateET6_jjj
	.globl	_ZN7rocprim17ROCPRIM_304000_NS6detail25onesweep_iteration_kernelINS1_34wrapped_radix_sort_onesweep_configINS0_14default_configEhN2at4cuda3cub6detail10OpaqueTypeILi8EEEEELb0EPhSC_PSA_SD_mNS0_19identity_decomposerEEEvT1_T2_T3_T4_jPT5_SK_PNS1_23onesweep_lookback_stateET6_jjj
	.p2align	8
	.type	_ZN7rocprim17ROCPRIM_304000_NS6detail25onesweep_iteration_kernelINS1_34wrapped_radix_sort_onesweep_configINS0_14default_configEhN2at4cuda3cub6detail10OpaqueTypeILi8EEEEELb0EPhSC_PSA_SD_mNS0_19identity_decomposerEEEvT1_T2_T3_T4_jPT5_SK_PNS1_23onesweep_lookback_stateET6_jjj,@function
_ZN7rocprim17ROCPRIM_304000_NS6detail25onesweep_iteration_kernelINS1_34wrapped_radix_sort_onesweep_configINS0_14default_configEhN2at4cuda3cub6detail10OpaqueTypeILi8EEEEELb0EPhSC_PSA_SD_mNS0_19identity_decomposerEEEvT1_T2_T3_T4_jPT5_SK_PNS1_23onesweep_lookback_stateET6_jjj: ; @_ZN7rocprim17ROCPRIM_304000_NS6detail25onesweep_iteration_kernelINS1_34wrapped_radix_sort_onesweep_configINS0_14default_configEhN2at4cuda3cub6detail10OpaqueTypeILi8EEEEELb0EPhSC_PSA_SD_mNS0_19identity_decomposerEEEvT1_T2_T3_T4_jPT5_SK_PNS1_23onesweep_lookback_stateET6_jjj
; %bb.0:
	s_load_dwordx4 s[44:47], s[0:1], 0x44
	s_load_dwordx8 s[36:43], s[0:1], 0x0
	s_load_dwordx4 s[28:31], s[0:1], 0x28
	s_load_dwordx2 s[48:49], s[0:1], 0x38
	s_mov_b64 s[4:5], -1
	s_waitcnt lgkmcnt(0)
	s_cmp_ge_u32 s2, s46
	s_mul_i32 s34, s2, 0xc00
	v_mbcnt_lo_u32_b32 v1, -1, 0
	s_cbranch_scc0 .LBB25_96
; %bb.1:
	s_load_dword s3, s[0:1], 0x20
	s_mul_i32 s33, s46, 0xfffff400
	v_and_b32_e32 v15, 0x1c0, v0
	v_mbcnt_hi_u32_b32 v6, -1, v1
	v_mul_u32_u24_e32 v4, 6, v15
	s_waitcnt lgkmcnt(0)
	s_add_i32 s33, s33, s3
	s_add_u32 s4, s36, s34
	s_addc_u32 s5, s37, 0
	v_mov_b32_e32 v7, 0
	v_lshl_add_u64 v[2:3], s[4:5], 0, v[6:7]
	v_mov_b32_e32 v5, v7
	v_or_b32_e32 v11, v6, v4
	s_mov_b32 s35, 0
	v_lshl_add_u64 v[8:9], v[2:3], 0, v[4:5]
	v_cmp_gt_u32_e32 vcc, s33, v11
	v_mov_b32_e32 v10, 0xff
	v_mov_b32_e32 v3, 0xff
	;; [unrolled: 1-line block ×3, first 2 shown]
	s_and_saveexec_b64 s[4:5], vcc
	s_cbranch_execz .LBB25_3
; %bb.2:
	global_load_ubyte v5, v[8:9], off
	s_waitcnt vmcnt(0)
	v_and_b32_e32 v10, 0xff, v5
.LBB25_3:
	s_or_b64 exec, exec, s[4:5]
	v_add_u32_e32 v2, 64, v11
	v_cmp_gt_u32_e64 s[26:27], s33, v2
	v_mov_b32_e32 v18, 0xff
	s_and_saveexec_b64 s[4:5], s[26:27]
	s_cbranch_execz .LBB25_5
; %bb.4:
	global_load_ubyte v3, v[8:9], off offset:64
	s_waitcnt vmcnt(0)
	v_and_b32_e32 v18, 0xff, v3
.LBB25_5:
	s_or_b64 exec, exec, s[4:5]
	v_add_u32_e32 v2, 0x80, v11
	v_cmp_gt_u32_e64 s[4:5], s33, v2
	v_mov_b32_e32 v22, 0xff
	v_mov_b32_e32 v7, 0xff
	;; [unrolled: 1-line block ×3, first 2 shown]
	s_and_saveexec_b64 s[6:7], s[4:5]
	s_cbranch_execz .LBB25_7
; %bb.6:
	global_load_ubyte v12, v[8:9], off offset:128
	s_waitcnt vmcnt(0)
	v_and_b32_e32 v22, 0xff, v12
.LBB25_7:
	s_or_b64 exec, exec, s[6:7]
	v_add_u32_e32 v2, 0xc0, v11
	v_cmp_gt_u32_e64 s[6:7], s33, v2
	v_mov_b32_e32 v27, 0xff
	s_and_saveexec_b64 s[8:9], s[6:7]
	s_cbranch_execz .LBB25_9
; %bb.8:
	global_load_ubyte v7, v[8:9], off offset:192
	s_waitcnt vmcnt(0)
	v_and_b32_e32 v27, 0xff, v7
.LBB25_9:
	s_or_b64 exec, exec, s[8:9]
	v_add_u32_e32 v2, 0x100, v11
	v_cmp_gt_u32_e64 s[8:9], s33, v2
	v_mov_b32_e32 v23, 0xff
	v_mov_b32_e32 v13, 0xff
	;; [unrolled: 1-line block ×3, first 2 shown]
	s_and_saveexec_b64 s[10:11], s[8:9]
	s_cbranch_execz .LBB25_11
; %bb.10:
	global_load_ubyte v14, v[8:9], off offset:256
	s_waitcnt vmcnt(0)
	v_and_b32_e32 v23, 0xff, v14
.LBB25_11:
	s_or_b64 exec, exec, s[10:11]
	v_add_u32_e32 v11, 0x140, v11
	v_and_b32_e32 v2, 0x3ff, v0
	v_cmp_gt_u32_e64 s[10:11], s33, v11
	v_mov_b32_e32 v20, 0xff
	s_and_saveexec_b64 s[12:13], s[10:11]
	s_cbranch_execz .LBB25_13
; %bb.12:
	global_load_ubyte v13, v[8:9], off offset:320
	s_waitcnt vmcnt(0)
	v_and_b32_e32 v20, 0xff, v13
.LBB25_13:
	s_or_b64 exec, exec, s[12:13]
	s_load_dword s12, s[0:1], 0x5c
	s_load_dword s3, s[0:1], 0x50
	s_add_u32 s13, s0, 0x50
	s_addc_u32 s14, s1, 0
	v_mov_b32_e32 v9, 0
	s_waitcnt lgkmcnt(0)
	s_lshr_b32 s15, s12, 16
	s_cmp_lt_u32 s2, s3
	s_cselect_b32 s12, 12, 18
	s_add_u32 s12, s13, s12
	s_addc_u32 s13, s14, 0
	global_load_ushort v17, v9, s[12:13]
	v_lshrrev_b32_e32 v19, s44, v10
	s_lshl_b32 s12, -1, s45
	v_bfe_u32 v8, v0, 10, 10
	v_bfe_u32 v11, v0, 20, 10
	v_bitop3_b32 v19, v19, s12, v19 bitop3:0x30
	v_mad_u32_u24 v21, v11, s15, v8
	v_and_b32_e32 v8, 1, v19
	v_lshlrev_b32_e32 v11, 30, v19
	v_mov_b32_e32 v10, v9
	v_mov_b32_e32 v28, v9
	s_not_b32 s50, s12
	v_lshlrev_b32_e32 v25, 29, v19
	v_lshlrev_b32_e32 v29, 28, v19
	v_lshl_add_u64 v[38:39], v[8:9], 0, -1
	v_cmp_ne_u32_e64 s[12:13], 0, v8
	v_not_b32_e32 v8, v11
	v_mov_b32_e32 v24, v9
	v_mov_b32_e32 v30, v9
	v_lshlrev_b32_e32 v31, 27, v19
	v_cmp_gt_i64_e64 s[14:15], 0, v[10:11]
	v_not_b32_e32 v10, v25
	v_cmp_gt_i64_e64 s[18:19], 0, v[28:29]
	v_xor_b32_e32 v28, s13, v39
	v_ashrrev_i32_e32 v8, 31, v8
	v_cmp_gt_i64_e64 s[16:17], 0, v[24:25]
	v_not_b32_e32 v11, v29
	v_cmp_gt_i64_e64 s[20:21], 0, v[30:31]
	v_xor_b32_e32 v29, s12, v38
	v_ashrrev_i32_e32 v10, 31, v10
	v_and_b32_e32 v28, exec_hi, v28
	v_xor_b32_e32 v30, s15, v8
	v_mov_b32_e32 v32, v9
	v_mul_u32_u24_e32 v26, 36, v19
	v_lshlrev_b32_e32 v33, 26, v19
	v_lshlrev_b32_e32 v35, 25, v19
	;; [unrolled: 1-line block ×3, first 2 shown]
	v_not_b32_e32 v19, v31
	v_ashrrev_i32_e32 v11, 31, v11
	v_and_b32_e32 v29, exec_lo, v29
	v_xor_b32_e32 v8, s14, v8
	v_xor_b32_e32 v31, s17, v10
	v_and_b32_e32 v28, v28, v30
	v_cmp_gt_i64_e64 s[22:23], 0, v[32:33]
	v_not_b32_e32 v24, v33
	v_ashrrev_i32_e32 v19, 31, v19
	v_xor_b32_e32 v10, s16, v10
	v_xor_b32_e32 v32, s19, v11
	v_and_b32_e32 v8, v29, v8
	v_and_b32_e32 v28, v28, v31
	v_mov_b32_e32 v34, v9
	v_not_b32_e32 v25, v35
	v_ashrrev_i32_e32 v24, 31, v24
	v_xor_b32_e32 v33, s21, v19
	v_and_b32_e32 v8, v8, v10
	v_and_b32_e32 v10, v28, v32
	v_cmp_gt_i64_e64 s[24:25], 0, v[34:35]
	v_ashrrev_i32_e32 v25, 31, v25
	v_xor_b32_e32 v11, s18, v11
	v_xor_b32_e32 v34, s23, v24
	v_and_b32_e32 v10, v10, v33
	v_xor_b32_e32 v19, s20, v19
	v_xor_b32_e32 v35, s25, v25
	v_and_b32_e32 v8, v8, v11
	v_and_b32_e32 v10, v10, v34
	v_xor_b32_e32 v24, s22, v24
	v_and_b32_e32 v8, v8, v19
	v_and_b32_e32 v19, v10, v35
	v_xor_b32_e32 v25, s24, v25
	v_and_b32_e32 v8, v8, v24
	v_mov_b32_e32 v36, v9
	v_and_b32_e32 v8, v8, v25
	v_mul_u32_u24_e32 v16, 20, v2
	ds_write2_b32 v16, v9, v9 offset0:8 offset1:9
	ds_write2_b32 v16, v9, v9 offset0:10 offset1:11
	ds_write_b32 v16, v9 offset:48
	s_waitcnt lgkmcnt(0)
	s_barrier
	s_waitcnt vmcnt(0)
	; wave barrier
	v_mad_u64_u32 v[10:11], s[12:13], v21, v17, v[2:3]
	v_lshrrev_b32_e32 v10, 4, v10
	v_and_b32_e32 v25, 0xffffffc, v10
	v_not_b32_e32 v10, v37
	v_cmp_gt_i64_e64 s[12:13], 0, v[36:37]
	v_ashrrev_i32_e32 v10, 31, v10
	s_nop 0
	v_xor_b32_e32 v11, s13, v10
	v_xor_b32_e32 v10, s12, v10
	v_and_b32_e32 v10, v8, v10
	v_and_b32_e32 v11, v19, v11
	v_mbcnt_lo_u32_b32 v8, v10, 0
	v_mbcnt_hi_u32_b32 v17, v11, v8
	v_cmp_eq_u32_e64 s[12:13], 0, v17
	v_cmp_ne_u64_e64 s[14:15], 0, v[10:11]
	s_and_b64 s[14:15], s[14:15], s[12:13]
	v_add_u32_e32 v19, v25, v26
	s_and_saveexec_b64 s[12:13], s[14:15]
; %bb.14:
	v_bcnt_u32_b32 v8, v10, 0
	v_bcnt_u32_b32 v8, v11, v8
	ds_write_b32 v19, v8 offset:32
; %bb.15:
	s_or_b64 exec, exec, s[12:13]
	v_lshrrev_b32_e32 v8, s44, v18
	v_and_b32_e32 v21, s50, v8
	v_mad_u32_u24 v8, v21, 36, v25
	; wave barrier
	ds_read_b32 v18, v8 offset:32
	v_and_b32_e32 v8, 1, v21
	v_lshl_add_u64 v[10:11], v[8:9], 0, -1
	v_cmp_ne_u32_e64 s[12:13], 0, v8
	v_mul_u32_u24_e32 v24, 36, v21
	v_add_u32_e32 v24, v25, v24
	v_xor_b32_e32 v10, s12, v10
	v_xor_b32_e32 v8, s13, v11
	v_and_b32_e32 v26, exec_lo, v10
	v_lshlrev_b32_e32 v11, 30, v21
	v_mov_b32_e32 v10, v9
	v_cmp_gt_i64_e64 s[12:13], 0, v[10:11]
	v_not_b32_e32 v10, v11
	v_ashrrev_i32_e32 v10, 31, v10
	v_and_b32_e32 v8, exec_hi, v8
	v_xor_b32_e32 v11, s13, v10
	v_xor_b32_e32 v10, s12, v10
	v_and_b32_e32 v8, v8, v11
	v_and_b32_e32 v26, v26, v10
	v_lshlrev_b32_e32 v11, 29, v21
	v_mov_b32_e32 v10, v9
	v_cmp_gt_i64_e64 s[12:13], 0, v[10:11]
	v_not_b32_e32 v10, v11
	v_ashrrev_i32_e32 v10, 31, v10
	v_xor_b32_e32 v11, s13, v10
	v_xor_b32_e32 v10, s12, v10
	v_and_b32_e32 v8, v8, v11
	v_and_b32_e32 v26, v26, v10
	v_lshlrev_b32_e32 v11, 28, v21
	v_mov_b32_e32 v10, v9
	v_cmp_gt_i64_e64 s[12:13], 0, v[10:11]
	v_not_b32_e32 v10, v11
	v_ashrrev_i32_e32 v10, 31, v10
	;; [unrolled: 9-line block ×5, first 2 shown]
	v_xor_b32_e32 v11, s13, v10
	v_xor_b32_e32 v10, s12, v10
	v_and_b32_e32 v8, v8, v11
	v_lshlrev_b32_e32 v11, 24, v21
	v_and_b32_e32 v26, v26, v10
	v_mov_b32_e32 v10, v9
	v_not_b32_e32 v9, v11
	v_cmp_gt_i64_e64 s[12:13], 0, v[10:11]
	v_ashrrev_i32_e32 v9, 31, v9
	s_nop 0
	v_xor_b32_e32 v10, s13, v9
	v_xor_b32_e32 v11, s12, v9
	v_and_b32_e32 v9, v8, v10
	v_and_b32_e32 v8, v26, v11
	v_mbcnt_lo_u32_b32 v10, v8, 0
	v_mbcnt_hi_u32_b32 v21, v9, v10
	v_cmp_eq_u32_e64 s[12:13], 0, v21
	v_cmp_ne_u64_e64 s[14:15], 0, v[8:9]
	s_and_b64 s[14:15], s[14:15], s[12:13]
	; wave barrier
	s_and_saveexec_b64 s[12:13], s[14:15]
	s_cbranch_execz .LBB25_17
; %bb.16:
	v_bcnt_u32_b32 v8, v8, 0
	v_bcnt_u32_b32 v8, v9, v8
	s_waitcnt lgkmcnt(0)
	v_add_u32_e32 v8, v18, v8
	ds_write_b32 v24, v8 offset:32
.LBB25_17:
	s_or_b64 exec, exec, s[12:13]
	v_lshrrev_b32_e32 v8, s44, v22
	v_and_b32_e32 v26, s50, v8
	v_mad_u32_u24 v8, v26, 36, v25
	; wave barrier
	ds_read_b32 v22, v8 offset:32
	v_and_b32_e32 v8, 1, v26
	v_mov_b32_e32 v9, 0
	v_lshl_add_u64 v[10:11], v[8:9], 0, -1
	v_cmp_ne_u32_e64 s[12:13], 0, v8
	v_mul_u32_u24_e32 v28, 36, v26
	v_add_u32_e32 v28, v25, v28
	v_xor_b32_e32 v10, s12, v10
	v_xor_b32_e32 v8, s13, v11
	v_and_b32_e32 v29, exec_lo, v10
	v_lshlrev_b32_e32 v11, 30, v26
	v_mov_b32_e32 v10, v9
	v_cmp_gt_i64_e64 s[12:13], 0, v[10:11]
	v_not_b32_e32 v10, v11
	v_ashrrev_i32_e32 v10, 31, v10
	v_and_b32_e32 v8, exec_hi, v8
	v_xor_b32_e32 v11, s13, v10
	v_xor_b32_e32 v10, s12, v10
	v_and_b32_e32 v8, v8, v11
	v_and_b32_e32 v29, v29, v10
	v_lshlrev_b32_e32 v11, 29, v26
	v_mov_b32_e32 v10, v9
	v_cmp_gt_i64_e64 s[12:13], 0, v[10:11]
	v_not_b32_e32 v10, v11
	v_ashrrev_i32_e32 v10, 31, v10
	v_xor_b32_e32 v11, s13, v10
	v_xor_b32_e32 v10, s12, v10
	v_and_b32_e32 v8, v8, v11
	v_and_b32_e32 v29, v29, v10
	v_lshlrev_b32_e32 v11, 28, v26
	v_mov_b32_e32 v10, v9
	v_cmp_gt_i64_e64 s[12:13], 0, v[10:11]
	v_not_b32_e32 v10, v11
	v_ashrrev_i32_e32 v10, 31, v10
	;; [unrolled: 9-line block ×6, first 2 shown]
	v_xor_b32_e32 v11, s13, v10
	v_xor_b32_e32 v10, s12, v10
	v_and_b32_e32 v10, v29, v10
	v_and_b32_e32 v11, v8, v11
	v_mbcnt_lo_u32_b32 v8, v10, 0
	v_mbcnt_hi_u32_b32 v26, v11, v8
	v_cmp_eq_u32_e64 s[12:13], 0, v26
	v_cmp_ne_u64_e64 s[14:15], 0, v[10:11]
	s_and_b64 s[14:15], s[14:15], s[12:13]
	; wave barrier
	s_and_saveexec_b64 s[12:13], s[14:15]
	s_cbranch_execz .LBB25_19
; %bb.18:
	v_bcnt_u32_b32 v8, v10, 0
	v_bcnt_u32_b32 v8, v11, v8
	s_waitcnt lgkmcnt(0)
	v_add_u32_e32 v8, v22, v8
	ds_write_b32 v28, v8 offset:32
.LBB25_19:
	s_or_b64 exec, exec, s[12:13]
	v_lshrrev_b32_e32 v8, s44, v27
	v_and_b32_e32 v29, s50, v8
	v_mad_u32_u24 v8, v29, 36, v25
	; wave barrier
	ds_read_b32 v27, v8 offset:32
	v_and_b32_e32 v8, 1, v29
	v_lshl_add_u64 v[10:11], v[8:9], 0, -1
	v_cmp_ne_u32_e64 s[12:13], 0, v8
	v_mul_u32_u24_e32 v31, 36, v29
	s_nop 0
	v_xor_b32_e32 v10, s12, v10
	v_xor_b32_e32 v8, s13, v11
	v_and_b32_e32 v30, exec_lo, v10
	v_lshlrev_b32_e32 v11, 30, v29
	v_mov_b32_e32 v10, v9
	v_cmp_gt_i64_e64 s[12:13], 0, v[10:11]
	v_not_b32_e32 v10, v11
	v_ashrrev_i32_e32 v10, 31, v10
	v_and_b32_e32 v8, exec_hi, v8
	v_xor_b32_e32 v11, s13, v10
	v_xor_b32_e32 v10, s12, v10
	v_and_b32_e32 v8, v8, v11
	v_and_b32_e32 v30, v30, v10
	v_lshlrev_b32_e32 v11, 29, v29
	v_mov_b32_e32 v10, v9
	v_cmp_gt_i64_e64 s[12:13], 0, v[10:11]
	v_not_b32_e32 v10, v11
	v_ashrrev_i32_e32 v10, 31, v10
	v_xor_b32_e32 v11, s13, v10
	v_xor_b32_e32 v10, s12, v10
	v_and_b32_e32 v8, v8, v11
	v_and_b32_e32 v30, v30, v10
	v_lshlrev_b32_e32 v11, 28, v29
	v_mov_b32_e32 v10, v9
	v_cmp_gt_i64_e64 s[12:13], 0, v[10:11]
	v_not_b32_e32 v10, v11
	v_ashrrev_i32_e32 v10, 31, v10
	;; [unrolled: 9-line block ×5, first 2 shown]
	v_xor_b32_e32 v11, s13, v10
	v_xor_b32_e32 v10, s12, v10
	v_and_b32_e32 v8, v8, v11
	v_lshlrev_b32_e32 v11, 24, v29
	v_and_b32_e32 v30, v30, v10
	v_mov_b32_e32 v10, v9
	v_not_b32_e32 v9, v11
	v_cmp_gt_i64_e64 s[12:13], 0, v[10:11]
	v_ashrrev_i32_e32 v9, 31, v9
	v_add_u32_e32 v29, v25, v31
	v_xor_b32_e32 v10, s13, v9
	v_xor_b32_e32 v11, s12, v9
	v_and_b32_e32 v9, v8, v10
	v_and_b32_e32 v8, v30, v11
	v_mbcnt_lo_u32_b32 v10, v8, 0
	v_mbcnt_hi_u32_b32 v30, v9, v10
	v_cmp_eq_u32_e64 s[12:13], 0, v30
	v_cmp_ne_u64_e64 s[14:15], 0, v[8:9]
	s_and_b64 s[14:15], s[14:15], s[12:13]
	; wave barrier
	s_and_saveexec_b64 s[12:13], s[14:15]
	s_cbranch_execz .LBB25_21
; %bb.20:
	v_bcnt_u32_b32 v8, v8, 0
	v_bcnt_u32_b32 v8, v9, v8
	s_waitcnt lgkmcnt(0)
	v_add_u32_e32 v8, v27, v8
	ds_write_b32 v29, v8 offset:32
.LBB25_21:
	s_or_b64 exec, exec, s[12:13]
	v_lshrrev_b32_e32 v8, s44, v23
	v_and_b32_e32 v31, s50, v8
	v_mad_u32_u24 v8, v31, 36, v25
	; wave barrier
	ds_read_b32 v23, v8 offset:32
	v_and_b32_e32 v8, 1, v31
	v_mov_b32_e32 v9, 0
	v_lshl_add_u64 v[10:11], v[8:9], 0, -1
	v_cmp_ne_u32_e64 s[12:13], 0, v8
	v_mul_u32_u24_e32 v32, 36, v31
	v_add_u32_e32 v32, v25, v32
	v_xor_b32_e32 v10, s12, v10
	v_xor_b32_e32 v8, s13, v11
	v_and_b32_e32 v33, exec_lo, v10
	v_lshlrev_b32_e32 v11, 30, v31
	v_mov_b32_e32 v10, v9
	v_cmp_gt_i64_e64 s[12:13], 0, v[10:11]
	v_not_b32_e32 v10, v11
	v_ashrrev_i32_e32 v10, 31, v10
	v_and_b32_e32 v8, exec_hi, v8
	v_xor_b32_e32 v11, s13, v10
	v_xor_b32_e32 v10, s12, v10
	v_and_b32_e32 v8, v8, v11
	v_and_b32_e32 v33, v33, v10
	v_lshlrev_b32_e32 v11, 29, v31
	v_mov_b32_e32 v10, v9
	v_cmp_gt_i64_e64 s[12:13], 0, v[10:11]
	v_not_b32_e32 v10, v11
	v_ashrrev_i32_e32 v10, 31, v10
	v_xor_b32_e32 v11, s13, v10
	v_xor_b32_e32 v10, s12, v10
	v_and_b32_e32 v8, v8, v11
	v_and_b32_e32 v33, v33, v10
	v_lshlrev_b32_e32 v11, 28, v31
	v_mov_b32_e32 v10, v9
	v_cmp_gt_i64_e64 s[12:13], 0, v[10:11]
	v_not_b32_e32 v10, v11
	v_ashrrev_i32_e32 v10, 31, v10
	;; [unrolled: 9-line block ×6, first 2 shown]
	v_xor_b32_e32 v11, s13, v10
	v_xor_b32_e32 v10, s12, v10
	v_and_b32_e32 v10, v33, v10
	v_and_b32_e32 v11, v8, v11
	v_mbcnt_lo_u32_b32 v8, v10, 0
	v_mbcnt_hi_u32_b32 v31, v11, v8
	v_cmp_eq_u32_e64 s[12:13], 0, v31
	v_cmp_ne_u64_e64 s[14:15], 0, v[10:11]
	s_and_b64 s[14:15], s[14:15], s[12:13]
	; wave barrier
	s_and_saveexec_b64 s[12:13], s[14:15]
	s_cbranch_execz .LBB25_23
; %bb.22:
	v_bcnt_u32_b32 v8, v10, 0
	v_bcnt_u32_b32 v8, v11, v8
	s_waitcnt lgkmcnt(0)
	v_add_u32_e32 v8, v23, v8
	ds_write_b32 v32, v8 offset:32
.LBB25_23:
	s_or_b64 exec, exec, s[12:13]
	v_lshrrev_b32_e32 v8, s44, v20
	v_and_b32_e32 v33, s50, v8
	v_mad_u32_u24 v8, v33, 36, v25
	; wave barrier
	ds_read_b32 v20, v8 offset:32
	v_and_b32_e32 v8, 1, v33
	v_lshl_add_u64 v[10:11], v[8:9], 0, -1
	v_cmp_ne_u32_e64 s[12:13], 0, v8
	v_mul_u32_u24_e32 v34, 36, v33
	v_add_u32_e32 v25, v25, v34
	v_xor_b32_e32 v10, s12, v10
	v_xor_b32_e32 v8, s13, v11
	v_and_b32_e32 v35, exec_lo, v10
	v_lshlrev_b32_e32 v11, 30, v33
	v_mov_b32_e32 v10, v9
	v_cmp_gt_i64_e64 s[12:13], 0, v[10:11]
	v_not_b32_e32 v10, v11
	v_ashrrev_i32_e32 v10, 31, v10
	v_and_b32_e32 v8, exec_hi, v8
	v_xor_b32_e32 v11, s13, v10
	v_xor_b32_e32 v10, s12, v10
	v_and_b32_e32 v8, v8, v11
	v_and_b32_e32 v35, v35, v10
	v_lshlrev_b32_e32 v11, 29, v33
	v_mov_b32_e32 v10, v9
	v_cmp_gt_i64_e64 s[12:13], 0, v[10:11]
	v_not_b32_e32 v10, v11
	v_ashrrev_i32_e32 v10, 31, v10
	v_xor_b32_e32 v11, s13, v10
	v_xor_b32_e32 v10, s12, v10
	v_and_b32_e32 v8, v8, v11
	v_and_b32_e32 v35, v35, v10
	v_lshlrev_b32_e32 v11, 28, v33
	v_mov_b32_e32 v10, v9
	v_cmp_gt_i64_e64 s[12:13], 0, v[10:11]
	v_not_b32_e32 v10, v11
	v_ashrrev_i32_e32 v10, 31, v10
	;; [unrolled: 9-line block ×5, first 2 shown]
	v_xor_b32_e32 v11, s13, v10
	v_xor_b32_e32 v10, s12, v10
	v_and_b32_e32 v8, v8, v11
	v_lshlrev_b32_e32 v11, 24, v33
	v_and_b32_e32 v35, v35, v10
	v_mov_b32_e32 v10, v9
	v_not_b32_e32 v9, v11
	v_cmp_gt_i64_e64 s[12:13], 0, v[10:11]
	v_ashrrev_i32_e32 v9, 31, v9
	s_nop 0
	v_xor_b32_e32 v10, s13, v9
	v_xor_b32_e32 v11, s12, v9
	v_and_b32_e32 v9, v8, v10
	v_and_b32_e32 v8, v35, v11
	v_mbcnt_lo_u32_b32 v10, v8, 0
	v_mbcnt_hi_u32_b32 v33, v9, v10
	v_cmp_eq_u32_e64 s[12:13], 0, v33
	v_cmp_ne_u64_e64 s[14:15], 0, v[8:9]
	s_and_b64 s[14:15], s[14:15], s[12:13]
	; wave barrier
	s_and_saveexec_b64 s[12:13], s[14:15]
	s_cbranch_execz .LBB25_25
; %bb.24:
	v_bcnt_u32_b32 v8, v8, 0
	v_bcnt_u32_b32 v8, v9, v8
	s_waitcnt lgkmcnt(0)
	v_add_u32_e32 v8, v20, v8
	ds_write_b32 v25, v8 offset:32
.LBB25_25:
	s_or_b64 exec, exec, s[12:13]
	; wave barrier
	s_waitcnt lgkmcnt(0)
	s_barrier
	ds_read2_b32 v[10:11], v16 offset0:8 offset1:9
	ds_read2_b32 v[8:9], v16 offset0:10 offset1:11
	ds_read_b32 v34, v16 offset:48
	v_min_u32_e32 v15, 0x1c0, v15
	v_or_b32_e32 v15, 63, v15
	s_waitcnt lgkmcnt(1)
	v_add3_u32 v35, v11, v10, v8
	s_waitcnt lgkmcnt(0)
	v_add3_u32 v34, v35, v9, v34
	v_and_b32_e32 v35, 15, v6
	v_cmp_ne_u32_e64 s[12:13], 0, v35
	v_mov_b32_dpp v36, v34 row_shr:1 row_mask:0xf bank_mask:0xf
	s_nop 0
	v_cndmask_b32_e64 v36, 0, v36, s[12:13]
	v_add_u32_e32 v34, v36, v34
	v_cmp_lt_u32_e64 s[12:13], 1, v35
	s_nop 0
	v_mov_b32_dpp v36, v34 row_shr:2 row_mask:0xf bank_mask:0xf
	v_cndmask_b32_e64 v36, 0, v36, s[12:13]
	v_add_u32_e32 v34, v34, v36
	v_cmp_lt_u32_e64 s[12:13], 3, v35
	s_nop 0
	v_mov_b32_dpp v36, v34 row_shr:4 row_mask:0xf bank_mask:0xf
	;; [unrolled: 5-line block ×3, first 2 shown]
	v_cndmask_b32_e64 v35, 0, v36, s[12:13]
	v_add_u32_e32 v34, v34, v35
	v_bfe_i32 v36, v6, 4, 1
	v_cmp_lt_u32_e64 s[12:13], 31, v6
	v_mov_b32_dpp v35, v34 row_bcast:15 row_mask:0xf bank_mask:0xf
	v_and_b32_e32 v35, v36, v35
	v_add_u32_e32 v34, v34, v35
	s_nop 1
	v_mov_b32_dpp v35, v34 row_bcast:31 row_mask:0xf bank_mask:0xf
	v_cndmask_b32_e64 v35, 0, v35, s[12:13]
	v_add_u32_e32 v34, v34, v35
	v_lshrrev_b32_e32 v35, 6, v2
	v_cmp_eq_u32_e64 s[12:13], v2, v15
	s_and_saveexec_b64 s[14:15], s[12:13]
; %bb.26:
	v_lshlrev_b32_e32 v15, 2, v35
	ds_write_b32 v15, v34
; %bb.27:
	s_or_b64 exec, exec, s[14:15]
	v_cmp_gt_u32_e64 s[12:13], 8, v2
	s_waitcnt lgkmcnt(0)
	s_barrier
	s_and_saveexec_b64 s[14:15], s[12:13]
	s_cbranch_execz .LBB25_29
; %bb.28:
	v_lshlrev_b32_e32 v15, 2, v2
	ds_read_b32 v36, v15
	v_and_b32_e32 v37, 7, v6
	v_cmp_ne_u32_e64 s[12:13], 0, v37
	s_waitcnt lgkmcnt(0)
	v_mov_b32_dpp v38, v36 row_shr:1 row_mask:0xf bank_mask:0xf
	v_cndmask_b32_e64 v38, 0, v38, s[12:13]
	v_add_u32_e32 v36, v38, v36
	v_cmp_lt_u32_e64 s[12:13], 1, v37
	s_nop 0
	v_mov_b32_dpp v38, v36 row_shr:2 row_mask:0xf bank_mask:0xf
	v_cndmask_b32_e64 v38, 0, v38, s[12:13]
	v_add_u32_e32 v36, v36, v38
	v_cmp_lt_u32_e64 s[12:13], 3, v37
	s_nop 0
	v_mov_b32_dpp v38, v36 row_shr:4 row_mask:0xf bank_mask:0xf
	v_cndmask_b32_e64 v37, 0, v38, s[12:13]
	v_add_u32_e32 v36, v36, v37
	ds_write_b32 v15, v36
.LBB25_29:
	s_or_b64 exec, exec, s[14:15]
	v_cmp_lt_u32_e64 s[12:13], 63, v2
	v_mov_b32_e32 v15, 0
	s_waitcnt lgkmcnt(0)
	s_barrier
	s_and_saveexec_b64 s[14:15], s[12:13]
; %bb.30:
	v_lshl_add_u32 v15, v35, 2, -4
	ds_read_b32 v15, v15
; %bb.31:
	s_or_b64 exec, exec, s[14:15]
	v_add_u32_e32 v35, -1, v6
	v_and_b32_e32 v36, 64, v6
	v_cmp_lt_i32_e64 s[12:13], v35, v36
	s_waitcnt lgkmcnt(0)
	v_add_u32_e32 v34, v15, v34
	s_movk_i32 s16, 0x100
	v_cndmask_b32_e64 v35, v35, v6, s[12:13]
	v_lshlrev_b32_e32 v35, 2, v35
	ds_bpermute_b32 v34, v35, v34
	v_cmp_eq_u32_e64 s[12:13], 0, v6
	v_cmp_gt_u32_e64 s[14:15], s16, v2
	s_waitcnt lgkmcnt(0)
	v_cndmask_b32_e64 v15, v34, v15, s[12:13]
	v_cmp_ne_u32_e64 s[12:13], 0, v2
	s_nop 1
	v_cndmask_b32_e64 v15, 0, v15, s[12:13]
	v_add_u32_e32 v10, v15, v10
	v_add_u32_e32 v11, v10, v11
	;; [unrolled: 1-line block ×4, first 2 shown]
	ds_write2_b32 v16, v15, v10 offset0:8 offset1:9
	ds_write2_b32 v16, v11, v8 offset0:10 offset1:11
	ds_write_b32 v16, v9 offset:48
	s_waitcnt lgkmcnt(0)
	s_barrier
	ds_read_b32 v11, v19 offset:32
	ds_read_b32 v15, v24 offset:32
	;; [unrolled: 1-line block ×6, first 2 shown]
	s_movk_i32 s12, 0xff
	v_cmp_lt_u32_e64 s[12:13], s12, v2
	v_mov_b64_e32 v[8:9], 0
                                        ; implicit-def: $vgpr10
	s_and_saveexec_b64 s[18:19], s[14:15]
	s_cbranch_execz .LBB25_35
; %bb.32:
	v_mul_u32_u24_e32 v8, 36, v2
	ds_read_b32 v8, v8 offset:32
	v_add_u32_e32 v10, 1, v2
	v_cmp_ne_u32_e64 s[16:17], s16, v10
	v_mov_b32_e32 v9, 0xc00
	s_and_saveexec_b64 s[20:21], s[16:17]
; %bb.33:
	v_mul_u32_u24_e32 v9, 36, v10
	ds_read_b32 v9, v9 offset:32
; %bb.34:
	s_or_b64 exec, exec, s[20:21]
	s_waitcnt lgkmcnt(0)
	v_sub_u32_e32 v10, v9, v8
	v_mov_b32_e32 v9, 0
.LBB25_35:
	s_or_b64 exec, exec, s[18:19]
	s_waitcnt lgkmcnt(5)
	v_add_u32_e32 v29, v11, v17
	s_waitcnt lgkmcnt(4)
	v_add3_u32 v28, v21, v18, v15
	s_waitcnt lgkmcnt(3)
	v_add3_u32 v25, v26, v22, v16
	;; [unrolled: 2-line block ×5, first 2 shown]
	s_barrier
	ds_write_b8 v29, v5 offset:2048
	ds_write_b8 v28, v3 offset:2048
	;; [unrolled: 1-line block ×6, first 2 shown]
	v_mov_b32_e32 v13, 0
	v_mov_b32_e32 v3, v13
	v_lshlrev_b32_e32 v11, 3, v2
	s_waitcnt lgkmcnt(0)
	s_barrier
	s_and_saveexec_b64 s[16:17], s[14:15]
	s_cbranch_execz .LBB25_45
; %bb.36:
	v_lshl_add_u32 v12, s2, 8, v2
	v_lshl_add_u64 v[14:15], v[12:13], 2, s[48:49]
	v_or_b32_e32 v5, 2.0, v10
	global_store_dword v[14:15], v5, off sc1
	s_mov_b64 s[18:19], 0
	s_brev_b32 s24, -4
	s_mov_b32 s25, s2
	v_mov_b32_e32 v5, 0
                                        ; implicit-def: $sgpr14_sgpr15
	s_branch .LBB25_39
.LBB25_37:                              ;   in Loop: Header=BB25_39 Depth=1
	s_or_b64 exec, exec, s[22:23]
.LBB25_38:                              ;   in Loop: Header=BB25_39 Depth=1
	s_or_b64 exec, exec, s[20:21]
	v_and_b32_e32 v12, 0x3fffffff, v7
	v_add_u32_e32 v5, v12, v5
	v_cmp_gt_i32_e64 s[14:15], -2.0, v7
	s_and_b64 s[20:21], exec, s[14:15]
	s_or_b64 s[18:19], s[20:21], s[18:19]
	s_andn2_b64 exec, exec, s[18:19]
	s_cbranch_execz .LBB25_44
.LBB25_39:                              ; =>This Loop Header: Depth=1
                                        ;     Child Loop BB25_42 Depth 2
	s_or_b64 s[14:15], s[14:15], exec
	s_cmp_eq_u32 s25, 0
	s_cbranch_scc1 .LBB25_43
; %bb.40:                               ;   in Loop: Header=BB25_39 Depth=1
	s_add_i32 s25, s25, -1
	v_lshl_or_b32 v12, s25, 8, v2
	v_lshl_add_u64 v[16:17], v[12:13], 2, s[48:49]
	global_load_dword v7, v[16:17], off sc1
	s_waitcnt vmcnt(0)
	v_cmp_gt_u32_e64 s[14:15], 2.0, v7
	s_and_saveexec_b64 s[20:21], s[14:15]
	s_cbranch_execz .LBB25_38
; %bb.41:                               ;   in Loop: Header=BB25_39 Depth=1
	s_mov_b64 s[22:23], 0
.LBB25_42:                              ;   Parent Loop BB25_39 Depth=1
                                        ; =>  This Inner Loop Header: Depth=2
	global_load_dword v7, v[16:17], off sc1
	s_waitcnt vmcnt(0)
	v_cmp_lt_u32_e64 s[14:15], s24, v7
	s_or_b64 s[22:23], s[14:15], s[22:23]
	s_andn2_b64 exec, exec, s[22:23]
	s_cbranch_execnz .LBB25_42
	s_branch .LBB25_37
.LBB25_43:                              ;   in Loop: Header=BB25_39 Depth=1
                                        ; implicit-def: $sgpr25
	s_and_b64 s[20:21], exec, s[14:15]
	s_or_b64 s[18:19], s[20:21], s[18:19]
	s_andn2_b64 exec, exec, s[18:19]
	s_cbranch_execnz .LBB25_39
.LBB25_44:
	s_or_b64 exec, exec, s[18:19]
	v_add_u32_e32 v12, v5, v10
	v_or_b32_e32 v12, 0x80000000, v12
	v_lshlrev_b32_e32 v7, 3, v2
	global_store_dword v[14:15], v12, off sc1
	global_load_dwordx2 v[12:13], v7, s[28:29]
	v_sub_co_u32_e64 v14, s[14:15], v5, v8
	s_nop 1
	v_subb_co_u32_e64 v15, s[14:15], 0, v9, s[14:15]
	s_waitcnt vmcnt(0)
	v_lshl_add_u64 v[12:13], v[14:15], 0, v[12:13]
	ds_write_b64 v11, v[12:13]
.LBB25_45:
	s_or_b64 exec, exec, s[16:17]
	v_cmp_gt_u32_e64 s[22:23], s33, v2
	s_waitcnt lgkmcnt(0)
	s_barrier
	s_and_saveexec_b64 s[14:15], s[22:23]
	s_cbranch_execz .LBB25_47
; %bb.46:
	ds_read_u8 v5, v2 offset:2048
	s_waitcnt lgkmcnt(0)
	v_lshrrev_b32_sdwa v7, s44, v5 dst_sel:DWORD dst_unused:UNUSED_PAD src0_sel:DWORD src1_sel:BYTE_0
	v_and_b32_e32 v7, s50, v7
	v_lshlrev_b32_e32 v7, 3, v7
	ds_read_b64 v[12:13], v7
	s_waitcnt lgkmcnt(0)
	v_lshl_add_u64 v[12:13], s[38:39], 0, v[12:13]
	v_lshl_add_u64 v[12:13], v[12:13], 0, v[2:3]
	global_store_byte v[12:13], v5, off
.LBB25_47:
	s_or_b64 exec, exec, s[14:15]
	v_add_u32_e32 v32, 0x200, v2
	v_cmp_gt_u32_e64 s[24:25], s33, v32
	s_and_saveexec_b64 s[14:15], s[24:25]
	s_cbranch_execz .LBB25_49
; %bb.48:
	ds_read_u8 v5, v2 offset:2560
	s_waitcnt lgkmcnt(0)
	v_lshrrev_b32_sdwa v7, s44, v5 dst_sel:DWORD dst_unused:UNUSED_PAD src0_sel:DWORD src1_sel:BYTE_0
	v_and_b32_e32 v7, s50, v7
	v_lshlrev_b32_e32 v7, 3, v7
	ds_read_b64 v[12:13], v7
	s_waitcnt lgkmcnt(0)
	v_lshl_add_u64 v[12:13], s[38:39], 0, v[12:13]
	v_lshl_add_u64 v[12:13], v[12:13], 0, v[2:3]
	global_store_byte v[12:13], v5, off offset:512
.LBB25_49:
	s_or_b64 exec, exec, s[14:15]
	v_or_b32_e32 v31, 0x400, v2
	v_cmp_gt_u32_e64 s[20:21], s33, v31
	s_and_saveexec_b64 s[14:15], s[20:21]
	s_cbranch_execz .LBB25_51
; %bb.50:
	ds_read_u8 v5, v2 offset:3072
	s_waitcnt lgkmcnt(0)
	v_lshrrev_b32_sdwa v7, s44, v5 dst_sel:DWORD dst_unused:UNUSED_PAD src0_sel:DWORD src1_sel:BYTE_0
	v_and_b32_e32 v7, s50, v7
	v_lshlrev_b32_e32 v7, 3, v7
	ds_read_b64 v[12:13], v7
	s_waitcnt lgkmcnt(0)
	v_lshl_add_u64 v[12:13], s[38:39], 0, v[12:13]
	v_lshl_add_u64 v[12:13], v[12:13], 0, v[2:3]
	global_store_byte v[12:13], v5, off offset:1024
.LBB25_51:
	s_or_b64 exec, exec, s[14:15]
	v_add_u32_e32 v30, 0x600, v2
	v_cmp_gt_u32_e64 s[18:19], s33, v30
	s_and_saveexec_b64 s[14:15], s[18:19]
	s_cbranch_execz .LBB25_53
; %bb.52:
	ds_read_u8 v5, v2 offset:3584
	s_waitcnt lgkmcnt(0)
	v_lshrrev_b32_sdwa v7, s44, v5 dst_sel:DWORD dst_unused:UNUSED_PAD src0_sel:DWORD src1_sel:BYTE_0
	v_and_b32_e32 v7, s50, v7
	v_lshlrev_b32_e32 v7, 3, v7
	ds_read_b64 v[12:13], v7
	s_waitcnt lgkmcnt(0)
	v_lshl_add_u64 v[12:13], s[38:39], 0, v[12:13]
	v_lshl_add_u64 v[12:13], v[12:13], 0, v[2:3]
	global_store_byte v[12:13], v5, off offset:1536
.LBB25_53:
	s_or_b64 exec, exec, s[14:15]
	v_or_b32_e32 v27, 0x800, v2
	v_cmp_gt_u32_e64 s[16:17], s33, v27
	s_and_saveexec_b64 s[14:15], s[16:17]
	s_cbranch_execz .LBB25_55
; %bb.54:
	ds_read_u8 v5, v2 offset:4096
	s_waitcnt lgkmcnt(0)
	v_lshrrev_b32_sdwa v7, s44, v5 dst_sel:DWORD dst_unused:UNUSED_PAD src0_sel:DWORD src1_sel:BYTE_0
	v_and_b32_e32 v7, s50, v7
	v_lshlrev_b32_e32 v7, 3, v7
	ds_read_b64 v[12:13], v7
	s_waitcnt lgkmcnt(0)
	v_lshl_add_u64 v[12:13], s[38:39], 0, v[12:13]
	v_lshl_add_u64 v[12:13], v[12:13], 0, v[2:3]
	global_store_byte v[12:13], v5, off offset:2048
.LBB25_55:
	s_or_b64 exec, exec, s[14:15]
	v_add_u32_e32 v26, 0xa00, v2
	v_cmp_gt_u32_e64 s[14:15], s33, v26
	s_and_saveexec_b64 s[46:47], s[14:15]
	s_cbranch_execz .LBB25_57
; %bb.56:
	ds_read_u8 v5, v2 offset:4608
	s_waitcnt lgkmcnt(0)
	v_lshrrev_b32_sdwa v7, s44, v5 dst_sel:DWORD dst_unused:UNUSED_PAD src0_sel:DWORD src1_sel:BYTE_0
	v_and_b32_e32 v7, s50, v7
	v_lshlrev_b32_e32 v7, 3, v7
	ds_read_b64 v[12:13], v7
	s_waitcnt lgkmcnt(0)
	v_lshl_add_u64 v[12:13], s[38:39], 0, v[12:13]
	v_lshl_add_u64 v[12:13], v[12:13], 0, v[2:3]
	global_store_byte v[12:13], v5, off offset:2560
.LBB25_57:
	s_or_b64 exec, exec, s[46:47]
	s_lshl_b64 s[46:47], s[34:35], 3
	s_add_u32 s46, s40, s46
	s_addc_u32 s47, s41, s47
	v_lshlrev_b32_e32 v6, 3, v6
	v_mov_b32_e32 v7, 0
	v_lshl_add_u64 v[12:13], s[46:47], 0, v[6:7]
	v_lshlrev_b32_e32 v6, 3, v4
	v_lshl_add_u64 v[20:21], v[12:13], 0, v[6:7]
                                        ; implicit-def: $vgpr4_vgpr5
	s_and_saveexec_b64 s[46:47], vcc
	s_xor_b64 s[46:47], exec, s[46:47]
	s_cbranch_execz .LBB25_63
; %bb.58:
	global_load_dwordx2 v[4:5], v[20:21], off
	s_or_b64 exec, exec, s[46:47]
                                        ; implicit-def: $vgpr6_vgpr7
	s_and_saveexec_b64 s[46:47], s[26:27]
	s_cbranch_execnz .LBB25_64
.LBB25_59:
	s_or_b64 exec, exec, s[46:47]
                                        ; implicit-def: $vgpr12_vgpr13
	s_and_saveexec_b64 s[26:27], s[4:5]
	s_cbranch_execz .LBB25_65
.LBB25_60:
	global_load_dwordx2 v[12:13], v[20:21], off offset:1024
	s_or_b64 exec, exec, s[26:27]
                                        ; implicit-def: $vgpr14_vgpr15
	s_and_saveexec_b64 s[4:5], s[6:7]
	s_cbranch_execnz .LBB25_66
.LBB25_61:
	s_or_b64 exec, exec, s[4:5]
                                        ; implicit-def: $vgpr16_vgpr17
	s_and_saveexec_b64 s[4:5], s[8:9]
	s_cbranch_execz .LBB25_67
.LBB25_62:
	global_load_dwordx2 v[16:17], v[20:21], off offset:2048
	s_or_b64 exec, exec, s[4:5]
                                        ; implicit-def: $vgpr18_vgpr19
	s_and_saveexec_b64 s[4:5], s[10:11]
	s_cbranch_execnz .LBB25_68
	s_branch .LBB25_69
.LBB25_63:
	s_or_b64 exec, exec, s[46:47]
                                        ; implicit-def: $vgpr6_vgpr7
	s_and_saveexec_b64 s[46:47], s[26:27]
	s_cbranch_execz .LBB25_59
.LBB25_64:
	global_load_dwordx2 v[6:7], v[20:21], off offset:512
	s_or_b64 exec, exec, s[46:47]
                                        ; implicit-def: $vgpr12_vgpr13
	s_and_saveexec_b64 s[26:27], s[4:5]
	s_cbranch_execnz .LBB25_60
.LBB25_65:
	s_or_b64 exec, exec, s[26:27]
                                        ; implicit-def: $vgpr14_vgpr15
	s_and_saveexec_b64 s[4:5], s[6:7]
	s_cbranch_execz .LBB25_61
.LBB25_66:
	global_load_dwordx2 v[14:15], v[20:21], off offset:1536
	s_or_b64 exec, exec, s[4:5]
                                        ; implicit-def: $vgpr16_vgpr17
	s_and_saveexec_b64 s[4:5], s[8:9]
	s_cbranch_execnz .LBB25_62
.LBB25_67:
	s_or_b64 exec, exec, s[4:5]
                                        ; implicit-def: $vgpr18_vgpr19
	s_and_saveexec_b64 s[4:5], s[10:11]
	s_cbranch_execz .LBB25_69
.LBB25_68:
	global_load_dwordx2 v[18:19], v[20:21], off offset:2560
.LBB25_69:
	s_or_b64 exec, exec, s[4:5]
	v_mov_b32_e32 v34, 0
	v_mov_b32_e32 v3, 0
	s_and_saveexec_b64 s[4:5], s[22:23]
	s_cbranch_execz .LBB25_71
; %bb.70:
	ds_read_u8 v3, v2 offset:2048
	s_waitcnt lgkmcnt(0)
	v_lshrrev_b32_e32 v3, s44, v3
	v_and_b32_e32 v3, s50, v3
.LBB25_71:
	s_or_b64 exec, exec, s[4:5]
	s_and_saveexec_b64 s[4:5], s[24:25]
	s_cbranch_execz .LBB25_73
; %bb.72:
	ds_read_u8 v20, v2 offset:2560
	s_waitcnt lgkmcnt(0)
	v_lshrrev_b32_e32 v20, s44, v20
	v_and_b32_e32 v34, s50, v20
.LBB25_73:
	s_or_b64 exec, exec, s[4:5]
	v_mov_b32_e32 v21, 0
	v_mov_b32_e32 v35, 0
	s_and_saveexec_b64 s[4:5], s[20:21]
	s_cbranch_execz .LBB25_75
; %bb.74:
	ds_read_u8 v20, v2 offset:3072
	s_waitcnt lgkmcnt(0)
	v_lshrrev_b32_e32 v20, s44, v20
	v_and_b32_e32 v35, s50, v20
.LBB25_75:
	s_or_b64 exec, exec, s[4:5]
	s_and_saveexec_b64 s[4:5], s[18:19]
	s_cbranch_execz .LBB25_77
; %bb.76:
	ds_read_u8 v20, v2 offset:3584
	s_waitcnt lgkmcnt(0)
	v_lshrrev_b32_e32 v20, s44, v20
	v_and_b32_e32 v21, s50, v20
.LBB25_77:
	;; [unrolled: 20-line block ×3, first 2 shown]
	s_or_b64 exec, exec, s[4:5]
	v_lshlrev_b32_e32 v29, 3, v29
	s_barrier
	s_waitcnt vmcnt(0)
	ds_write_b64 v29, v[4:5] offset:2048
	v_lshlrev_b32_e32 v4, 3, v28
	ds_write_b64 v4, v[6:7] offset:2048
	v_lshlrev_b32_e32 v4, 3, v25
	ds_write_b64 v4, v[12:13] offset:2048
	v_lshlrev_b32_e32 v4, 3, v24
	ds_write_b64 v4, v[14:15] offset:2048
	v_lshlrev_b32_e32 v4, 3, v23
	ds_write_b64 v4, v[16:17] offset:2048
	v_lshlrev_b32_e32 v4, 3, v22
	v_lshlrev_b32_e32 v2, 3, v2
	ds_write_b64 v4, v[18:19] offset:2048
	s_waitcnt lgkmcnt(0)
	s_barrier
	s_and_saveexec_b64 s[4:5], s[22:23]
	s_cbranch_execz .LBB25_87
; %bb.82:
	v_lshlrev_b32_e32 v3, 3, v3
	ds_read_b64 v[4:5], v3
	ds_read_b64 v[6:7], v11 offset:2048
	v_mov_b32_e32 v3, 0
	s_waitcnt lgkmcnt(1)
	v_lshl_add_u64 v[4:5], v[4:5], 3, s[42:43]
	v_lshl_add_u64 v[4:5], v[4:5], 0, v[2:3]
	s_waitcnt lgkmcnt(0)
	global_store_dwordx2 v[4:5], v[6:7], off
	s_or_b64 exec, exec, s[4:5]
	s_and_saveexec_b64 s[4:5], s[24:25]
	s_cbranch_execnz .LBB25_88
.LBB25_83:
	s_or_b64 exec, exec, s[4:5]
	s_and_saveexec_b64 s[4:5], s[20:21]
	s_cbranch_execz .LBB25_89
.LBB25_84:
	v_lshlrev_b32_e32 v3, 3, v35
	ds_read_b64 v[4:5], v3
	ds_read_b64 v[6:7], v11 offset:10240
	v_lshlrev_b32_e32 v12, 3, v31
	v_mov_b32_e32 v13, 0
	s_waitcnt lgkmcnt(1)
	v_lshl_add_u64 v[4:5], v[4:5], 3, s[42:43]
	v_lshl_add_u64 v[4:5], v[4:5], 0, v[12:13]
	s_waitcnt lgkmcnt(0)
	global_store_dwordx2 v[4:5], v[6:7], off
	s_or_b64 exec, exec, s[4:5]
	s_and_saveexec_b64 s[4:5], s[18:19]
	s_cbranch_execnz .LBB25_90
.LBB25_85:
	s_or_b64 exec, exec, s[4:5]
	s_and_saveexec_b64 s[4:5], s[16:17]
	s_cbranch_execz .LBB25_91
.LBB25_86:
	v_lshlrev_b32_e32 v3, 3, v33
	ds_read_b64 v[4:5], v3
	ds_read_b64 v[6:7], v11 offset:18432
	v_lshlrev_b32_e32 v12, 3, v27
	v_mov_b32_e32 v13, 0
	s_waitcnt lgkmcnt(1)
	v_lshl_add_u64 v[4:5], v[4:5], 3, s[42:43]
	v_lshl_add_u64 v[4:5], v[4:5], 0, v[12:13]
	s_waitcnt lgkmcnt(0)
	global_store_dwordx2 v[4:5], v[6:7], off
	s_or_b64 exec, exec, s[4:5]
	s_and_saveexec_b64 s[4:5], s[14:15]
	s_cbranch_execnz .LBB25_92
	s_branch .LBB25_93
.LBB25_87:
	s_or_b64 exec, exec, s[4:5]
	s_and_saveexec_b64 s[4:5], s[24:25]
	s_cbranch_execz .LBB25_83
.LBB25_88:
	v_lshlrev_b32_e32 v3, 3, v34
	ds_read_b64 v[4:5], v3
	ds_read_b64 v[6:7], v11 offset:6144
	v_lshlrev_b32_e32 v12, 3, v32
	v_mov_b32_e32 v13, 0
	s_waitcnt lgkmcnt(1)
	v_lshl_add_u64 v[4:5], v[4:5], 3, s[42:43]
	v_lshl_add_u64 v[4:5], v[4:5], 0, v[12:13]
	s_waitcnt lgkmcnt(0)
	global_store_dwordx2 v[4:5], v[6:7], off
	s_or_b64 exec, exec, s[4:5]
	s_and_saveexec_b64 s[4:5], s[20:21]
	s_cbranch_execnz .LBB25_84
.LBB25_89:
	s_or_b64 exec, exec, s[4:5]
	s_and_saveexec_b64 s[4:5], s[18:19]
	s_cbranch_execz .LBB25_85
.LBB25_90:
	v_lshlrev_b32_e32 v3, 3, v21
	ds_read_b64 v[4:5], v3
	ds_read_b64 v[6:7], v11 offset:14336
	v_lshlrev_b32_e32 v12, 3, v30
	v_mov_b32_e32 v13, 0
	s_waitcnt lgkmcnt(1)
	v_lshl_add_u64 v[4:5], v[4:5], 3, s[42:43]
	v_lshl_add_u64 v[4:5], v[4:5], 0, v[12:13]
	s_waitcnt lgkmcnt(0)
	global_store_dwordx2 v[4:5], v[6:7], off
	s_or_b64 exec, exec, s[4:5]
	s_and_saveexec_b64 s[4:5], s[16:17]
	s_cbranch_execnz .LBB25_86
.LBB25_91:
	s_or_b64 exec, exec, s[4:5]
	s_and_saveexec_b64 s[4:5], s[14:15]
	s_cbranch_execz .LBB25_93
.LBB25_92:
	v_lshlrev_b32_e32 v3, 3, v20
	ds_read_b64 v[4:5], v3
	ds_read_b64 v[6:7], v11 offset:22528
	v_lshlrev_b32_e32 v12, 3, v26
	v_mov_b32_e32 v13, 0
	s_waitcnt lgkmcnt(1)
	v_lshl_add_u64 v[4:5], v[4:5], 3, s[42:43]
	v_lshl_add_u64 v[4:5], v[4:5], 0, v[12:13]
	s_waitcnt lgkmcnt(0)
	global_store_dwordx2 v[4:5], v[6:7], off
.LBB25_93:
	s_or_b64 exec, exec, s[4:5]
	s_add_i32 s3, s3, -1
	s_cmp_eq_u32 s2, s3
	s_cselect_b64 s[4:5], -1, 0
	s_xor_b64 s[6:7], s[12:13], -1
	s_and_b64 s[6:7], s[6:7], s[4:5]
	s_and_saveexec_b64 s[4:5], s[6:7]
	s_cbranch_execz .LBB25_95
; %bb.94:
	ds_read_b64 v[4:5], v11
	v_mov_b32_e32 v11, 0
	v_lshl_add_u64 v[6:7], v[8:9], 0, v[10:11]
	s_waitcnt lgkmcnt(0)
	v_lshl_add_u64 v[4:5], v[6:7], 0, v[4:5]
	global_store_dwordx2 v2, v[4:5], s[30:31]
.LBB25_95:
	s_or_b64 exec, exec, s[4:5]
	s_mov_b64 s[4:5], 0
.LBB25_96:
	s_and_b64 vcc, exec, s[4:5]
	s_cbranch_vccz .LBB25_131
; %bb.97:
	s_add_u32 s4, s36, s34
	s_addc_u32 s5, s37, 0
	v_mbcnt_hi_u32_b32 v6, -1, v1
	v_and_b32_e32 v15, 0x1c0, v0
	v_mov_b32_e32 v7, 0
	v_mul_u32_u24_e32 v4, 6, v15
	v_lshl_add_u64 v[2:3], s[4:5], 0, v[6:7]
	v_mov_b32_e32 v5, v7
	v_lshl_add_u64 v[8:9], v[2:3], 0, v[4:5]
	global_load_ubyte v3, v[8:9], off
	s_load_dword s4, s[0:1], 0x5c
	s_load_dword s3, s[0:1], 0x50
	s_add_u32 s0, s0, 0x50
	s_addc_u32 s1, s1, 0
	v_and_b32_e32 v2, 0x3ff, v0
	s_waitcnt lgkmcnt(0)
	s_lshr_b32 s4, s4, 16
	s_cmp_lt_u32 s2, s3
	s_cselect_b32 s5, 12, 18
	s_add_u32 s0, s0, s5
	s_addc_u32 s1, s1, 0
	global_load_ushort v26, v7, s[0:1]
	v_mul_u32_u24_e32 v5, 20, v2
	ds_write2_b32 v5, v7, v7 offset0:8 offset1:9
	ds_write2_b32 v5, v7, v7 offset0:10 offset1:11
	ds_write_b32 v5, v7 offset:48
	global_load_ubyte v10, v[8:9], off offset:64
	global_load_ubyte v11, v[8:9], off offset:128
	;; [unrolled: 1-line block ×5, first 2 shown]
	v_bfe_u32 v17, v0, 10, 10
	v_bfe_u32 v0, v0, 20, 10
	v_mad_u32_u24 v27, v0, s4, v17
	s_lshl_b32 s0, -1, s45
	v_mov_b32_e32 v1, v7
	v_mov_b32_e32 v16, v7
	;; [unrolled: 1-line block ×5, first 2 shown]
	s_not_b32 s12, s0
	v_mov_b32_e32 v24, v7
	s_mov_b32 s35, 0
	s_waitcnt lgkmcnt(0)
	s_barrier
	s_waitcnt vmcnt(6)
	; wave barrier
	v_lshrrev_b32_sdwa v0, s44, v3 dst_sel:DWORD dst_unused:UNUSED_PAD src0_sel:DWORD src1_sel:BYTE_0
	v_bitop3_b32 v28, v0, s0, v0 bitop3:0x30
	v_and_b32_e32 v0, 1, v28
	v_lshlrev_b32_e32 v17, 30, v28
	v_lshlrev_b32_e32 v19, 29, v28
	v_lshl_add_u64 v[8:9], v[0:1], 0, -1
	v_cmp_ne_u32_e32 vcc, 0, v0
	v_not_b32_e32 v0, v17
	v_not_b32_e32 v1, v19
	v_lshlrev_b32_e32 v21, 28, v28
	v_lshlrev_b32_e32 v23, 27, v28
	v_cmp_gt_i64_e64 s[0:1], 0, v[16:17]
	v_cmp_gt_i64_e64 s[4:5], 0, v[18:19]
	v_xor_b32_e32 v9, vcc_hi, v9
	v_xor_b32_e32 v8, vcc_lo, v8
	v_ashrrev_i32_e32 v0, 31, v0
	v_ashrrev_i32_e32 v1, 31, v1
	v_cmp_gt_i64_e64 s[6:7], 0, v[20:21]
	v_not_b32_e32 v16, v21
	v_cmp_gt_i64_e64 s[8:9], 0, v[22:23]
	v_and_b32_e32 v9, exec_hi, v9
	v_and_b32_e32 v8, exec_lo, v8
	v_xor_b32_e32 v19, s1, v0
	v_xor_b32_e32 v20, s0, v0
	;; [unrolled: 1-line block ×4, first 2 shown]
	s_waitcnt vmcnt(5)
	v_mad_u64_u32 v[0:1], s[0:1], v27, v26, v[2:3]
	v_lshlrev_b32_e32 v25, 26, v28
	v_not_b32_e32 v17, v23
	v_ashrrev_i32_e32 v16, 31, v16
	v_and_b32_e32 v1, v9, v19
	v_and_b32_e32 v8, v8, v20
	v_not_b32_e32 v18, v25
	v_ashrrev_i32_e32 v17, 31, v17
	v_xor_b32_e32 v23, s7, v16
	v_xor_b32_e32 v16, s6, v16
	v_lshrrev_b32_e32 v0, 4, v0
	v_and_b32_e32 v1, v1, v21
	v_and_b32_e32 v8, v8, v22
	v_cmp_gt_i64_e64 s[10:11], 0, v[24:25]
	v_xor_b32_e32 v24, s9, v17
	v_xor_b32_e32 v17, s8, v17
	v_and_b32_e32 v20, 0xffffffc, v0
	v_and_b32_e32 v0, v1, v23
	;; [unrolled: 1-line block ×3, first 2 shown]
	v_ashrrev_i32_e32 v8, 31, v18
	v_and_b32_e32 v0, v0, v24
	v_and_b32_e32 v1, v1, v17
	v_xor_b32_e32 v9, s11, v8
	v_xor_b32_e32 v8, s10, v8
	v_and_b32_e32 v9, v0, v9
	v_and_b32_e32 v8, v1, v8
	v_lshlrev_b32_e32 v1, 25, v28
	v_mov_b32_e32 v0, v7
	v_cmp_gt_i64_e32 vcc, 0, v[0:1]
	v_not_b32_e32 v0, v1
	v_ashrrev_i32_e32 v0, 31, v0
	v_xor_b32_e32 v1, vcc_hi, v0
	v_xor_b32_e32 v0, vcc_lo, v0
	v_and_b32_e32 v9, v9, v1
	v_and_b32_e32 v8, v8, v0
	v_lshlrev_b32_e32 v1, 24, v28
	v_mov_b32_e32 v0, v7
	v_cmp_gt_i64_e32 vcc, 0, v[0:1]
	v_not_b32_e32 v0, v1
	v_ashrrev_i32_e32 v0, 31, v0
	v_xor_b32_e32 v1, vcc_hi, v0
	v_xor_b32_e32 v0, vcc_lo, v0
	v_and_b32_e32 v0, v8, v0
	v_and_b32_e32 v1, v9, v1
	v_mbcnt_lo_u32_b32 v8, v0, 0
	v_mbcnt_hi_u32_b32 v16, v1, v8
	v_mul_u32_u24_e32 v29, 36, v28
	v_cmp_eq_u32_e32 vcc, 0, v16
	v_cmp_ne_u64_e64 s[0:1], 0, v[0:1]
	s_and_b64 s[4:5], s[0:1], vcc
	v_add_u32_e32 v18, v20, v29
	s_and_saveexec_b64 s[0:1], s[4:5]
; %bb.98:
	v_bcnt_u32_b32 v0, v0, 0
	v_bcnt_u32_b32 v0, v1, v0
	ds_write_b32 v18, v0 offset:32
; %bb.99:
	s_or_b64 exec, exec, s[0:1]
	s_waitcnt vmcnt(4)
	v_lshrrev_b32_sdwa v0, s44, v10 dst_sel:DWORD dst_unused:UNUSED_PAD src0_sel:DWORD src1_sel:BYTE_0
	v_and_b32_e32 v19, s12, v0
	v_mad_u32_u24 v0, v19, 36, v20
	; wave barrier
	ds_read_b32 v17, v0 offset:32
	v_and_b32_e32 v0, 1, v19
	v_mov_b32_e32 v1, v7
	v_lshl_add_u64 v[8:9], v[0:1], 0, -1
	v_cmp_ne_u32_e32 vcc, 0, v0
	v_mul_u32_u24_e32 v21, 36, v19
	v_add_u32_e32 v21, v20, v21
	v_xor_b32_e32 v0, vcc_hi, v9
	v_xor_b32_e32 v1, vcc_lo, v8
	v_and_b32_e32 v8, exec_hi, v0
	v_and_b32_e32 v9, exec_lo, v1
	v_lshlrev_b32_e32 v1, 30, v19
	v_mov_b32_e32 v0, v7
	v_cmp_gt_i64_e32 vcc, 0, v[0:1]
	v_not_b32_e32 v0, v1
	v_ashrrev_i32_e32 v0, 31, v0
	v_xor_b32_e32 v1, vcc_hi, v0
	v_xor_b32_e32 v0, vcc_lo, v0
	v_and_b32_e32 v8, v8, v1
	v_and_b32_e32 v9, v9, v0
	v_lshlrev_b32_e32 v1, 29, v19
	v_mov_b32_e32 v0, v7
	v_cmp_gt_i64_e32 vcc, 0, v[0:1]
	v_not_b32_e32 v0, v1
	v_ashrrev_i32_e32 v0, 31, v0
	v_xor_b32_e32 v1, vcc_hi, v0
	v_xor_b32_e32 v0, vcc_lo, v0
	v_and_b32_e32 v8, v8, v1
	v_and_b32_e32 v9, v9, v0
	;; [unrolled: 9-line block ×7, first 2 shown]
	v_mbcnt_lo_u32_b32 v7, v0, 0
	v_mbcnt_hi_u32_b32 v7, v1, v7
	v_cmp_eq_u32_e32 vcc, 0, v7
	v_cmp_ne_u64_e64 s[0:1], 0, v[0:1]
	s_and_b64 s[4:5], s[0:1], vcc
	; wave barrier
	s_and_saveexec_b64 s[0:1], s[4:5]
	s_cbranch_execz .LBB25_101
; %bb.100:
	v_bcnt_u32_b32 v0, v0, 0
	v_bcnt_u32_b32 v0, v1, v0
	s_waitcnt lgkmcnt(0)
	v_add_u32_e32 v0, v17, v0
	ds_write_b32 v21, v0 offset:32
.LBB25_101:
	s_or_b64 exec, exec, s[0:1]
	s_waitcnt vmcnt(3)
	v_lshrrev_b32_sdwa v0, s44, v11 dst_sel:DWORD dst_unused:UNUSED_PAD src0_sel:DWORD src1_sel:BYTE_0
	v_and_b32_e32 v22, s12, v0
	v_mad_u32_u24 v0, v22, 36, v20
	; wave barrier
	ds_read_b32 v19, v0 offset:32
	v_and_b32_e32 v0, 1, v22
	v_mov_b32_e32 v1, 0
	v_lshl_add_u64 v[8:9], v[0:1], 0, -1
	v_cmp_ne_u32_e32 vcc, 0, v0
	v_mul_u32_u24_e32 v23, 36, v22
	s_nop 0
	v_xor_b32_e32 v8, vcc_lo, v8
	v_xor_b32_e32 v0, vcc_hi, v9
	v_and_b32_e32 v24, exec_lo, v8
	v_lshlrev_b32_e32 v9, 30, v22
	v_mov_b32_e32 v8, v1
	v_cmp_gt_i64_e32 vcc, 0, v[8:9]
	v_not_b32_e32 v8, v9
	v_ashrrev_i32_e32 v8, 31, v8
	v_and_b32_e32 v0, exec_hi, v0
	v_xor_b32_e32 v9, vcc_hi, v8
	v_xor_b32_e32 v8, vcc_lo, v8
	v_and_b32_e32 v0, v0, v9
	v_and_b32_e32 v24, v24, v8
	v_lshlrev_b32_e32 v9, 29, v22
	v_mov_b32_e32 v8, v1
	v_cmp_gt_i64_e32 vcc, 0, v[8:9]
	v_not_b32_e32 v8, v9
	v_ashrrev_i32_e32 v8, 31, v8
	v_xor_b32_e32 v9, vcc_hi, v8
	v_xor_b32_e32 v8, vcc_lo, v8
	v_and_b32_e32 v0, v0, v9
	v_and_b32_e32 v24, v24, v8
	v_lshlrev_b32_e32 v9, 28, v22
	v_mov_b32_e32 v8, v1
	v_cmp_gt_i64_e32 vcc, 0, v[8:9]
	v_not_b32_e32 v8, v9
	v_ashrrev_i32_e32 v8, 31, v8
	;; [unrolled: 9-line block ×6, first 2 shown]
	v_xor_b32_e32 v9, vcc_hi, v8
	v_xor_b32_e32 v8, vcc_lo, v8
	v_and_b32_e32 v8, v24, v8
	v_and_b32_e32 v9, v0, v9
	v_mbcnt_lo_u32_b32 v0, v8, 0
	v_mbcnt_hi_u32_b32 v22, v9, v0
	v_cmp_eq_u32_e32 vcc, 0, v22
	v_cmp_ne_u64_e64 s[0:1], 0, v[8:9]
	s_and_b64 s[4:5], s[0:1], vcc
	v_add_u32_e32 v24, v20, v23
	; wave barrier
	s_and_saveexec_b64 s[0:1], s[4:5]
	s_cbranch_execz .LBB25_103
; %bb.102:
	v_bcnt_u32_b32 v0, v8, 0
	v_bcnt_u32_b32 v0, v9, v0
	s_waitcnt lgkmcnt(0)
	v_add_u32_e32 v0, v19, v0
	ds_write_b32 v24, v0 offset:32
.LBB25_103:
	s_or_b64 exec, exec, s[0:1]
	s_waitcnt vmcnt(2)
	v_lshrrev_b32_sdwa v0, s44, v12 dst_sel:DWORD dst_unused:UNUSED_PAD src0_sel:DWORD src1_sel:BYTE_0
	v_and_b32_e32 v25, s12, v0
	v_mad_u32_u24 v0, v25, 36, v20
	; wave barrier
	ds_read_b32 v23, v0 offset:32
	v_and_b32_e32 v0, 1, v25
	v_lshl_add_u64 v[8:9], v[0:1], 0, -1
	v_cmp_ne_u32_e32 vcc, 0, v0
	v_mul_u32_u24_e32 v26, 36, v25
	s_nop 0
	v_xor_b32_e32 v8, vcc_lo, v8
	v_xor_b32_e32 v0, vcc_hi, v9
	v_and_b32_e32 v27, exec_lo, v8
	v_lshlrev_b32_e32 v9, 30, v25
	v_mov_b32_e32 v8, v1
	v_cmp_gt_i64_e32 vcc, 0, v[8:9]
	v_not_b32_e32 v8, v9
	v_ashrrev_i32_e32 v8, 31, v8
	v_and_b32_e32 v0, exec_hi, v0
	v_xor_b32_e32 v9, vcc_hi, v8
	v_xor_b32_e32 v8, vcc_lo, v8
	v_and_b32_e32 v0, v0, v9
	v_and_b32_e32 v27, v27, v8
	v_lshlrev_b32_e32 v9, 29, v25
	v_mov_b32_e32 v8, v1
	v_cmp_gt_i64_e32 vcc, 0, v[8:9]
	v_not_b32_e32 v8, v9
	v_ashrrev_i32_e32 v8, 31, v8
	v_xor_b32_e32 v9, vcc_hi, v8
	v_xor_b32_e32 v8, vcc_lo, v8
	v_and_b32_e32 v0, v0, v9
	v_and_b32_e32 v27, v27, v8
	v_lshlrev_b32_e32 v9, 28, v25
	v_mov_b32_e32 v8, v1
	v_cmp_gt_i64_e32 vcc, 0, v[8:9]
	v_not_b32_e32 v8, v9
	v_ashrrev_i32_e32 v8, 31, v8
	;; [unrolled: 9-line block ×5, first 2 shown]
	v_xor_b32_e32 v9, vcc_hi, v8
	v_xor_b32_e32 v8, vcc_lo, v8
	v_and_b32_e32 v0, v0, v9
	v_lshlrev_b32_e32 v9, 24, v25
	v_and_b32_e32 v27, v27, v8
	v_mov_b32_e32 v8, v1
	v_not_b32_e32 v1, v9
	v_cmp_gt_i64_e32 vcc, 0, v[8:9]
	v_ashrrev_i32_e32 v1, 31, v1
	; wave barrier
	s_nop 0
	v_xor_b32_e32 v8, vcc_hi, v1
	v_xor_b32_e32 v9, vcc_lo, v1
	v_and_b32_e32 v1, v0, v8
	v_and_b32_e32 v0, v27, v9
	v_mbcnt_lo_u32_b32 v8, v0, 0
	v_mbcnt_hi_u32_b32 v25, v1, v8
	v_cmp_eq_u32_e32 vcc, 0, v25
	v_cmp_ne_u64_e64 s[0:1], 0, v[0:1]
	s_and_b64 s[4:5], s[0:1], vcc
	v_add_u32_e32 v27, v20, v26
	s_and_saveexec_b64 s[0:1], s[4:5]
	s_cbranch_execz .LBB25_105
; %bb.104:
	v_bcnt_u32_b32 v0, v0, 0
	v_bcnt_u32_b32 v0, v1, v0
	s_waitcnt lgkmcnt(0)
	v_add_u32_e32 v0, v23, v0
	ds_write_b32 v27, v0 offset:32
.LBB25_105:
	s_or_b64 exec, exec, s[0:1]
	s_waitcnt vmcnt(1)
	v_lshrrev_b32_sdwa v0, s44, v13 dst_sel:DWORD dst_unused:UNUSED_PAD src0_sel:DWORD src1_sel:BYTE_0
	v_and_b32_e32 v28, s12, v0
	v_mad_u32_u24 v0, v28, 36, v20
	; wave barrier
	ds_read_b32 v26, v0 offset:32
	v_and_b32_e32 v0, 1, v28
	v_mov_b32_e32 v1, 0
	v_lshl_add_u64 v[8:9], v[0:1], 0, -1
	v_cmp_ne_u32_e32 vcc, 0, v0
	v_mul_u32_u24_e32 v29, 36, v28
	s_nop 0
	v_xor_b32_e32 v8, vcc_lo, v8
	v_xor_b32_e32 v0, vcc_hi, v9
	v_and_b32_e32 v30, exec_lo, v8
	v_lshlrev_b32_e32 v9, 30, v28
	v_mov_b32_e32 v8, v1
	v_cmp_gt_i64_e32 vcc, 0, v[8:9]
	v_not_b32_e32 v8, v9
	v_ashrrev_i32_e32 v8, 31, v8
	v_and_b32_e32 v0, exec_hi, v0
	v_xor_b32_e32 v9, vcc_hi, v8
	v_xor_b32_e32 v8, vcc_lo, v8
	v_and_b32_e32 v0, v0, v9
	v_and_b32_e32 v30, v30, v8
	v_lshlrev_b32_e32 v9, 29, v28
	v_mov_b32_e32 v8, v1
	v_cmp_gt_i64_e32 vcc, 0, v[8:9]
	v_not_b32_e32 v8, v9
	v_ashrrev_i32_e32 v8, 31, v8
	v_xor_b32_e32 v9, vcc_hi, v8
	v_xor_b32_e32 v8, vcc_lo, v8
	v_and_b32_e32 v0, v0, v9
	v_and_b32_e32 v30, v30, v8
	v_lshlrev_b32_e32 v9, 28, v28
	v_mov_b32_e32 v8, v1
	v_cmp_gt_i64_e32 vcc, 0, v[8:9]
	v_not_b32_e32 v8, v9
	v_ashrrev_i32_e32 v8, 31, v8
	;; [unrolled: 9-line block ×6, first 2 shown]
	v_xor_b32_e32 v9, vcc_hi, v8
	v_xor_b32_e32 v8, vcc_lo, v8
	v_and_b32_e32 v8, v30, v8
	v_and_b32_e32 v9, v0, v9
	v_mbcnt_lo_u32_b32 v0, v8, 0
	v_mbcnt_hi_u32_b32 v28, v9, v0
	v_cmp_eq_u32_e32 vcc, 0, v28
	v_cmp_ne_u64_e64 s[0:1], 0, v[8:9]
	s_and_b64 s[4:5], s[0:1], vcc
	v_add_u32_e32 v30, v20, v29
	; wave barrier
	s_and_saveexec_b64 s[0:1], s[4:5]
	s_cbranch_execz .LBB25_107
; %bb.106:
	v_bcnt_u32_b32 v0, v8, 0
	v_bcnt_u32_b32 v0, v9, v0
	s_waitcnt lgkmcnt(0)
	v_add_u32_e32 v0, v26, v0
	ds_write_b32 v30, v0 offset:32
.LBB25_107:
	s_or_b64 exec, exec, s[0:1]
	s_waitcnt vmcnt(0)
	v_lshrrev_b32_sdwa v0, s44, v14 dst_sel:DWORD dst_unused:UNUSED_PAD src0_sel:DWORD src1_sel:BYTE_0
	v_and_b32_e32 v31, s12, v0
	v_mad_u32_u24 v0, v31, 36, v20
	; wave barrier
	ds_read_b32 v29, v0 offset:32
	v_and_b32_e32 v0, 1, v31
	v_lshl_add_u64 v[8:9], v[0:1], 0, -1
	v_cmp_ne_u32_e32 vcc, 0, v0
	v_mul_u32_u24_e32 v32, 36, v31
	v_add_u32_e32 v20, v20, v32
	v_xor_b32_e32 v8, vcc_lo, v8
	v_xor_b32_e32 v0, vcc_hi, v9
	v_and_b32_e32 v33, exec_lo, v8
	v_lshlrev_b32_e32 v9, 30, v31
	v_mov_b32_e32 v8, v1
	v_cmp_gt_i64_e32 vcc, 0, v[8:9]
	v_not_b32_e32 v8, v9
	v_ashrrev_i32_e32 v8, 31, v8
	v_and_b32_e32 v0, exec_hi, v0
	v_xor_b32_e32 v9, vcc_hi, v8
	v_xor_b32_e32 v8, vcc_lo, v8
	v_and_b32_e32 v0, v0, v9
	v_and_b32_e32 v33, v33, v8
	v_lshlrev_b32_e32 v9, 29, v31
	v_mov_b32_e32 v8, v1
	v_cmp_gt_i64_e32 vcc, 0, v[8:9]
	v_not_b32_e32 v8, v9
	v_ashrrev_i32_e32 v8, 31, v8
	v_xor_b32_e32 v9, vcc_hi, v8
	v_xor_b32_e32 v8, vcc_lo, v8
	v_and_b32_e32 v0, v0, v9
	v_and_b32_e32 v33, v33, v8
	v_lshlrev_b32_e32 v9, 28, v31
	v_mov_b32_e32 v8, v1
	v_cmp_gt_i64_e32 vcc, 0, v[8:9]
	v_not_b32_e32 v8, v9
	v_ashrrev_i32_e32 v8, 31, v8
	;; [unrolled: 9-line block ×5, first 2 shown]
	v_xor_b32_e32 v9, vcc_hi, v8
	v_xor_b32_e32 v8, vcc_lo, v8
	v_and_b32_e32 v0, v0, v9
	v_lshlrev_b32_e32 v9, 24, v31
	v_and_b32_e32 v33, v33, v8
	v_mov_b32_e32 v8, v1
	v_not_b32_e32 v1, v9
	v_cmp_gt_i64_e32 vcc, 0, v[8:9]
	v_ashrrev_i32_e32 v1, 31, v1
	s_nop 0
	v_xor_b32_e32 v8, vcc_hi, v1
	v_xor_b32_e32 v9, vcc_lo, v1
	v_and_b32_e32 v1, v0, v8
	v_and_b32_e32 v0, v33, v9
	v_mbcnt_lo_u32_b32 v8, v0, 0
	v_mbcnt_hi_u32_b32 v31, v1, v8
	v_cmp_eq_u32_e32 vcc, 0, v31
	v_cmp_ne_u64_e64 s[0:1], 0, v[0:1]
	s_and_b64 s[4:5], s[0:1], vcc
	; wave barrier
	s_and_saveexec_b64 s[0:1], s[4:5]
	s_cbranch_execz .LBB25_109
; %bb.108:
	v_bcnt_u32_b32 v0, v0, 0
	v_bcnt_u32_b32 v0, v1, v0
	s_waitcnt lgkmcnt(0)
	v_add_u32_e32 v0, v29, v0
	ds_write_b32 v20, v0 offset:32
.LBB25_109:
	s_or_b64 exec, exec, s[0:1]
	; wave barrier
	s_waitcnt lgkmcnt(0)
	s_barrier
	ds_read2_b32 v[8:9], v5 offset0:8 offset1:9
	ds_read2_b32 v[0:1], v5 offset0:10 offset1:11
	ds_read_b32 v32, v5 offset:48
	v_min_u32_e32 v15, 0x1c0, v15
	v_or_b32_e32 v15, 63, v15
	s_waitcnt lgkmcnt(1)
	v_add3_u32 v33, v9, v8, v0
	s_waitcnt lgkmcnt(0)
	v_add3_u32 v32, v33, v1, v32
	v_and_b32_e32 v33, 15, v6
	v_cmp_ne_u32_e32 vcc, 0, v33
	v_mov_b32_dpp v34, v32 row_shr:1 row_mask:0xf bank_mask:0xf
	s_nop 0
	v_cndmask_b32_e32 v34, 0, v34, vcc
	v_add_u32_e32 v32, v34, v32
	v_cmp_lt_u32_e32 vcc, 1, v33
	s_nop 0
	v_mov_b32_dpp v34, v32 row_shr:2 row_mask:0xf bank_mask:0xf
	v_cndmask_b32_e32 v34, 0, v34, vcc
	v_add_u32_e32 v32, v32, v34
	v_cmp_lt_u32_e32 vcc, 3, v33
	s_nop 0
	v_mov_b32_dpp v34, v32 row_shr:4 row_mask:0xf bank_mask:0xf
	;; [unrolled: 5-line block ×3, first 2 shown]
	v_cndmask_b32_e32 v33, 0, v34, vcc
	v_add_u32_e32 v32, v32, v33
	v_bfe_i32 v34, v6, 4, 1
	v_cmp_lt_u32_e32 vcc, 31, v6
	v_mov_b32_dpp v33, v32 row_bcast:15 row_mask:0xf bank_mask:0xf
	v_and_b32_e32 v33, v34, v33
	v_add_u32_e32 v32, v32, v33
	s_nop 1
	v_mov_b32_dpp v33, v32 row_bcast:31 row_mask:0xf bank_mask:0xf
	v_cndmask_b32_e32 v33, 0, v33, vcc
	v_add_u32_e32 v32, v32, v33
	v_lshrrev_b32_e32 v33, 6, v2
	v_cmp_eq_u32_e32 vcc, v2, v15
	s_and_saveexec_b64 s[0:1], vcc
; %bb.110:
	v_lshlrev_b32_e32 v15, 2, v33
	ds_write_b32 v15, v32
; %bb.111:
	s_or_b64 exec, exec, s[0:1]
	v_cmp_gt_u32_e32 vcc, 8, v2
	s_waitcnt lgkmcnt(0)
	s_barrier
	s_and_saveexec_b64 s[0:1], vcc
	s_cbranch_execz .LBB25_113
; %bb.112:
	v_lshlrev_b32_e32 v15, 2, v2
	ds_read_b32 v34, v15
	v_and_b32_e32 v35, 7, v6
	v_cmp_ne_u32_e32 vcc, 0, v35
	s_waitcnt lgkmcnt(0)
	v_mov_b32_dpp v36, v34 row_shr:1 row_mask:0xf bank_mask:0xf
	v_cndmask_b32_e32 v36, 0, v36, vcc
	v_add_u32_e32 v34, v36, v34
	v_cmp_lt_u32_e32 vcc, 1, v35
	s_nop 0
	v_mov_b32_dpp v36, v34 row_shr:2 row_mask:0xf bank_mask:0xf
	v_cndmask_b32_e32 v36, 0, v36, vcc
	v_add_u32_e32 v34, v34, v36
	v_cmp_lt_u32_e32 vcc, 3, v35
	s_nop 0
	v_mov_b32_dpp v36, v34 row_shr:4 row_mask:0xf bank_mask:0xf
	v_cndmask_b32_e32 v35, 0, v36, vcc
	v_add_u32_e32 v34, v34, v35
	ds_write_b32 v15, v34
.LBB25_113:
	s_or_b64 exec, exec, s[0:1]
	v_cmp_lt_u32_e32 vcc, 63, v2
	v_mov_b32_e32 v15, 0
	s_waitcnt lgkmcnt(0)
	s_barrier
	s_and_saveexec_b64 s[0:1], vcc
; %bb.114:
	v_lshl_add_u32 v15, v33, 2, -4
	ds_read_b32 v15, v15
; %bb.115:
	s_or_b64 exec, exec, s[0:1]
	v_add_u32_e32 v33, -1, v6
	v_and_b32_e32 v34, 64, v6
	v_cmp_lt_i32_e32 vcc, v33, v34
	s_waitcnt lgkmcnt(0)
	v_add_u32_e32 v32, v15, v32
	s_movk_i32 s0, 0xff
	v_cndmask_b32_e32 v33, v33, v6, vcc
	v_lshlrev_b32_e32 v33, 2, v33
	ds_bpermute_b32 v32, v33, v32
	v_cmp_eq_u32_e32 vcc, 0, v6
	s_movk_i32 s4, 0x100
	s_waitcnt lgkmcnt(0)
	v_cndmask_b32_e32 v15, v32, v15, vcc
	v_cmp_ne_u32_e32 vcc, 0, v2
	s_nop 1
	v_cndmask_b32_e32 v15, 0, v15, vcc
	v_add_u32_e32 v8, v15, v8
	v_add_u32_e32 v9, v8, v9
	;; [unrolled: 1-line block ×4, first 2 shown]
	ds_write2_b32 v5, v15, v8 offset0:8 offset1:9
	ds_write2_b32 v5, v9, v0 offset0:10 offset1:11
	ds_write_b32 v5, v1 offset:48
	s_waitcnt lgkmcnt(0)
	s_barrier
	ds_read_b32 v5, v18 offset:32
	ds_read_b32 v9, v21 offset:32
	;; [unrolled: 1-line block ×6, first 2 shown]
	v_cmp_lt_u32_e32 vcc, s0, v2
	v_cmp_gt_u32_e64 s[0:1], s4, v2
	v_mov_b64_e32 v[0:1], 0
                                        ; implicit-def: $vgpr8
	s_and_saveexec_b64 s[6:7], s[0:1]
	s_cbranch_execz .LBB25_119
; %bb.116:
	v_mul_u32_u24_e32 v0, 36, v2
	ds_read_b32 v0, v0 offset:32
	v_add_u32_e32 v8, 1, v2
	v_cmp_ne_u32_e64 s[4:5], s4, v8
	v_mov_b32_e32 v1, 0xc00
	s_and_saveexec_b64 s[8:9], s[4:5]
; %bb.117:
	v_mul_u32_u24_e32 v1, 36, v8
	ds_read_b32 v1, v1 offset:32
; %bb.118:
	s_or_b64 exec, exec, s[8:9]
	s_waitcnt lgkmcnt(0)
	v_sub_u32_e32 v8, v1, v0
	v_mov_b32_e32 v1, 0
.LBB25_119:
	s_or_b64 exec, exec, s[6:7]
	s_waitcnt lgkmcnt(5)
	v_add_u32_e32 v21, v5, v16
	s_waitcnt lgkmcnt(4)
	v_add3_u32 v20, v7, v17, v9
	s_waitcnt lgkmcnt(3)
	v_add3_u32 v18, v22, v19, v15
	;; [unrolled: 2-line block ×5, first 2 shown]
	s_barrier
	ds_write_b8 v21, v3 offset:2048
	ds_write_b8 v20, v10 offset:2048
	;; [unrolled: 1-line block ×6, first 2 shown]
	v_mov_b32_e32 v11, 0
	v_mov_b32_e32 v3, v11
	v_lshlrev_b32_e32 v5, 3, v2
	s_waitcnt lgkmcnt(0)
	s_barrier
	s_and_saveexec_b64 s[4:5], s[0:1]
	s_cbranch_execz .LBB25_129
; %bb.120:
	v_lshl_add_u32 v10, s2, 8, v2
	v_lshl_add_u64 v[12:13], v[10:11], 2, s[48:49]
	v_or_b32_e32 v7, 2.0, v8
	global_store_dword v[12:13], v7, off sc1
	s_mov_b64 s[6:7], 0
	s_brev_b32 s13, -4
	s_mov_b32 s14, s2
	v_mov_b32_e32 v7, 0
                                        ; implicit-def: $sgpr0_sgpr1
	s_branch .LBB25_123
.LBB25_121:                             ;   in Loop: Header=BB25_123 Depth=1
	s_or_b64 exec, exec, s[10:11]
.LBB25_122:                             ;   in Loop: Header=BB25_123 Depth=1
	s_or_b64 exec, exec, s[8:9]
	v_and_b32_e32 v14, 0x3fffffff, v10
	v_add_u32_e32 v7, v14, v7
	v_cmp_gt_i32_e64 s[0:1], -2.0, v10
	s_and_b64 s[8:9], exec, s[0:1]
	s_or_b64 s[6:7], s[8:9], s[6:7]
	s_andn2_b64 exec, exec, s[6:7]
	s_cbranch_execz .LBB25_128
.LBB25_123:                             ; =>This Loop Header: Depth=1
                                        ;     Child Loop BB25_126 Depth 2
	s_or_b64 s[0:1], s[0:1], exec
	s_cmp_eq_u32 s14, 0
	s_cbranch_scc1 .LBB25_127
; %bb.124:                              ;   in Loop: Header=BB25_123 Depth=1
	s_add_i32 s14, s14, -1
	v_lshl_or_b32 v10, s14, 8, v2
	v_lshl_add_u64 v[14:15], v[10:11], 2, s[48:49]
	global_load_dword v10, v[14:15], off sc1
	s_waitcnt vmcnt(0)
	v_cmp_gt_u32_e64 s[0:1], 2.0, v10
	s_and_saveexec_b64 s[8:9], s[0:1]
	s_cbranch_execz .LBB25_122
; %bb.125:                              ;   in Loop: Header=BB25_123 Depth=1
	s_mov_b64 s[10:11], 0
.LBB25_126:                             ;   Parent Loop BB25_123 Depth=1
                                        ; =>  This Inner Loop Header: Depth=2
	global_load_dword v10, v[14:15], off sc1
	s_waitcnt vmcnt(0)
	v_cmp_lt_u32_e64 s[0:1], s13, v10
	s_or_b64 s[10:11], s[0:1], s[10:11]
	s_andn2_b64 exec, exec, s[10:11]
	s_cbranch_execnz .LBB25_126
	s_branch .LBB25_121
.LBB25_127:                             ;   in Loop: Header=BB25_123 Depth=1
                                        ; implicit-def: $sgpr14
	s_and_b64 s[8:9], exec, s[0:1]
	s_or_b64 s[6:7], s[8:9], s[6:7]
	s_andn2_b64 exec, exec, s[6:7]
	s_cbranch_execnz .LBB25_123
.LBB25_128:
	s_or_b64 exec, exec, s[6:7]
	v_add_u32_e32 v11, v7, v8
	v_or_b32_e32 v11, 0x80000000, v11
	v_lshlrev_b32_e32 v10, 3, v2
	global_store_dword v[12:13], v11, off sc1
	global_load_dwordx2 v[10:11], v10, s[28:29]
	v_sub_co_u32_e64 v12, s[0:1], v7, v0
	s_nop 1
	v_subb_co_u32_e64 v13, s[0:1], 0, v1, s[0:1]
	s_waitcnt vmcnt(0)
	v_lshl_add_u64 v[10:11], v[12:13], 0, v[10:11]
	ds_write_b64 v5, v[10:11]
.LBB25_129:
	s_or_b64 exec, exec, s[4:5]
	s_waitcnt lgkmcnt(0)
	s_barrier
	ds_read_u8 v7, v2 offset:4096
	ds_read_u8 v19, v2 offset:3072
	;; [unrolled: 1-line block ×5, first 2 shown]
	s_waitcnt lgkmcnt(4)
	v_lshrrev_b32_sdwa v10, s44, v7 dst_sel:DWORD dst_unused:UNUSED_PAD src0_sel:DWORD src1_sel:BYTE_0
	v_and_b32_e32 v10, s12, v10
	v_lshlrev_b32_e32 v32, 3, v10
	s_waitcnt lgkmcnt(1)
	v_lshrrev_b32_sdwa v10, s44, v29 dst_sel:DWORD dst_unused:UNUSED_PAD src0_sel:DWORD src1_sel:BYTE_0
	v_and_b32_e32 v10, s12, v10
	v_lshlrev_b32_e32 v33, 3, v10
	ds_read_u8 v31, v2 offset:2560
	ds_read_b64 v[10:11], v32
	ds_read_b64 v[12:13], v33
	s_waitcnt lgkmcnt(3)
	v_lshrrev_b32_sdwa v14, s44, v30 dst_sel:DWORD dst_unused:UNUSED_PAD src0_sel:DWORD src1_sel:BYTE_0
	v_and_b32_e32 v14, s12, v14
	s_waitcnt lgkmcnt(2)
	v_lshrrev_b32_sdwa v22, s44, v31 dst_sel:DWORD dst_unused:UNUSED_PAD src0_sel:DWORD src1_sel:BYTE_0
	v_lshlrev_b32_e32 v34, 3, v14
	v_and_b32_e32 v22, s12, v22
	ds_read_b64 v[14:15], v34
	v_lshlrev_b32_e32 v35, 3, v22
	v_lshrrev_b32_sdwa v22, s44, v19 dst_sel:DWORD dst_unused:UNUSED_PAD src0_sel:DWORD src1_sel:BYTE_0
	v_and_b32_e32 v22, s12, v22
	v_lshlrev_b32_e32 v36, 3, v22
	v_lshrrev_b32_sdwa v22, s44, v28 dst_sel:DWORD dst_unused:UNUSED_PAD src0_sel:DWORD src1_sel:BYTE_0
	v_and_b32_e32 v22, s12, v22
	v_lshlrev_b32_e32 v37, 3, v22
	ds_read_b64 v[22:23], v35
	ds_read_b64 v[24:25], v36
	;; [unrolled: 1-line block ×3, first 2 shown]
	s_waitcnt lgkmcnt(3)
	v_lshl_add_u64 v[14:15], s[38:39], 0, v[14:15]
	v_lshl_add_u64 v[14:15], v[14:15], 0, v[2:3]
	global_store_byte v[14:15], v30, off
	s_waitcnt lgkmcnt(2)
	v_lshl_add_u64 v[14:15], s[38:39], 0, v[22:23]
	v_lshl_add_u64 v[14:15], v[14:15], 0, v[2:3]
	global_store_byte v[14:15], v31, off offset:512
	s_waitcnt lgkmcnt(1)
	v_lshl_add_u64 v[14:15], s[38:39], 0, v[24:25]
	v_lshl_add_u64 v[14:15], v[14:15], 0, v[2:3]
	global_store_byte v[14:15], v19, off offset:1024
	s_waitcnt lgkmcnt(0)
	v_lshl_add_u64 v[14:15], s[38:39], 0, v[26:27]
	v_lshl_add_u64 v[10:11], s[38:39], 0, v[10:11]
	;; [unrolled: 1-line block ×4, first 2 shown]
	s_lshl_b64 s[0:1], s[34:35], 3
	global_store_byte v[14:15], v28, off offset:1536
	global_store_byte v[10:11], v7, off offset:2048
	v_lshl_add_u64 v[10:11], s[38:39], 0, v[12:13]
	s_add_u32 s0, s40, s0
	v_lshl_add_u64 v[10:11], v[10:11], 0, v[2:3]
	s_addc_u32 s1, s41, s1
	v_lshlrev_b32_e32 v6, 3, v6
	v_mov_b32_e32 v7, 0
	global_store_byte v[10:11], v29, off offset:2560
	v_lshl_add_u64 v[10:11], s[0:1], 0, v[6:7]
	v_lshlrev_b32_e32 v6, 3, v4
	v_lshl_add_u64 v[10:11], v[10:11], 0, v[6:7]
	global_load_dwordx2 v[12:13], v[10:11], off
	global_load_dwordx2 v[14:15], v[10:11], off offset:512
	global_load_dwordx2 v[22:23], v[10:11], off offset:1024
	;; [unrolled: 1-line block ×5, first 2 shown]
	v_lshlrev_b32_e32 v3, 3, v21
	v_lshlrev_b32_e32 v10, 3, v18
	;; [unrolled: 1-line block ×4, first 2 shown]
	v_mad_u32_u24 v38, v2, 7, v2
	v_lshlrev_b32_e32 v4, 3, v20
	v_lshlrev_b32_e32 v9, 3, v9
	;; [unrolled: 1-line block ×3, first 2 shown]
	s_barrier
	v_add_u32_e32 v18, 0x1000, v5
	v_or_b32_e32 v20, 0x2000, v5
	v_mov_b32_e32 v19, v7
	v_mov_b32_e32 v21, v7
	v_add_u32_e32 v30, 0x3000, v5
	v_mov_b32_e32 v31, v7
	s_add_i32 s3, s3, -1
	s_cmp_eq_u32 s2, s3
	s_cselect_b64 s[0:1], -1, 0
	s_xor_b64 s[2:3], vcc, -1
	s_and_b64 s[0:1], s[2:3], s[0:1]
	s_waitcnt vmcnt(5)
	ds_write_b64 v3, v[12:13] offset:2048
	s_waitcnt vmcnt(4)
	ds_write_b64 v4, v[14:15] offset:2048
	;; [unrolled: 2-line block ×6, first 2 shown]
	s_waitcnt lgkmcnt(0)
	s_barrier
	ds_read2st64_b64 v[10:13], v38 offset0:4 offset1:12
	ds_read_b64 v[2:3], v34
	ds_read_b64 v[22:23], v35
	;; [unrolled: 1-line block ×4, first 2 shown]
	ds_read2st64_b64 v[14:17], v38 offset0:20 offset1:28
	s_waitcnt lgkmcnt(4)
	v_lshl_add_u64 v[2:3], v[2:3], 3, s[42:43]
	s_waitcnt lgkmcnt(3)
	v_lshl_add_u64 v[22:23], v[22:23], 3, s[42:43]
	;; [unrolled: 2-line block ×3, first 2 shown]
	v_lshl_add_u64 v[2:3], v[2:3], 0, v[6:7]
	s_waitcnt lgkmcnt(1)
	v_lshl_add_u64 v[26:27], v[26:27], 3, s[42:43]
	v_lshl_add_u64 v[18:19], v[22:23], 0, v[18:19]
	;; [unrolled: 1-line block ×3, first 2 shown]
	global_store_dwordx2 v[2:3], v[10:11], off
	global_store_dwordx2 v[18:19], v[12:13], off
	s_waitcnt lgkmcnt(0)
	global_store_dwordx2 v[20:21], v[14:15], off
	ds_read_b64 v[2:3], v32
	v_lshl_add_u64 v[10:11], v[26:27], 0, v[30:31]
	global_store_dwordx2 v[10:11], v[16:17], off
	ds_read2st64_b64 v[10:13], v38 offset0:36 offset1:44
	ds_read_b64 v[14:15], v33
	v_or_b32_e32 v16, 0x4000, v5
	s_waitcnt lgkmcnt(2)
	v_lshl_add_u64 v[2:3], v[2:3], 3, s[42:43]
	v_mov_b32_e32 v17, v7
	v_lshl_add_u64 v[2:3], v[2:3], 0, v[16:17]
	s_waitcnt lgkmcnt(1)
	global_store_dwordx2 v[2:3], v[10:11], off
	s_waitcnt lgkmcnt(0)
	v_lshl_add_u64 v[2:3], v[14:15], 3, s[42:43]
	v_add_u32_e32 v10, 0x5000, v5
	v_mov_b32_e32 v11, v7
	v_lshl_add_u64 v[2:3], v[2:3], 0, v[10:11]
	global_store_dwordx2 v[2:3], v[12:13], off
	s_and_saveexec_b64 s[2:3], s[0:1]
	s_cbranch_execz .LBB25_131
; %bb.130:
	ds_read_b64 v[2:3], v5
	v_mov_b32_e32 v9, v7
	v_lshl_add_u64 v[0:1], v[0:1], 0, v[8:9]
	s_waitcnt lgkmcnt(0)
	v_lshl_add_u64 v[0:1], v[0:1], 0, v[2:3]
	global_store_dwordx2 v6, v[0:1], s[30:31]
.LBB25_131:
	s_endpgm
	.section	.rodata,"a",@progbits
	.p2align	6, 0x0
	.amdhsa_kernel _ZN7rocprim17ROCPRIM_304000_NS6detail25onesweep_iteration_kernelINS1_34wrapped_radix_sort_onesweep_configINS0_14default_configEhN2at4cuda3cub6detail10OpaqueTypeILi8EEEEELb0EPhSC_PSA_SD_mNS0_19identity_decomposerEEEvT1_T2_T3_T4_jPT5_SK_PNS1_23onesweep_lookback_stateET6_jjj
		.amdhsa_group_segment_fixed_size 26624
		.amdhsa_private_segment_fixed_size 0
		.amdhsa_kernarg_size 336
		.amdhsa_user_sgpr_count 2
		.amdhsa_user_sgpr_dispatch_ptr 0
		.amdhsa_user_sgpr_queue_ptr 0
		.amdhsa_user_sgpr_kernarg_segment_ptr 1
		.amdhsa_user_sgpr_dispatch_id 0
		.amdhsa_user_sgpr_kernarg_preload_length 0
		.amdhsa_user_sgpr_kernarg_preload_offset 0
		.amdhsa_user_sgpr_private_segment_size 0
		.amdhsa_uses_dynamic_stack 0
		.amdhsa_enable_private_segment 0
		.amdhsa_system_sgpr_workgroup_id_x 1
		.amdhsa_system_sgpr_workgroup_id_y 0
		.amdhsa_system_sgpr_workgroup_id_z 0
		.amdhsa_system_sgpr_workgroup_info 0
		.amdhsa_system_vgpr_workitem_id 2
		.amdhsa_next_free_vgpr 40
		.amdhsa_next_free_sgpr 51
		.amdhsa_accum_offset 40
		.amdhsa_reserve_vcc 1
		.amdhsa_float_round_mode_32 0
		.amdhsa_float_round_mode_16_64 0
		.amdhsa_float_denorm_mode_32 3
		.amdhsa_float_denorm_mode_16_64 3
		.amdhsa_dx10_clamp 1
		.amdhsa_ieee_mode 1
		.amdhsa_fp16_overflow 0
		.amdhsa_tg_split 0
		.amdhsa_exception_fp_ieee_invalid_op 0
		.amdhsa_exception_fp_denorm_src 0
		.amdhsa_exception_fp_ieee_div_zero 0
		.amdhsa_exception_fp_ieee_overflow 0
		.amdhsa_exception_fp_ieee_underflow 0
		.amdhsa_exception_fp_ieee_inexact 0
		.amdhsa_exception_int_div_zero 0
	.end_amdhsa_kernel
	.section	.text._ZN7rocprim17ROCPRIM_304000_NS6detail25onesweep_iteration_kernelINS1_34wrapped_radix_sort_onesweep_configINS0_14default_configEhN2at4cuda3cub6detail10OpaqueTypeILi8EEEEELb0EPhSC_PSA_SD_mNS0_19identity_decomposerEEEvT1_T2_T3_T4_jPT5_SK_PNS1_23onesweep_lookback_stateET6_jjj,"axG",@progbits,_ZN7rocprim17ROCPRIM_304000_NS6detail25onesweep_iteration_kernelINS1_34wrapped_radix_sort_onesweep_configINS0_14default_configEhN2at4cuda3cub6detail10OpaqueTypeILi8EEEEELb0EPhSC_PSA_SD_mNS0_19identity_decomposerEEEvT1_T2_T3_T4_jPT5_SK_PNS1_23onesweep_lookback_stateET6_jjj,comdat
.Lfunc_end25:
	.size	_ZN7rocprim17ROCPRIM_304000_NS6detail25onesweep_iteration_kernelINS1_34wrapped_radix_sort_onesweep_configINS0_14default_configEhN2at4cuda3cub6detail10OpaqueTypeILi8EEEEELb0EPhSC_PSA_SD_mNS0_19identity_decomposerEEEvT1_T2_T3_T4_jPT5_SK_PNS1_23onesweep_lookback_stateET6_jjj, .Lfunc_end25-_ZN7rocprim17ROCPRIM_304000_NS6detail25onesweep_iteration_kernelINS1_34wrapped_radix_sort_onesweep_configINS0_14default_configEhN2at4cuda3cub6detail10OpaqueTypeILi8EEEEELb0EPhSC_PSA_SD_mNS0_19identity_decomposerEEEvT1_T2_T3_T4_jPT5_SK_PNS1_23onesweep_lookback_stateET6_jjj
                                        ; -- End function
	.set _ZN7rocprim17ROCPRIM_304000_NS6detail25onesweep_iteration_kernelINS1_34wrapped_radix_sort_onesweep_configINS0_14default_configEhN2at4cuda3cub6detail10OpaqueTypeILi8EEEEELb0EPhSC_PSA_SD_mNS0_19identity_decomposerEEEvT1_T2_T3_T4_jPT5_SK_PNS1_23onesweep_lookback_stateET6_jjj.num_vgpr, 40
	.set _ZN7rocprim17ROCPRIM_304000_NS6detail25onesweep_iteration_kernelINS1_34wrapped_radix_sort_onesweep_configINS0_14default_configEhN2at4cuda3cub6detail10OpaqueTypeILi8EEEEELb0EPhSC_PSA_SD_mNS0_19identity_decomposerEEEvT1_T2_T3_T4_jPT5_SK_PNS1_23onesweep_lookback_stateET6_jjj.num_agpr, 0
	.set _ZN7rocprim17ROCPRIM_304000_NS6detail25onesweep_iteration_kernelINS1_34wrapped_radix_sort_onesweep_configINS0_14default_configEhN2at4cuda3cub6detail10OpaqueTypeILi8EEEEELb0EPhSC_PSA_SD_mNS0_19identity_decomposerEEEvT1_T2_T3_T4_jPT5_SK_PNS1_23onesweep_lookback_stateET6_jjj.numbered_sgpr, 51
	.set _ZN7rocprim17ROCPRIM_304000_NS6detail25onesweep_iteration_kernelINS1_34wrapped_radix_sort_onesweep_configINS0_14default_configEhN2at4cuda3cub6detail10OpaqueTypeILi8EEEEELb0EPhSC_PSA_SD_mNS0_19identity_decomposerEEEvT1_T2_T3_T4_jPT5_SK_PNS1_23onesweep_lookback_stateET6_jjj.num_named_barrier, 0
	.set _ZN7rocprim17ROCPRIM_304000_NS6detail25onesweep_iteration_kernelINS1_34wrapped_radix_sort_onesweep_configINS0_14default_configEhN2at4cuda3cub6detail10OpaqueTypeILi8EEEEELb0EPhSC_PSA_SD_mNS0_19identity_decomposerEEEvT1_T2_T3_T4_jPT5_SK_PNS1_23onesweep_lookback_stateET6_jjj.private_seg_size, 0
	.set _ZN7rocprim17ROCPRIM_304000_NS6detail25onesweep_iteration_kernelINS1_34wrapped_radix_sort_onesweep_configINS0_14default_configEhN2at4cuda3cub6detail10OpaqueTypeILi8EEEEELb0EPhSC_PSA_SD_mNS0_19identity_decomposerEEEvT1_T2_T3_T4_jPT5_SK_PNS1_23onesweep_lookback_stateET6_jjj.uses_vcc, 1
	.set _ZN7rocprim17ROCPRIM_304000_NS6detail25onesweep_iteration_kernelINS1_34wrapped_radix_sort_onesweep_configINS0_14default_configEhN2at4cuda3cub6detail10OpaqueTypeILi8EEEEELb0EPhSC_PSA_SD_mNS0_19identity_decomposerEEEvT1_T2_T3_T4_jPT5_SK_PNS1_23onesweep_lookback_stateET6_jjj.uses_flat_scratch, 0
	.set _ZN7rocprim17ROCPRIM_304000_NS6detail25onesweep_iteration_kernelINS1_34wrapped_radix_sort_onesweep_configINS0_14default_configEhN2at4cuda3cub6detail10OpaqueTypeILi8EEEEELb0EPhSC_PSA_SD_mNS0_19identity_decomposerEEEvT1_T2_T3_T4_jPT5_SK_PNS1_23onesweep_lookback_stateET6_jjj.has_dyn_sized_stack, 0
	.set _ZN7rocprim17ROCPRIM_304000_NS6detail25onesweep_iteration_kernelINS1_34wrapped_radix_sort_onesweep_configINS0_14default_configEhN2at4cuda3cub6detail10OpaqueTypeILi8EEEEELb0EPhSC_PSA_SD_mNS0_19identity_decomposerEEEvT1_T2_T3_T4_jPT5_SK_PNS1_23onesweep_lookback_stateET6_jjj.has_recursion, 0
	.set _ZN7rocprim17ROCPRIM_304000_NS6detail25onesweep_iteration_kernelINS1_34wrapped_radix_sort_onesweep_configINS0_14default_configEhN2at4cuda3cub6detail10OpaqueTypeILi8EEEEELb0EPhSC_PSA_SD_mNS0_19identity_decomposerEEEvT1_T2_T3_T4_jPT5_SK_PNS1_23onesweep_lookback_stateET6_jjj.has_indirect_call, 0
	.section	.AMDGPU.csdata,"",@progbits
; Kernel info:
; codeLenInByte = 10868
; TotalNumSgprs: 57
; NumVgprs: 40
; NumAgprs: 0
; TotalNumVgprs: 40
; ScratchSize: 0
; MemoryBound: 0
; FloatMode: 240
; IeeeMode: 1
; LDSByteSize: 26624 bytes/workgroup (compile time only)
; SGPRBlocks: 7
; VGPRBlocks: 4
; NumSGPRsForWavesPerEU: 57
; NumVGPRsForWavesPerEU: 40
; AccumOffset: 40
; Occupancy: 8
; WaveLimiterHint : 1
; COMPUTE_PGM_RSRC2:SCRATCH_EN: 0
; COMPUTE_PGM_RSRC2:USER_SGPR: 2
; COMPUTE_PGM_RSRC2:TRAP_HANDLER: 0
; COMPUTE_PGM_RSRC2:TGID_X_EN: 1
; COMPUTE_PGM_RSRC2:TGID_Y_EN: 0
; COMPUTE_PGM_RSRC2:TGID_Z_EN: 0
; COMPUTE_PGM_RSRC2:TIDIG_COMP_CNT: 2
; COMPUTE_PGM_RSRC3_GFX90A:ACCUM_OFFSET: 9
; COMPUTE_PGM_RSRC3_GFX90A:TG_SPLIT: 0
	.section	.text._ZN7rocprim17ROCPRIM_304000_NS6detail28radix_sort_block_sort_kernelINS1_36wrapped_radix_sort_block_sort_configINS0_13kernel_configILj256ELj4ELj4294967295EEEaN2at4cuda3cub6detail10OpaqueTypeILi8EEEEELb1EPKaPaPKSB_PSB_NS0_19identity_decomposerEEEvT1_T2_T3_T4_jT5_jj,"axG",@progbits,_ZN7rocprim17ROCPRIM_304000_NS6detail28radix_sort_block_sort_kernelINS1_36wrapped_radix_sort_block_sort_configINS0_13kernel_configILj256ELj4ELj4294967295EEEaN2at4cuda3cub6detail10OpaqueTypeILi8EEEEELb1EPKaPaPKSB_PSB_NS0_19identity_decomposerEEEvT1_T2_T3_T4_jT5_jj,comdat
	.protected	_ZN7rocprim17ROCPRIM_304000_NS6detail28radix_sort_block_sort_kernelINS1_36wrapped_radix_sort_block_sort_configINS0_13kernel_configILj256ELj4ELj4294967295EEEaN2at4cuda3cub6detail10OpaqueTypeILi8EEEEELb1EPKaPaPKSB_PSB_NS0_19identity_decomposerEEEvT1_T2_T3_T4_jT5_jj ; -- Begin function _ZN7rocprim17ROCPRIM_304000_NS6detail28radix_sort_block_sort_kernelINS1_36wrapped_radix_sort_block_sort_configINS0_13kernel_configILj256ELj4ELj4294967295EEEaN2at4cuda3cub6detail10OpaqueTypeILi8EEEEELb1EPKaPaPKSB_PSB_NS0_19identity_decomposerEEEvT1_T2_T3_T4_jT5_jj
	.globl	_ZN7rocprim17ROCPRIM_304000_NS6detail28radix_sort_block_sort_kernelINS1_36wrapped_radix_sort_block_sort_configINS0_13kernel_configILj256ELj4ELj4294967295EEEaN2at4cuda3cub6detail10OpaqueTypeILi8EEEEELb1EPKaPaPKSB_PSB_NS0_19identity_decomposerEEEvT1_T2_T3_T4_jT5_jj
	.p2align	8
	.type	_ZN7rocprim17ROCPRIM_304000_NS6detail28radix_sort_block_sort_kernelINS1_36wrapped_radix_sort_block_sort_configINS0_13kernel_configILj256ELj4ELj4294967295EEEaN2at4cuda3cub6detail10OpaqueTypeILi8EEEEELb1EPKaPaPKSB_PSB_NS0_19identity_decomposerEEEvT1_T2_T3_T4_jT5_jj,@function
_ZN7rocprim17ROCPRIM_304000_NS6detail28radix_sort_block_sort_kernelINS1_36wrapped_radix_sort_block_sort_configINS0_13kernel_configILj256ELj4ELj4294967295EEEaN2at4cuda3cub6detail10OpaqueTypeILi8EEEEELb1EPKaPaPKSB_PSB_NS0_19identity_decomposerEEEvT1_T2_T3_T4_jT5_jj: ; @_ZN7rocprim17ROCPRIM_304000_NS6detail28radix_sort_block_sort_kernelINS1_36wrapped_radix_sort_block_sort_configINS0_13kernel_configILj256ELj4ELj4294967295EEEaN2at4cuda3cub6detail10OpaqueTypeILi8EEEEELb1EPKaPaPKSB_PSB_NS0_19identity_decomposerEEEvT1_T2_T3_T4_jT5_jj
; %bb.0:
	s_load_dword s4, s[0:1], 0x20
	s_load_dwordx8 s[36:43], s[0:1], 0x0
	s_lshl_b32 s28, s2, 10
	v_and_b32_e32 v8, 0x3ff, v0
	v_mbcnt_lo_u32_b32 v1, -1, 0
	s_waitcnt lgkmcnt(0)
	s_lshr_b32 s3, s4, 10
	s_cmp_lg_u32 s2, s3
	s_cselect_b64 s[30:31], -1, 0
	s_add_u32 s6, s36, s28
	s_addc_u32 s7, s37, 0
	v_mbcnt_hi_u32_b32 v2, -1, v1
	v_lshlrev_b32_e32 v1, 2, v8
	v_mov_b32_e32 v3, 0
	v_and_b32_e32 v12, 0x300, v1
	v_lshl_add_u64 v[4:5], s[6:7], 0, v[2:3]
	v_mov_b32_e32 v13, v3
	s_mov_b32 s29, 0
	s_cmp_eq_u32 s2, s3
	v_lshl_add_u64 v[10:11], v[4:5], 0, v[12:13]
	v_lshlrev_b32_e32 v6, 3, v2
	v_lshlrev_b32_e32 v4, 3, v12
	v_add_u32_e32 v17, v2, v12
	s_cbranch_scc1 .LBB26_2
; %bb.1:
	s_lshl_b64 s[2:3], s[28:29], 3
	s_add_u32 s2, s40, s2
	s_addc_u32 s3, s41, s3
	v_mov_b32_e32 v7, v3
	v_lshl_add_u64 v[18:19], s[2:3], 0, v[6:7]
	v_mov_b32_e32 v5, v3
	v_lshl_add_u64 v[18:19], v[18:19], 0, v[4:5]
	global_load_ubyte v13, v[10:11], off offset:192
	global_load_ubyte v15, v[10:11], off offset:128
	;; [unrolled: 1-line block ×3, first 2 shown]
	global_load_ubyte v16, v[10:11], off
	global_load_dwordx2 v[36:37], v[18:19], off
	global_load_dwordx2 v[38:39], v[18:19], off offset:512
	global_load_dwordx2 v[42:43], v[18:19], off offset:1024
	;; [unrolled: 1-line block ×3, first 2 shown]
	v_add_u32_e32 v22, v2, v12
	v_add_u32_e32 v9, 64, v22
	;; [unrolled: 1-line block ×4, first 2 shown]
	s_sub_i32 s33, s4, s28
	s_cbranch_execz .LBB26_3
	s_branch .LBB26_17
.LBB26_2:
                                        ; implicit-def: $vgpr16
                                        ; implicit-def: $vgpr14
                                        ; implicit-def: $vgpr15
                                        ; implicit-def: $vgpr13
                                        ; implicit-def: $vgpr36_vgpr37
                                        ; implicit-def: $vgpr38_vgpr39
                                        ; implicit-def: $vgpr42_vgpr43
                                        ; implicit-def: $vgpr44_vgpr45
                                        ; implicit-def: $vgpr22
                                        ; implicit-def: $vgpr9
                                        ; implicit-def: $vgpr20
                                        ; implicit-def: $vgpr21
	s_sub_i32 s33, s4, s28
.LBB26_3:
	v_cmp_gt_u32_e32 vcc, s33, v17
	s_waitcnt vmcnt(7)
	v_mov_b32_e32 v13, 0x80
	s_waitcnt vmcnt(4)
	v_mov_b32_e32 v16, 0x80
	v_mov_b32_e32 v14, 0x80
	;; [unrolled: 1-line block ×3, first 2 shown]
	s_and_saveexec_b64 s[2:3], vcc
	s_cbranch_execz .LBB26_5
; %bb.4:
	global_load_ubyte v16, v[10:11], off
	v_mov_b32_e32 v13, 0x80
	v_mov_b32_e32 v14, 0x80
	;; [unrolled: 1-line block ×3, first 2 shown]
.LBB26_5:
	s_or_b64 exec, exec, s[2:3]
	v_add_u32_e32 v9, 64, v17
	v_cmp_gt_u32_e64 s[2:3], s33, v9
	s_and_saveexec_b64 s[4:5], s[2:3]
	s_cbranch_execz .LBB26_7
; %bb.6:
	global_load_ubyte v14, v[10:11], off offset:64
.LBB26_7:
	s_or_b64 exec, exec, s[4:5]
	v_add_u32_e32 v20, 0x80, v17
	v_cmp_gt_u32_e64 s[4:5], s33, v20
	s_and_saveexec_b64 s[6:7], s[4:5]
	s_cbranch_execz .LBB26_9
; %bb.8:
	global_load_ubyte v15, v[10:11], off offset:128
.LBB26_9:
	;; [unrolled: 8-line block ×3, first 2 shown]
	s_or_b64 exec, exec, s[8:9]
	s_lshl_b64 s[8:9], s[28:29], 3
	s_add_u32 s8, s40, s8
	s_addc_u32 s9, s41, s9
	v_mov_b32_e32 v7, 0
	v_lshl_add_u64 v[10:11], s[8:9], 0, v[6:7]
	v_mov_b32_e32 v5, v7
	v_lshl_add_u64 v[4:5], v[10:11], 0, v[4:5]
                                        ; implicit-def: $vgpr36_vgpr37
	s_and_saveexec_b64 s[8:9], vcc
	s_cbranch_execnz .LBB26_54
; %bb.12:
	s_or_b64 exec, exec, s[8:9]
                                        ; implicit-def: $vgpr38_vgpr39
	s_and_saveexec_b64 s[8:9], s[2:3]
	s_cbranch_execnz .LBB26_55
.LBB26_13:
	s_or_b64 exec, exec, s[8:9]
                                        ; implicit-def: $vgpr42_vgpr43
	s_and_saveexec_b64 s[2:3], s[4:5]
	s_cbranch_execnz .LBB26_56
.LBB26_14:
	s_or_b64 exec, exec, s[2:3]
                                        ; implicit-def: $vgpr44_vgpr45
	s_and_saveexec_b64 s[2:3], s[6:7]
	s_cbranch_execz .LBB26_16
.LBB26_15:
	global_load_dwordx2 v[44:45], v[4:5], off offset:1536
.LBB26_16:
	s_or_b64 exec, exec, s[2:3]
	v_mov_b32_e32 v22, v17
.LBB26_17:
	s_load_dwordx2 s[34:35], s[0:1], 0x28
	s_movk_i32 s2, 0x7f
	s_load_dword s0, s[0:1], 0x3c
	s_waitcnt vmcnt(0)
	v_xor_b32_e32 v3, 0x7f, v16
	v_xor_b32_sdwa v4, v14, s2 dst_sel:BYTE_1 dst_unused:UNUSED_PAD src0_sel:DWORD src1_sel:DWORD
	s_movk_i32 s1, 0xff
	v_bitop3_b16 v3, v3, v4, s1 bitop3:0xec
	v_xor_b32_e32 v4, 0x7f, v15
	v_xor_b32_sdwa v5, v13, s2 dst_sel:BYTE_1 dst_unused:UNUSED_PAD src0_sel:DWORD src1_sel:DWORD
	v_lshlrev_b32_e32 v23, 2, v1
	v_bitop3_b16 v4, v4, v5, s1 bitop3:0xec
	v_lshlrev_b32_e32 v4, 16, v4
	v_or_b32_sdwa v25, v3, v4 dst_sel:DWORD dst_unused:UNUSED_PAD src0_sel:WORD_0 src1_sel:DWORD
	s_waitcnt lgkmcnt(0)
	s_lshr_b32 s1, s0, 16
	v_bfe_u32 v3, v0, 10, 10
	v_bfe_u32 v0, v0, 20, 10
	s_and_b32 s0, s0, 0xffff
	v_mad_u32_u24 v0, v0, s1, v3
	v_mad_u64_u32 v[4:5], s[0:1], v0, s0, v[8:9]
	v_lshrrev_b32_e32 v0, 4, v4
	v_and_b32_e32 v24, 0xffffffc, v0
	v_and_b32_e32 v0, 15, v2
	v_cmp_eq_u32_e64 s[0:1], 0, v0
	v_cmp_lt_u32_e64 s[2:3], 1, v0
	v_cmp_lt_u32_e64 s[4:5], 3, v0
	;; [unrolled: 1-line block ×3, first 2 shown]
	v_and_b32_e32 v0, 16, v2
	v_cmp_eq_u32_e64 s[8:9], 0, v0
	v_and_b32_e32 v0, 0x3c0, v8
	v_min_u32_e32 v0, 0xc0, v0
	v_or_b32_e32 v0, 63, v0
	v_cmp_eq_u32_e64 s[12:13], v8, v0
	v_subrev_co_u32_e64 v0, s[18:19], 1, v2
	v_and_b32_e32 v1, 64, v2
	v_cmp_lt_i32_e32 vcc, v0, v1
	s_mov_b32 s26, 0
	v_and_b32_e32 v1, 3, v2
	v_cndmask_b32_e32 v0, v0, v2, vcc
	v_lshlrev_b32_e32 v26, 2, v0
	v_lshrrev_b32_e32 v0, 4, v8
	v_cmp_lt_u32_e64 s[10:11], 31, v2
	v_and_b32_e32 v27, 60, v0
	v_mul_i32_i24_e32 v0, -12, v8
	v_cmp_eq_u32_e64 s[22:23], 0, v1
	v_cmp_lt_u32_e64 s[24:25], 1, v1
	v_mul_lo_u32 v1, v22, 7
	v_mul_lo_u32 v2, v9, 7
	;; [unrolled: 1-line block ×4, first 2 shown]
	s_mov_b32 s27, s26
	s_mov_b32 s40, s26
	;; [unrolled: 1-line block ×3, first 2 shown]
	s_add_i32 s36, s35, s34
	v_cmp_gt_u32_e64 s[14:15], 4, v8
	v_cmp_lt_u32_e64 s[16:17], 63, v8
	v_cmp_eq_u32_e64 s[20:21], 0, v8
	v_add_u32_e32 v28, -4, v27
	v_mov_b64_e32 v[14:15], s[26:27]
	v_mov_b64_e32 v[16:17], s[40:41]
	v_mov_b32_e32 v19, 0
	v_add_u32_e32 v29, v23, v0
	s_mov_b32 s37, 0xc0c0004
	v_add_u32_e32 v30, v22, v1
	v_add_u32_e32 v31, v9, v2
	;; [unrolled: 1-line block ×4, first 2 shown]
	s_branch .LBB26_19
.LBB26_18:                              ;   in Loop: Header=BB26_19 Depth=1
	s_andn2_b64 vcc, exec, s[26:27]
	s_mov_b32 s35, s40
	s_cbranch_vccz .LBB26_35
.LBB26_19:                              ; =>This Inner Loop Header: Depth=1
	s_min_u32 s26, s35, 8
	s_lshl_b32 s40, -1, s26
	v_lshrrev_b32_sdwa v0, s34, v25 dst_sel:DWORD dst_unused:UNUSED_PAD src0_sel:DWORD src1_sel:BYTE_0
	v_bitop3_b32 v2, v0, s40, v0 bitop3:0x30
	v_and_b32_e32 v18, 1, v2
	v_lshl_add_u64 v[0:1], v[18:19], 0, -1
	v_cmp_ne_u32_e32 vcc, 0, v18
	v_lshlrev_b32_e32 v3, 4, v2
	v_mov_b64_e32 v[12:13], v[36:37]
	v_xor_b32_e32 v1, vcc_hi, v1
	v_xor_b32_e32 v0, vcc_lo, v0
	v_and_b32_e32 v18, exec_hi, v1
	v_and_b32_e32 v34, exec_lo, v0
	v_lshlrev_b32_e32 v1, 30, v2
	v_mov_b32_e32 v0, v19
	v_cmp_gt_i64_e32 vcc, 0, v[0:1]
	v_not_b32_e32 v0, v1
	v_ashrrev_i32_e32 v0, 31, v0
	v_xor_b32_e32 v1, vcc_hi, v0
	v_xor_b32_e32 v0, vcc_lo, v0
	v_and_b32_e32 v18, v18, v1
	v_and_b32_e32 v34, v34, v0
	v_lshlrev_b32_e32 v1, 29, v2
	v_mov_b32_e32 v0, v19
	v_cmp_gt_i64_e32 vcc, 0, v[0:1]
	v_not_b32_e32 v0, v1
	v_ashrrev_i32_e32 v0, 31, v0
	v_xor_b32_e32 v1, vcc_hi, v0
	v_xor_b32_e32 v0, vcc_lo, v0
	v_and_b32_e32 v18, v18, v1
	v_and_b32_e32 v34, v34, v0
	;; [unrolled: 9-line block ×7, first 2 shown]
	v_mbcnt_lo_u32_b32 v2, v0, 0
	v_mbcnt_hi_u32_b32 v34, v1, v2
	v_cmp_eq_u32_e32 vcc, 0, v34
	v_cmp_ne_u64_e64 s[26:27], 0, v[0:1]
	v_mov_b64_e32 v[10:11], v[38:39]
	v_mov_b64_e32 v[6:7], v[42:43]
	;; [unrolled: 1-line block ×3, first 2 shown]
	s_and_b64 s[44:45], s[26:27], vcc
	v_add_u32_e32 v35, v24, v3
	ds_write2_b64 v23, v[14:15], v[16:17] offset0:2 offset1:3
	s_waitcnt lgkmcnt(0)
	s_barrier
	; wave barrier
	s_and_saveexec_b64 s[26:27], s[44:45]
; %bb.20:                               ;   in Loop: Header=BB26_19 Depth=1
	v_bcnt_u32_b32 v0, v0, 0
	v_bcnt_u32_b32 v0, v1, v0
	ds_write_b32 v35, v0 offset:16
; %bb.21:                               ;   in Loop: Header=BB26_19 Depth=1
	s_or_b64 exec, exec, s[26:27]
	s_not_b32 s40, s40
	v_lshrrev_b32_sdwa v0, s34, v25 dst_sel:DWORD dst_unused:UNUSED_PAD src0_sel:DWORD src1_sel:BYTE_1
	v_and_b32_e32 v2, s40, v0
	v_lshlrev_b32_e32 v0, 4, v2
	v_and_b32_e32 v18, 1, v2
	v_add_u32_e32 v37, v24, v0
	v_lshl_add_u64 v[0:1], v[18:19], 0, -1
	v_cmp_ne_u32_e32 vcc, 0, v18
	; wave barrier
	s_nop 1
	v_xor_b32_e32 v1, vcc_hi, v1
	v_xor_b32_e32 v0, vcc_lo, v0
	v_and_b32_e32 v3, exec_hi, v1
	v_and_b32_e32 v18, exec_lo, v0
	v_lshlrev_b32_e32 v1, 30, v2
	v_mov_b32_e32 v0, v19
	v_cmp_gt_i64_e32 vcc, 0, v[0:1]
	v_not_b32_e32 v0, v1
	v_ashrrev_i32_e32 v0, 31, v0
	v_xor_b32_e32 v1, vcc_hi, v0
	v_xor_b32_e32 v0, vcc_lo, v0
	v_and_b32_e32 v3, v3, v1
	v_and_b32_e32 v18, v18, v0
	v_lshlrev_b32_e32 v1, 29, v2
	v_mov_b32_e32 v0, v19
	v_cmp_gt_i64_e32 vcc, 0, v[0:1]
	v_not_b32_e32 v0, v1
	v_ashrrev_i32_e32 v0, 31, v0
	v_xor_b32_e32 v1, vcc_hi, v0
	v_xor_b32_e32 v0, vcc_lo, v0
	v_and_b32_e32 v3, v3, v1
	v_and_b32_e32 v18, v18, v0
	;; [unrolled: 9-line block ×6, first 2 shown]
	v_lshlrev_b32_e32 v1, 24, v2
	v_mov_b32_e32 v0, v19
	v_cmp_gt_i64_e32 vcc, 0, v[0:1]
	v_not_b32_e32 v0, v1
	v_ashrrev_i32_e32 v0, 31, v0
	v_xor_b32_e32 v1, vcc_hi, v0
	v_xor_b32_e32 v0, vcc_lo, v0
	ds_read_b32 v36, v37 offset:16
	v_and_b32_e32 v0, v18, v0
	v_and_b32_e32 v1, v3, v1
	v_mbcnt_lo_u32_b32 v2, v0, 0
	v_mbcnt_hi_u32_b32 v38, v1, v2
	v_cmp_eq_u32_e32 vcc, 0, v38
	v_cmp_ne_u64_e64 s[26:27], 0, v[0:1]
	s_and_b64 s[44:45], s[26:27], vcc
	; wave barrier
	s_and_saveexec_b64 s[26:27], s[44:45]
	s_cbranch_execz .LBB26_23
; %bb.22:                               ;   in Loop: Header=BB26_19 Depth=1
	v_bcnt_u32_b32 v0, v0, 0
	v_bcnt_u32_b32 v0, v1, v0
	s_waitcnt lgkmcnt(0)
	v_add_u32_e32 v0, v36, v0
	ds_write_b32 v37, v0 offset:16
.LBB26_23:                              ;   in Loop: Header=BB26_19 Depth=1
	s_or_b64 exec, exec, s[26:27]
	v_lshrrev_b32_sdwa v0, s34, v25 dst_sel:DWORD dst_unused:UNUSED_PAD src0_sel:DWORD src1_sel:BYTE_2
	v_and_b32_e32 v2, s40, v0
	v_lshlrev_b32_e32 v0, 4, v2
	v_and_b32_e32 v18, 1, v2
	v_add_u32_e32 v40, v24, v0
	v_lshl_add_u64 v[0:1], v[18:19], 0, -1
	v_cmp_ne_u32_e32 vcc, 0, v18
	; wave barrier
	s_nop 1
	v_xor_b32_e32 v1, vcc_hi, v1
	v_xor_b32_e32 v0, vcc_lo, v0
	v_and_b32_e32 v3, exec_hi, v1
	v_and_b32_e32 v18, exec_lo, v0
	v_lshlrev_b32_e32 v1, 30, v2
	v_mov_b32_e32 v0, v19
	v_cmp_gt_i64_e32 vcc, 0, v[0:1]
	v_not_b32_e32 v0, v1
	v_ashrrev_i32_e32 v0, 31, v0
	v_xor_b32_e32 v1, vcc_hi, v0
	v_xor_b32_e32 v0, vcc_lo, v0
	v_and_b32_e32 v3, v3, v1
	v_and_b32_e32 v18, v18, v0
	v_lshlrev_b32_e32 v1, 29, v2
	v_mov_b32_e32 v0, v19
	v_cmp_gt_i64_e32 vcc, 0, v[0:1]
	v_not_b32_e32 v0, v1
	v_ashrrev_i32_e32 v0, 31, v0
	v_xor_b32_e32 v1, vcc_hi, v0
	v_xor_b32_e32 v0, vcc_lo, v0
	v_and_b32_e32 v3, v3, v1
	v_and_b32_e32 v18, v18, v0
	;; [unrolled: 9-line block ×6, first 2 shown]
	v_lshlrev_b32_e32 v1, 24, v2
	v_mov_b32_e32 v0, v19
	v_cmp_gt_i64_e32 vcc, 0, v[0:1]
	v_not_b32_e32 v0, v1
	v_ashrrev_i32_e32 v0, 31, v0
	v_xor_b32_e32 v1, vcc_hi, v0
	v_xor_b32_e32 v0, vcc_lo, v0
	ds_read_b32 v39, v40 offset:16
	v_and_b32_e32 v0, v18, v0
	v_and_b32_e32 v1, v3, v1
	v_mbcnt_lo_u32_b32 v2, v0, 0
	v_mbcnt_hi_u32_b32 v42, v1, v2
	v_cmp_eq_u32_e32 vcc, 0, v42
	v_cmp_ne_u64_e64 s[26:27], 0, v[0:1]
	s_and_b64 s[44:45], s[26:27], vcc
	; wave barrier
	s_and_saveexec_b64 s[26:27], s[44:45]
	s_cbranch_execz .LBB26_25
; %bb.24:                               ;   in Loop: Header=BB26_19 Depth=1
	v_bcnt_u32_b32 v0, v0, 0
	v_bcnt_u32_b32 v0, v1, v0
	s_waitcnt lgkmcnt(0)
	v_add_u32_e32 v0, v39, v0
	ds_write_b32 v40, v0 offset:16
.LBB26_25:                              ;   in Loop: Header=BB26_19 Depth=1
	s_or_b64 exec, exec, s[26:27]
	v_lshrrev_b32_e32 v41, 24, v25
	v_lshrrev_b32_e32 v0, s34, v41
	v_and_b32_e32 v2, s40, v0
	v_lshlrev_b32_e32 v0, 4, v2
	v_and_b32_e32 v18, 1, v2
	v_add_u32_e32 v44, v24, v0
	v_lshl_add_u64 v[0:1], v[18:19], 0, -1
	v_cmp_ne_u32_e32 vcc, 0, v18
	; wave barrier
	s_nop 1
	v_xor_b32_e32 v1, vcc_hi, v1
	v_xor_b32_e32 v0, vcc_lo, v0
	v_and_b32_e32 v3, exec_hi, v1
	v_and_b32_e32 v18, exec_lo, v0
	v_lshlrev_b32_e32 v1, 30, v2
	v_mov_b32_e32 v0, v19
	v_cmp_gt_i64_e32 vcc, 0, v[0:1]
	v_not_b32_e32 v0, v1
	v_ashrrev_i32_e32 v0, 31, v0
	v_xor_b32_e32 v1, vcc_hi, v0
	v_xor_b32_e32 v0, vcc_lo, v0
	v_and_b32_e32 v3, v3, v1
	v_and_b32_e32 v18, v18, v0
	v_lshlrev_b32_e32 v1, 29, v2
	v_mov_b32_e32 v0, v19
	v_cmp_gt_i64_e32 vcc, 0, v[0:1]
	v_not_b32_e32 v0, v1
	v_ashrrev_i32_e32 v0, 31, v0
	v_xor_b32_e32 v1, vcc_hi, v0
	v_xor_b32_e32 v0, vcc_lo, v0
	v_and_b32_e32 v3, v3, v1
	v_and_b32_e32 v18, v18, v0
	;; [unrolled: 9-line block ×6, first 2 shown]
	v_lshlrev_b32_e32 v1, 24, v2
	v_mov_b32_e32 v0, v19
	v_cmp_gt_i64_e32 vcc, 0, v[0:1]
	v_not_b32_e32 v0, v1
	v_ashrrev_i32_e32 v0, 31, v0
	v_xor_b32_e32 v1, vcc_hi, v0
	v_xor_b32_e32 v0, vcc_lo, v0
	ds_read_b32 v43, v44 offset:16
	v_and_b32_e32 v0, v18, v0
	v_and_b32_e32 v1, v3, v1
	v_mbcnt_lo_u32_b32 v2, v0, 0
	v_mbcnt_hi_u32_b32 v45, v1, v2
	v_cmp_eq_u32_e32 vcc, 0, v45
	v_cmp_ne_u64_e64 s[26:27], 0, v[0:1]
	s_and_b64 s[40:41], s[26:27], vcc
	; wave barrier
	s_and_saveexec_b64 s[26:27], s[40:41]
	s_cbranch_execz .LBB26_27
; %bb.26:                               ;   in Loop: Header=BB26_19 Depth=1
	v_bcnt_u32_b32 v0, v0, 0
	v_bcnt_u32_b32 v0, v1, v0
	s_waitcnt lgkmcnt(0)
	v_add_u32_e32 v0, v43, v0
	ds_write_b32 v44, v0 offset:16
.LBB26_27:                              ;   in Loop: Header=BB26_19 Depth=1
	s_or_b64 exec, exec, s[26:27]
	; wave barrier
	s_waitcnt lgkmcnt(0)
	s_barrier
	ds_read2_b64 v[0:3], v23 offset0:2 offset1:3
	s_waitcnt lgkmcnt(0)
	v_add_u32_e32 v18, v1, v0
	v_add3_u32 v3, v18, v2, v3
	s_nop 1
	v_mov_b32_dpp v18, v3 row_shr:1 row_mask:0xf bank_mask:0xf
	v_cndmask_b32_e64 v18, v18, 0, s[0:1]
	v_add_u32_e32 v3, v18, v3
	s_nop 1
	v_mov_b32_dpp v18, v3 row_shr:2 row_mask:0xf bank_mask:0xf
	v_cndmask_b32_e64 v18, 0, v18, s[2:3]
	v_add_u32_e32 v3, v3, v18
	;; [unrolled: 4-line block ×4, first 2 shown]
	s_nop 1
	v_mov_b32_dpp v18, v3 row_bcast:15 row_mask:0xf bank_mask:0xf
	v_cndmask_b32_e64 v18, v18, 0, s[8:9]
	v_add_u32_e32 v3, v3, v18
	s_nop 1
	v_mov_b32_dpp v18, v3 row_bcast:31 row_mask:0xf bank_mask:0xf
	v_cndmask_b32_e64 v18, 0, v18, s[10:11]
	v_add_u32_e32 v3, v3, v18
	s_and_saveexec_b64 s[26:27], s[12:13]
; %bb.28:                               ;   in Loop: Header=BB26_19 Depth=1
	ds_write_b32 v27, v3
; %bb.29:                               ;   in Loop: Header=BB26_19 Depth=1
	s_or_b64 exec, exec, s[26:27]
	s_waitcnt lgkmcnt(0)
	s_barrier
	s_and_saveexec_b64 s[26:27], s[14:15]
	s_cbranch_execz .LBB26_31
; %bb.30:                               ;   in Loop: Header=BB26_19 Depth=1
	ds_read_b32 v18, v29
	s_waitcnt lgkmcnt(0)
	s_nop 0
	v_mov_b32_dpp v46, v18 row_shr:1 row_mask:0xf bank_mask:0xf
	v_cndmask_b32_e64 v46, v46, 0, s[22:23]
	v_add_u32_e32 v18, v46, v18
	s_nop 1
	v_mov_b32_dpp v46, v18 row_shr:2 row_mask:0xf bank_mask:0xf
	v_cndmask_b32_e64 v46, 0, v46, s[24:25]
	v_add_u32_e32 v18, v18, v46
	ds_write_b32 v29, v18
.LBB26_31:                              ;   in Loop: Header=BB26_19 Depth=1
	s_or_b64 exec, exec, s[26:27]
	v_mov_b32_e32 v18, 0
	s_waitcnt lgkmcnt(0)
	s_barrier
	s_and_saveexec_b64 s[26:27], s[16:17]
; %bb.32:                               ;   in Loop: Header=BB26_19 Depth=1
	ds_read_b32 v18, v28
; %bb.33:                               ;   in Loop: Header=BB26_19 Depth=1
	s_or_b64 exec, exec, s[26:27]
	s_waitcnt lgkmcnt(0)
	v_add_u32_e32 v3, v18, v3
	ds_bpermute_b32 v47, v26, v3
	s_add_i32 s34, s34, 8
	v_mov_b32_e32 v3, v25
	v_lshrrev_b32_e32 v46, 8, v25
	s_cmp_ge_u32 s34, s36
	s_waitcnt lgkmcnt(0)
	v_cndmask_b32_e64 v18, v47, v18, s[18:19]
	v_cndmask_b32_e64 v48, v18, 0, s[20:21]
	v_add_u32_e32 v49, v48, v0
	v_add_u32_e32 v0, v49, v1
	;; [unrolled: 1-line block ×3, first 2 shown]
	ds_write2_b64 v23, v[48:49], v[0:1] offset0:2 offset1:3
	s_waitcnt lgkmcnt(0)
	s_barrier
	ds_read_b32 v0, v35 offset:16
	ds_read_b32 v2, v37 offset:16
	;; [unrolled: 1-line block ×4, first 2 shown]
	v_lshrrev_b32_e32 v35, 16, v25
	s_waitcnt lgkmcnt(3)
	v_add_u32_e32 v1, v0, v34
	s_waitcnt lgkmcnt(2)
	v_add3_u32 v18, v38, v36, v2
	s_waitcnt lgkmcnt(1)
	v_add3_u32 v2, v42, v39, v37
	;; [unrolled: 2-line block ×3, first 2 shown]
	v_mul_lo_u32 v34, v1, 7
	s_mov_b64 s[26:27], -1
	v_readfirstlane_b32 s40, v0
                                        ; implicit-def: $vgpr36_vgpr37
                                        ; implicit-def: $vgpr38_vgpr39
                                        ; implicit-def: $vgpr42_vgpr43
                                        ; implicit-def: $vgpr44_vgpr45
	s_cbranch_scc1 .LBB26_18
; %bb.34:                               ;   in Loop: Header=BB26_19 Depth=1
	s_barrier
	ds_write_b8 v1, v25
	ds_write_b8 v18, v46
	;; [unrolled: 1-line block ×4, first 2 shown]
	s_waitcnt lgkmcnt(0)
	s_barrier
	ds_read_u8 v25, v9
	ds_read_u8 v36, v20
	;; [unrolled: 1-line block ×4, first 2 shown]
	s_waitcnt lgkmcnt(0)
	s_barrier
	v_perm_b32 v25, v37, v25, s37
	v_perm_b32 v36, v36, v38, s37
	v_lshl_or_b32 v25, v36, 16, v25
	v_add_u32_e32 v36, v1, v34
	ds_write_b64 v36, v[12:13]
	v_mad_u64_u32 v[36:37], s[26:27], v18, 7, v[18:19]
	ds_write_b64 v36, v[10:11]
	v_mad_u64_u32 v[36:37], s[26:27], v2, 7, v[2:3]
	;; [unrolled: 2-line block ×3, first 2 shown]
	ds_write_b64 v36, v[4:5]
	s_waitcnt lgkmcnt(0)
	s_barrier
	ds_read_b64 v[36:37], v30
	ds_read_b64 v[38:39], v31
	;; [unrolled: 1-line block ×4, first 2 shown]
	s_add_i32 s40, s35, -8
	s_mov_b64 s[26:27], 0
	s_waitcnt lgkmcnt(0)
	s_barrier
	s_branch .LBB26_18
.LBB26_35:
	s_barrier
	ds_write_b8 v1, v3
	ds_write_b8 v18, v46
	;; [unrolled: 1-line block ×4, first 2 shown]
	s_waitcnt lgkmcnt(0)
	s_barrier
	ds_read_u8 v9, v8
	ds_read_u8 v14, v8 offset:256
	ds_read_u8 v15, v8 offset:512
	;; [unrolled: 1-line block ×3, first 2 shown]
	v_add_u32_e32 v1, v1, v34
	s_waitcnt lgkmcnt(0)
	s_barrier
	ds_write_b64 v1, v[12:13]
	v_mad_u64_u32 v[12:13], s[0:1], v18, 7, v[18:19]
	v_mad_u64_u32 v[2:3], s[0:1], v2, 7, v[2:3]
	v_mad_u64_u32 v[0:1], s[0:1], v0, 7, v[0:1]
	ds_write_b64 v12, v[10:11]
	ds_write_b64 v2, v[6:7]
	;; [unrolled: 1-line block ×3, first 2 shown]
	v_mad_u32_u24 v0, v8, 7, v8
	s_waitcnt lgkmcnt(0)
	s_barrier
	ds_read2st64_b64 v[4:7], v0 offset1:4
	ds_read2st64_b64 v[0:3], v0 offset0:8 offset1:12
	s_add_u32 s0, s38, s28
	v_xor_b32_e32 v17, 0x7f, v9
	s_addc_u32 s1, s39, 0
	v_mov_b32_e32 v9, 0
	v_xor_b32_e32 v16, 0x7f, v14
	v_xor_b32_e32 v15, 0x7f, v15
	;; [unrolled: 1-line block ×3, first 2 shown]
	v_lshl_add_u64 v[12:13], s[0:1], 0, v[8:9]
	s_andn2_b64 vcc, exec, s[30:31]
	v_lshlrev_b32_e32 v10, 3, v8
	s_cbranch_vccnz .LBB26_37
; %bb.36:
	s_lshl_b64 s[0:1], s[28:29], 3
	s_add_u32 s0, s42, s0
	s_addc_u32 s1, s43, s1
	v_mov_b32_e32 v11, v9
	v_lshl_add_u64 v[18:19], s[0:1], 0, v[10:11]
	v_add_co_u32_e32 v18, vcc, 0x1000, v18
	global_store_byte v[12:13], v17, off
	global_store_byte v[12:13], v16, off offset:256
	global_store_byte v[12:13], v15, off offset:512
	;; [unrolled: 1-line block ×3, first 2 shown]
	s_waitcnt lgkmcnt(1)
	global_store_dwordx2 v10, v[4:5], s[0:1]
	global_store_dwordx2 v10, v[6:7], s[0:1] offset:2048
	v_addc_co_u32_e32 v19, vcc, 0, v19, vcc
	s_mov_b64 s[4:5], -1
	s_waitcnt lgkmcnt(0)
	global_store_dwordx2 v[18:19], v[0:1], off
	s_cbranch_execz .LBB26_38
	s_branch .LBB26_51
.LBB26_37:
	s_mov_b64 s[4:5], 0
.LBB26_38:
	v_cmp_gt_u32_e32 vcc, s33, v8
	s_and_saveexec_b64 s[0:1], vcc
	s_cbranch_execz .LBB26_40
; %bb.39:
	global_store_byte v[12:13], v17, off
.LBB26_40:
	s_or_b64 exec, exec, s[0:1]
	v_add_u32_e32 v9, 0x100, v8
	v_cmp_gt_u32_e64 s[0:1], s33, v9
	s_and_saveexec_b64 s[2:3], s[0:1]
	s_cbranch_execz .LBB26_42
; %bb.41:
	global_store_byte v[12:13], v16, off offset:256
.LBB26_42:
	s_or_b64 exec, exec, s[2:3]
	v_add_u32_e32 v9, 0x200, v8
	v_cmp_gt_u32_e64 s[2:3], s33, v9
	s_and_saveexec_b64 s[4:5], s[2:3]
	s_cbranch_execz .LBB26_44
; %bb.43:
	global_store_byte v[12:13], v15, off offset:512
.LBB26_44:
	;; [unrolled: 8-line block ×3, first 2 shown]
	s_or_b64 exec, exec, s[6:7]
	s_lshl_b64 s[6:7], s[28:29], 3
	s_add_u32 s6, s42, s6
	s_addc_u32 s7, s43, s7
	v_mov_b32_e32 v11, 0
	v_lshl_add_u64 v[8:9], s[6:7], 0, v[10:11]
	s_and_saveexec_b64 s[6:7], vcc
	s_cbranch_execnz .LBB26_57
; %bb.47:
	s_or_b64 exec, exec, s[6:7]
	s_and_saveexec_b64 s[6:7], s[0:1]
	s_cbranch_execnz .LBB26_58
.LBB26_48:
	s_or_b64 exec, exec, s[6:7]
	s_and_saveexec_b64 s[0:1], s[2:3]
	s_cbranch_execz .LBB26_50
.LBB26_49:
	s_waitcnt lgkmcnt(1)
	v_add_co_u32_e32 v4, vcc, 0x1000, v8
	s_nop 1
	v_addc_co_u32_e32 v5, vcc, 0, v9, vcc
	s_waitcnt lgkmcnt(0)
	global_store_dwordx2 v[4:5], v[0:1], off
.LBB26_50:
	s_or_b64 exec, exec, s[0:1]
.LBB26_51:
	s_and_saveexec_b64 s[0:1], s[4:5]
	s_cbranch_execnz .LBB26_53
; %bb.52:
	s_endpgm
.LBB26_53:
	s_lshl_b64 s[0:1], s[28:29], 3
	s_add_u32 s0, s42, s0
	s_addc_u32 s1, s43, s1
	v_mov_b32_e32 v11, 0
	s_waitcnt lgkmcnt(0)
	v_lshl_add_u64 v[0:1], s[0:1], 0, v[10:11]
	v_add_co_u32_e32 v0, vcc, 0x1000, v0
	s_nop 1
	v_addc_co_u32_e32 v1, vcc, 0, v1, vcc
	global_store_dwordx2 v[0:1], v[2:3], off offset:2048
	s_endpgm
.LBB26_54:
	global_load_dwordx2 v[36:37], v[4:5], off
	s_or_b64 exec, exec, s[8:9]
                                        ; implicit-def: $vgpr38_vgpr39
	s_and_saveexec_b64 s[8:9], s[2:3]
	s_cbranch_execz .LBB26_13
.LBB26_55:
	global_load_dwordx2 v[38:39], v[4:5], off offset:512
	s_or_b64 exec, exec, s[8:9]
                                        ; implicit-def: $vgpr42_vgpr43
	s_and_saveexec_b64 s[2:3], s[4:5]
	s_cbranch_execz .LBB26_14
.LBB26_56:
	global_load_dwordx2 v[42:43], v[4:5], off offset:1024
	s_or_b64 exec, exec, s[2:3]
                                        ; implicit-def: $vgpr44_vgpr45
	s_and_saveexec_b64 s[2:3], s[6:7]
	s_cbranch_execnz .LBB26_15
	s_branch .LBB26_16
.LBB26_57:
	s_waitcnt lgkmcnt(1)
	global_store_dwordx2 v[8:9], v[4:5], off
	s_or_b64 exec, exec, s[6:7]
	s_and_saveexec_b64 s[6:7], s[0:1]
	s_cbranch_execz .LBB26_48
.LBB26_58:
	s_waitcnt lgkmcnt(1)
	global_store_dwordx2 v[8:9], v[6:7], off offset:2048
	s_or_b64 exec, exec, s[6:7]
	s_and_saveexec_b64 s[0:1], s[2:3]
	s_cbranch_execnz .LBB26_49
	s_branch .LBB26_50
	.section	.rodata,"a",@progbits
	.p2align	6, 0x0
	.amdhsa_kernel _ZN7rocprim17ROCPRIM_304000_NS6detail28radix_sort_block_sort_kernelINS1_36wrapped_radix_sort_block_sort_configINS0_13kernel_configILj256ELj4ELj4294967295EEEaN2at4cuda3cub6detail10OpaqueTypeILi8EEEEELb1EPKaPaPKSB_PSB_NS0_19identity_decomposerEEEvT1_T2_T3_T4_jT5_jj
		.amdhsa_group_segment_fixed_size 8192
		.amdhsa_private_segment_fixed_size 0
		.amdhsa_kernarg_size 304
		.amdhsa_user_sgpr_count 2
		.amdhsa_user_sgpr_dispatch_ptr 0
		.amdhsa_user_sgpr_queue_ptr 0
		.amdhsa_user_sgpr_kernarg_segment_ptr 1
		.amdhsa_user_sgpr_dispatch_id 0
		.amdhsa_user_sgpr_kernarg_preload_length 0
		.amdhsa_user_sgpr_kernarg_preload_offset 0
		.amdhsa_user_sgpr_private_segment_size 0
		.amdhsa_uses_dynamic_stack 0
		.amdhsa_enable_private_segment 0
		.amdhsa_system_sgpr_workgroup_id_x 1
		.amdhsa_system_sgpr_workgroup_id_y 0
		.amdhsa_system_sgpr_workgroup_id_z 0
		.amdhsa_system_sgpr_workgroup_info 0
		.amdhsa_system_vgpr_workitem_id 2
		.amdhsa_next_free_vgpr 50
		.amdhsa_next_free_sgpr 46
		.amdhsa_accum_offset 52
		.amdhsa_reserve_vcc 1
		.amdhsa_float_round_mode_32 0
		.amdhsa_float_round_mode_16_64 0
		.amdhsa_float_denorm_mode_32 3
		.amdhsa_float_denorm_mode_16_64 3
		.amdhsa_dx10_clamp 1
		.amdhsa_ieee_mode 1
		.amdhsa_fp16_overflow 0
		.amdhsa_tg_split 0
		.amdhsa_exception_fp_ieee_invalid_op 0
		.amdhsa_exception_fp_denorm_src 0
		.amdhsa_exception_fp_ieee_div_zero 0
		.amdhsa_exception_fp_ieee_overflow 0
		.amdhsa_exception_fp_ieee_underflow 0
		.amdhsa_exception_fp_ieee_inexact 0
		.amdhsa_exception_int_div_zero 0
	.end_amdhsa_kernel
	.section	.text._ZN7rocprim17ROCPRIM_304000_NS6detail28radix_sort_block_sort_kernelINS1_36wrapped_radix_sort_block_sort_configINS0_13kernel_configILj256ELj4ELj4294967295EEEaN2at4cuda3cub6detail10OpaqueTypeILi8EEEEELb1EPKaPaPKSB_PSB_NS0_19identity_decomposerEEEvT1_T2_T3_T4_jT5_jj,"axG",@progbits,_ZN7rocprim17ROCPRIM_304000_NS6detail28radix_sort_block_sort_kernelINS1_36wrapped_radix_sort_block_sort_configINS0_13kernel_configILj256ELj4ELj4294967295EEEaN2at4cuda3cub6detail10OpaqueTypeILi8EEEEELb1EPKaPaPKSB_PSB_NS0_19identity_decomposerEEEvT1_T2_T3_T4_jT5_jj,comdat
.Lfunc_end26:
	.size	_ZN7rocprim17ROCPRIM_304000_NS6detail28radix_sort_block_sort_kernelINS1_36wrapped_radix_sort_block_sort_configINS0_13kernel_configILj256ELj4ELj4294967295EEEaN2at4cuda3cub6detail10OpaqueTypeILi8EEEEELb1EPKaPaPKSB_PSB_NS0_19identity_decomposerEEEvT1_T2_T3_T4_jT5_jj, .Lfunc_end26-_ZN7rocprim17ROCPRIM_304000_NS6detail28radix_sort_block_sort_kernelINS1_36wrapped_radix_sort_block_sort_configINS0_13kernel_configILj256ELj4ELj4294967295EEEaN2at4cuda3cub6detail10OpaqueTypeILi8EEEEELb1EPKaPaPKSB_PSB_NS0_19identity_decomposerEEEvT1_T2_T3_T4_jT5_jj
                                        ; -- End function
	.set _ZN7rocprim17ROCPRIM_304000_NS6detail28radix_sort_block_sort_kernelINS1_36wrapped_radix_sort_block_sort_configINS0_13kernel_configILj256ELj4ELj4294967295EEEaN2at4cuda3cub6detail10OpaqueTypeILi8EEEEELb1EPKaPaPKSB_PSB_NS0_19identity_decomposerEEEvT1_T2_T3_T4_jT5_jj.num_vgpr, 50
	.set _ZN7rocprim17ROCPRIM_304000_NS6detail28radix_sort_block_sort_kernelINS1_36wrapped_radix_sort_block_sort_configINS0_13kernel_configILj256ELj4ELj4294967295EEEaN2at4cuda3cub6detail10OpaqueTypeILi8EEEEELb1EPKaPaPKSB_PSB_NS0_19identity_decomposerEEEvT1_T2_T3_T4_jT5_jj.num_agpr, 0
	.set _ZN7rocprim17ROCPRIM_304000_NS6detail28radix_sort_block_sort_kernelINS1_36wrapped_radix_sort_block_sort_configINS0_13kernel_configILj256ELj4ELj4294967295EEEaN2at4cuda3cub6detail10OpaqueTypeILi8EEEEELb1EPKaPaPKSB_PSB_NS0_19identity_decomposerEEEvT1_T2_T3_T4_jT5_jj.numbered_sgpr, 46
	.set _ZN7rocprim17ROCPRIM_304000_NS6detail28radix_sort_block_sort_kernelINS1_36wrapped_radix_sort_block_sort_configINS0_13kernel_configILj256ELj4ELj4294967295EEEaN2at4cuda3cub6detail10OpaqueTypeILi8EEEEELb1EPKaPaPKSB_PSB_NS0_19identity_decomposerEEEvT1_T2_T3_T4_jT5_jj.num_named_barrier, 0
	.set _ZN7rocprim17ROCPRIM_304000_NS6detail28radix_sort_block_sort_kernelINS1_36wrapped_radix_sort_block_sort_configINS0_13kernel_configILj256ELj4ELj4294967295EEEaN2at4cuda3cub6detail10OpaqueTypeILi8EEEEELb1EPKaPaPKSB_PSB_NS0_19identity_decomposerEEEvT1_T2_T3_T4_jT5_jj.private_seg_size, 0
	.set _ZN7rocprim17ROCPRIM_304000_NS6detail28radix_sort_block_sort_kernelINS1_36wrapped_radix_sort_block_sort_configINS0_13kernel_configILj256ELj4ELj4294967295EEEaN2at4cuda3cub6detail10OpaqueTypeILi8EEEEELb1EPKaPaPKSB_PSB_NS0_19identity_decomposerEEEvT1_T2_T3_T4_jT5_jj.uses_vcc, 1
	.set _ZN7rocprim17ROCPRIM_304000_NS6detail28radix_sort_block_sort_kernelINS1_36wrapped_radix_sort_block_sort_configINS0_13kernel_configILj256ELj4ELj4294967295EEEaN2at4cuda3cub6detail10OpaqueTypeILi8EEEEELb1EPKaPaPKSB_PSB_NS0_19identity_decomposerEEEvT1_T2_T3_T4_jT5_jj.uses_flat_scratch, 0
	.set _ZN7rocprim17ROCPRIM_304000_NS6detail28radix_sort_block_sort_kernelINS1_36wrapped_radix_sort_block_sort_configINS0_13kernel_configILj256ELj4ELj4294967295EEEaN2at4cuda3cub6detail10OpaqueTypeILi8EEEEELb1EPKaPaPKSB_PSB_NS0_19identity_decomposerEEEvT1_T2_T3_T4_jT5_jj.has_dyn_sized_stack, 0
	.set _ZN7rocprim17ROCPRIM_304000_NS6detail28radix_sort_block_sort_kernelINS1_36wrapped_radix_sort_block_sort_configINS0_13kernel_configILj256ELj4ELj4294967295EEEaN2at4cuda3cub6detail10OpaqueTypeILi8EEEEELb1EPKaPaPKSB_PSB_NS0_19identity_decomposerEEEvT1_T2_T3_T4_jT5_jj.has_recursion, 0
	.set _ZN7rocprim17ROCPRIM_304000_NS6detail28radix_sort_block_sort_kernelINS1_36wrapped_radix_sort_block_sort_configINS0_13kernel_configILj256ELj4ELj4294967295EEEaN2at4cuda3cub6detail10OpaqueTypeILi8EEEEELb1EPKaPaPKSB_PSB_NS0_19identity_decomposerEEEvT1_T2_T3_T4_jT5_jj.has_indirect_call, 0
	.section	.AMDGPU.csdata,"",@progbits
; Kernel info:
; codeLenInByte = 4056
; TotalNumSgprs: 52
; NumVgprs: 50
; NumAgprs: 0
; TotalNumVgprs: 50
; ScratchSize: 0
; MemoryBound: 0
; FloatMode: 240
; IeeeMode: 1
; LDSByteSize: 8192 bytes/workgroup (compile time only)
; SGPRBlocks: 6
; VGPRBlocks: 6
; NumSGPRsForWavesPerEU: 52
; NumVGPRsForWavesPerEU: 50
; AccumOffset: 52
; Occupancy: 8
; WaveLimiterHint : 1
; COMPUTE_PGM_RSRC2:SCRATCH_EN: 0
; COMPUTE_PGM_RSRC2:USER_SGPR: 2
; COMPUTE_PGM_RSRC2:TRAP_HANDLER: 0
; COMPUTE_PGM_RSRC2:TGID_X_EN: 1
; COMPUTE_PGM_RSRC2:TGID_Y_EN: 0
; COMPUTE_PGM_RSRC2:TGID_Z_EN: 0
; COMPUTE_PGM_RSRC2:TIDIG_COMP_CNT: 2
; COMPUTE_PGM_RSRC3_GFX90A:ACCUM_OFFSET: 12
; COMPUTE_PGM_RSRC3_GFX90A:TG_SPLIT: 0
	.section	.text._ZN7rocprim17ROCPRIM_304000_NS6detail39device_merge_sort_compile_time_verifierINS1_36wrapped_merge_sort_block_sort_configINS1_28merge_sort_block_sort_configILj256ELj4ELNS0_20block_sort_algorithmE0EEEaN2at4cuda3cub6detail10OpaqueTypeILi8EEEEENS1_37wrapped_merge_sort_block_merge_configINS0_14default_configEaSC_EEEEvv,"axG",@progbits,_ZN7rocprim17ROCPRIM_304000_NS6detail39device_merge_sort_compile_time_verifierINS1_36wrapped_merge_sort_block_sort_configINS1_28merge_sort_block_sort_configILj256ELj4ELNS0_20block_sort_algorithmE0EEEaN2at4cuda3cub6detail10OpaqueTypeILi8EEEEENS1_37wrapped_merge_sort_block_merge_configINS0_14default_configEaSC_EEEEvv,comdat
	.protected	_ZN7rocprim17ROCPRIM_304000_NS6detail39device_merge_sort_compile_time_verifierINS1_36wrapped_merge_sort_block_sort_configINS1_28merge_sort_block_sort_configILj256ELj4ELNS0_20block_sort_algorithmE0EEEaN2at4cuda3cub6detail10OpaqueTypeILi8EEEEENS1_37wrapped_merge_sort_block_merge_configINS0_14default_configEaSC_EEEEvv ; -- Begin function _ZN7rocprim17ROCPRIM_304000_NS6detail39device_merge_sort_compile_time_verifierINS1_36wrapped_merge_sort_block_sort_configINS1_28merge_sort_block_sort_configILj256ELj4ELNS0_20block_sort_algorithmE0EEEaN2at4cuda3cub6detail10OpaqueTypeILi8EEEEENS1_37wrapped_merge_sort_block_merge_configINS0_14default_configEaSC_EEEEvv
	.globl	_ZN7rocprim17ROCPRIM_304000_NS6detail39device_merge_sort_compile_time_verifierINS1_36wrapped_merge_sort_block_sort_configINS1_28merge_sort_block_sort_configILj256ELj4ELNS0_20block_sort_algorithmE0EEEaN2at4cuda3cub6detail10OpaqueTypeILi8EEEEENS1_37wrapped_merge_sort_block_merge_configINS0_14default_configEaSC_EEEEvv
	.p2align	8
	.type	_ZN7rocprim17ROCPRIM_304000_NS6detail39device_merge_sort_compile_time_verifierINS1_36wrapped_merge_sort_block_sort_configINS1_28merge_sort_block_sort_configILj256ELj4ELNS0_20block_sort_algorithmE0EEEaN2at4cuda3cub6detail10OpaqueTypeILi8EEEEENS1_37wrapped_merge_sort_block_merge_configINS0_14default_configEaSC_EEEEvv,@function
_ZN7rocprim17ROCPRIM_304000_NS6detail39device_merge_sort_compile_time_verifierINS1_36wrapped_merge_sort_block_sort_configINS1_28merge_sort_block_sort_configILj256ELj4ELNS0_20block_sort_algorithmE0EEEaN2at4cuda3cub6detail10OpaqueTypeILi8EEEEENS1_37wrapped_merge_sort_block_merge_configINS0_14default_configEaSC_EEEEvv: ; @_ZN7rocprim17ROCPRIM_304000_NS6detail39device_merge_sort_compile_time_verifierINS1_36wrapped_merge_sort_block_sort_configINS1_28merge_sort_block_sort_configILj256ELj4ELNS0_20block_sort_algorithmE0EEEaN2at4cuda3cub6detail10OpaqueTypeILi8EEEEENS1_37wrapped_merge_sort_block_merge_configINS0_14default_configEaSC_EEEEvv
; %bb.0:
	s_endpgm
	.section	.rodata,"a",@progbits
	.p2align	6, 0x0
	.amdhsa_kernel _ZN7rocprim17ROCPRIM_304000_NS6detail39device_merge_sort_compile_time_verifierINS1_36wrapped_merge_sort_block_sort_configINS1_28merge_sort_block_sort_configILj256ELj4ELNS0_20block_sort_algorithmE0EEEaN2at4cuda3cub6detail10OpaqueTypeILi8EEEEENS1_37wrapped_merge_sort_block_merge_configINS0_14default_configEaSC_EEEEvv
		.amdhsa_group_segment_fixed_size 0
		.amdhsa_private_segment_fixed_size 0
		.amdhsa_kernarg_size 0
		.amdhsa_user_sgpr_count 0
		.amdhsa_user_sgpr_dispatch_ptr 0
		.amdhsa_user_sgpr_queue_ptr 0
		.amdhsa_user_sgpr_kernarg_segment_ptr 0
		.amdhsa_user_sgpr_dispatch_id 0
		.amdhsa_user_sgpr_kernarg_preload_length 0
		.amdhsa_user_sgpr_kernarg_preload_offset 0
		.amdhsa_user_sgpr_private_segment_size 0
		.amdhsa_uses_dynamic_stack 0
		.amdhsa_enable_private_segment 0
		.amdhsa_system_sgpr_workgroup_id_x 1
		.amdhsa_system_sgpr_workgroup_id_y 0
		.amdhsa_system_sgpr_workgroup_id_z 0
		.amdhsa_system_sgpr_workgroup_info 0
		.amdhsa_system_vgpr_workitem_id 0
		.amdhsa_next_free_vgpr 1
		.amdhsa_next_free_sgpr 0
		.amdhsa_accum_offset 4
		.amdhsa_reserve_vcc 0
		.amdhsa_float_round_mode_32 0
		.amdhsa_float_round_mode_16_64 0
		.amdhsa_float_denorm_mode_32 3
		.amdhsa_float_denorm_mode_16_64 3
		.amdhsa_dx10_clamp 1
		.amdhsa_ieee_mode 1
		.amdhsa_fp16_overflow 0
		.amdhsa_tg_split 0
		.amdhsa_exception_fp_ieee_invalid_op 0
		.amdhsa_exception_fp_denorm_src 0
		.amdhsa_exception_fp_ieee_div_zero 0
		.amdhsa_exception_fp_ieee_overflow 0
		.amdhsa_exception_fp_ieee_underflow 0
		.amdhsa_exception_fp_ieee_inexact 0
		.amdhsa_exception_int_div_zero 0
	.end_amdhsa_kernel
	.section	.text._ZN7rocprim17ROCPRIM_304000_NS6detail39device_merge_sort_compile_time_verifierINS1_36wrapped_merge_sort_block_sort_configINS1_28merge_sort_block_sort_configILj256ELj4ELNS0_20block_sort_algorithmE0EEEaN2at4cuda3cub6detail10OpaqueTypeILi8EEEEENS1_37wrapped_merge_sort_block_merge_configINS0_14default_configEaSC_EEEEvv,"axG",@progbits,_ZN7rocprim17ROCPRIM_304000_NS6detail39device_merge_sort_compile_time_verifierINS1_36wrapped_merge_sort_block_sort_configINS1_28merge_sort_block_sort_configILj256ELj4ELNS0_20block_sort_algorithmE0EEEaN2at4cuda3cub6detail10OpaqueTypeILi8EEEEENS1_37wrapped_merge_sort_block_merge_configINS0_14default_configEaSC_EEEEvv,comdat
.Lfunc_end27:
	.size	_ZN7rocprim17ROCPRIM_304000_NS6detail39device_merge_sort_compile_time_verifierINS1_36wrapped_merge_sort_block_sort_configINS1_28merge_sort_block_sort_configILj256ELj4ELNS0_20block_sort_algorithmE0EEEaN2at4cuda3cub6detail10OpaqueTypeILi8EEEEENS1_37wrapped_merge_sort_block_merge_configINS0_14default_configEaSC_EEEEvv, .Lfunc_end27-_ZN7rocprim17ROCPRIM_304000_NS6detail39device_merge_sort_compile_time_verifierINS1_36wrapped_merge_sort_block_sort_configINS1_28merge_sort_block_sort_configILj256ELj4ELNS0_20block_sort_algorithmE0EEEaN2at4cuda3cub6detail10OpaqueTypeILi8EEEEENS1_37wrapped_merge_sort_block_merge_configINS0_14default_configEaSC_EEEEvv
                                        ; -- End function
	.set _ZN7rocprim17ROCPRIM_304000_NS6detail39device_merge_sort_compile_time_verifierINS1_36wrapped_merge_sort_block_sort_configINS1_28merge_sort_block_sort_configILj256ELj4ELNS0_20block_sort_algorithmE0EEEaN2at4cuda3cub6detail10OpaqueTypeILi8EEEEENS1_37wrapped_merge_sort_block_merge_configINS0_14default_configEaSC_EEEEvv.num_vgpr, 0
	.set _ZN7rocprim17ROCPRIM_304000_NS6detail39device_merge_sort_compile_time_verifierINS1_36wrapped_merge_sort_block_sort_configINS1_28merge_sort_block_sort_configILj256ELj4ELNS0_20block_sort_algorithmE0EEEaN2at4cuda3cub6detail10OpaqueTypeILi8EEEEENS1_37wrapped_merge_sort_block_merge_configINS0_14default_configEaSC_EEEEvv.num_agpr, 0
	.set _ZN7rocprim17ROCPRIM_304000_NS6detail39device_merge_sort_compile_time_verifierINS1_36wrapped_merge_sort_block_sort_configINS1_28merge_sort_block_sort_configILj256ELj4ELNS0_20block_sort_algorithmE0EEEaN2at4cuda3cub6detail10OpaqueTypeILi8EEEEENS1_37wrapped_merge_sort_block_merge_configINS0_14default_configEaSC_EEEEvv.numbered_sgpr, 0
	.set _ZN7rocprim17ROCPRIM_304000_NS6detail39device_merge_sort_compile_time_verifierINS1_36wrapped_merge_sort_block_sort_configINS1_28merge_sort_block_sort_configILj256ELj4ELNS0_20block_sort_algorithmE0EEEaN2at4cuda3cub6detail10OpaqueTypeILi8EEEEENS1_37wrapped_merge_sort_block_merge_configINS0_14default_configEaSC_EEEEvv.num_named_barrier, 0
	.set _ZN7rocprim17ROCPRIM_304000_NS6detail39device_merge_sort_compile_time_verifierINS1_36wrapped_merge_sort_block_sort_configINS1_28merge_sort_block_sort_configILj256ELj4ELNS0_20block_sort_algorithmE0EEEaN2at4cuda3cub6detail10OpaqueTypeILi8EEEEENS1_37wrapped_merge_sort_block_merge_configINS0_14default_configEaSC_EEEEvv.private_seg_size, 0
	.set _ZN7rocprim17ROCPRIM_304000_NS6detail39device_merge_sort_compile_time_verifierINS1_36wrapped_merge_sort_block_sort_configINS1_28merge_sort_block_sort_configILj256ELj4ELNS0_20block_sort_algorithmE0EEEaN2at4cuda3cub6detail10OpaqueTypeILi8EEEEENS1_37wrapped_merge_sort_block_merge_configINS0_14default_configEaSC_EEEEvv.uses_vcc, 0
	.set _ZN7rocprim17ROCPRIM_304000_NS6detail39device_merge_sort_compile_time_verifierINS1_36wrapped_merge_sort_block_sort_configINS1_28merge_sort_block_sort_configILj256ELj4ELNS0_20block_sort_algorithmE0EEEaN2at4cuda3cub6detail10OpaqueTypeILi8EEEEENS1_37wrapped_merge_sort_block_merge_configINS0_14default_configEaSC_EEEEvv.uses_flat_scratch, 0
	.set _ZN7rocprim17ROCPRIM_304000_NS6detail39device_merge_sort_compile_time_verifierINS1_36wrapped_merge_sort_block_sort_configINS1_28merge_sort_block_sort_configILj256ELj4ELNS0_20block_sort_algorithmE0EEEaN2at4cuda3cub6detail10OpaqueTypeILi8EEEEENS1_37wrapped_merge_sort_block_merge_configINS0_14default_configEaSC_EEEEvv.has_dyn_sized_stack, 0
	.set _ZN7rocprim17ROCPRIM_304000_NS6detail39device_merge_sort_compile_time_verifierINS1_36wrapped_merge_sort_block_sort_configINS1_28merge_sort_block_sort_configILj256ELj4ELNS0_20block_sort_algorithmE0EEEaN2at4cuda3cub6detail10OpaqueTypeILi8EEEEENS1_37wrapped_merge_sort_block_merge_configINS0_14default_configEaSC_EEEEvv.has_recursion, 0
	.set _ZN7rocprim17ROCPRIM_304000_NS6detail39device_merge_sort_compile_time_verifierINS1_36wrapped_merge_sort_block_sort_configINS1_28merge_sort_block_sort_configILj256ELj4ELNS0_20block_sort_algorithmE0EEEaN2at4cuda3cub6detail10OpaqueTypeILi8EEEEENS1_37wrapped_merge_sort_block_merge_configINS0_14default_configEaSC_EEEEvv.has_indirect_call, 0
	.section	.AMDGPU.csdata,"",@progbits
; Kernel info:
; codeLenInByte = 4
; TotalNumSgprs: 6
; NumVgprs: 0
; NumAgprs: 0
; TotalNumVgprs: 0
; ScratchSize: 0
; MemoryBound: 0
; FloatMode: 240
; IeeeMode: 1
; LDSByteSize: 0 bytes/workgroup (compile time only)
; SGPRBlocks: 0
; VGPRBlocks: 0
; NumSGPRsForWavesPerEU: 6
; NumVGPRsForWavesPerEU: 1
; AccumOffset: 4
; Occupancy: 8
; WaveLimiterHint : 0
; COMPUTE_PGM_RSRC2:SCRATCH_EN: 0
; COMPUTE_PGM_RSRC2:USER_SGPR: 0
; COMPUTE_PGM_RSRC2:TRAP_HANDLER: 0
; COMPUTE_PGM_RSRC2:TGID_X_EN: 1
; COMPUTE_PGM_RSRC2:TGID_Y_EN: 0
; COMPUTE_PGM_RSRC2:TGID_Z_EN: 0
; COMPUTE_PGM_RSRC2:TIDIG_COMP_CNT: 0
; COMPUTE_PGM_RSRC3_GFX90A:ACCUM_OFFSET: 0
; COMPUTE_PGM_RSRC3_GFX90A:TG_SPLIT: 0
	.section	.text._ZN7rocprim17ROCPRIM_304000_NS6detail45device_block_merge_mergepath_partition_kernelINS1_37wrapped_merge_sort_block_merge_configINS0_14default_configEaN2at4cuda3cub6detail10OpaqueTypeILi8EEEEEPajNS1_19radix_merge_compareILb1ELb0EaNS0_19identity_decomposerEEEEEvT0_T1_jPSH_T2_SH_,"axG",@progbits,_ZN7rocprim17ROCPRIM_304000_NS6detail45device_block_merge_mergepath_partition_kernelINS1_37wrapped_merge_sort_block_merge_configINS0_14default_configEaN2at4cuda3cub6detail10OpaqueTypeILi8EEEEEPajNS1_19radix_merge_compareILb1ELb0EaNS0_19identity_decomposerEEEEEvT0_T1_jPSH_T2_SH_,comdat
	.protected	_ZN7rocprim17ROCPRIM_304000_NS6detail45device_block_merge_mergepath_partition_kernelINS1_37wrapped_merge_sort_block_merge_configINS0_14default_configEaN2at4cuda3cub6detail10OpaqueTypeILi8EEEEEPajNS1_19radix_merge_compareILb1ELb0EaNS0_19identity_decomposerEEEEEvT0_T1_jPSH_T2_SH_ ; -- Begin function _ZN7rocprim17ROCPRIM_304000_NS6detail45device_block_merge_mergepath_partition_kernelINS1_37wrapped_merge_sort_block_merge_configINS0_14default_configEaN2at4cuda3cub6detail10OpaqueTypeILi8EEEEEPajNS1_19radix_merge_compareILb1ELb0EaNS0_19identity_decomposerEEEEEvT0_T1_jPSH_T2_SH_
	.globl	_ZN7rocprim17ROCPRIM_304000_NS6detail45device_block_merge_mergepath_partition_kernelINS1_37wrapped_merge_sort_block_merge_configINS0_14default_configEaN2at4cuda3cub6detail10OpaqueTypeILi8EEEEEPajNS1_19radix_merge_compareILb1ELb0EaNS0_19identity_decomposerEEEEEvT0_T1_jPSH_T2_SH_
	.p2align	8
	.type	_ZN7rocprim17ROCPRIM_304000_NS6detail45device_block_merge_mergepath_partition_kernelINS1_37wrapped_merge_sort_block_merge_configINS0_14default_configEaN2at4cuda3cub6detail10OpaqueTypeILi8EEEEEPajNS1_19radix_merge_compareILb1ELb0EaNS0_19identity_decomposerEEEEEvT0_T1_jPSH_T2_SH_,@function
_ZN7rocprim17ROCPRIM_304000_NS6detail45device_block_merge_mergepath_partition_kernelINS1_37wrapped_merge_sort_block_merge_configINS0_14default_configEaN2at4cuda3cub6detail10OpaqueTypeILi8EEEEEPajNS1_19radix_merge_compareILb1ELb0EaNS0_19identity_decomposerEEEEEvT0_T1_jPSH_T2_SH_: ; @_ZN7rocprim17ROCPRIM_304000_NS6detail45device_block_merge_mergepath_partition_kernelINS1_37wrapped_merge_sort_block_merge_configINS0_14default_configEaN2at4cuda3cub6detail10OpaqueTypeILi8EEEEEPajNS1_19radix_merge_compareILb1ELb0EaNS0_19identity_decomposerEEEEEvT0_T1_jPSH_T2_SH_
; %bb.0:
	s_load_dwordx2 s[4:5], s[0:1], 0x8
	v_lshl_or_b32 v0, s2, 7, v0
	s_waitcnt lgkmcnt(0)
	v_cmp_gt_u32_e32 vcc, s5, v0
	s_and_saveexec_b64 s[2:3], vcc
	s_cbranch_execz .LBB28_6
; %bb.1:
	s_load_dword s2, s[0:1], 0x1c
	s_waitcnt lgkmcnt(0)
	s_lshr_b32 s3, s2, 9
	s_and_b32 s3, s3, 0x7ffffe
	s_add_i32 s5, s3, -1
	s_sub_i32 s3, 0, s3
	v_and_b32_e32 v1, s3, v0
	v_and_b32_e32 v2, s5, v0
	v_lshlrev_b32_e32 v1, 10, v1
	v_lshlrev_b32_e32 v3, 10, v2
	v_min_u32_e32 v2, s4, v1
	v_add_u32_e32 v1, s2, v1
	v_min_u32_e32 v4, s4, v1
	v_add_u32_e32 v1, s2, v4
	v_min_u32_e32 v1, s4, v1
	v_sub_u32_e32 v5, v1, v2
	v_min_u32_e32 v10, v5, v3
	v_sub_u32_e32 v3, v4, v2
	v_sub_u32_e32 v1, v1, v4
	v_sub_u32_e64 v1, v10, v1 clamp
	v_min_u32_e32 v11, v10, v3
	v_cmp_lt_u32_e32 vcc, v1, v11
	s_and_saveexec_b64 s[2:3], vcc
	s_cbranch_execz .LBB28_5
; %bb.2:
	s_load_dwordx2 s[4:5], s[0:1], 0x0
	v_mov_b32_e32 v5, 0
	v_mov_b32_e32 v3, v5
	s_waitcnt lgkmcnt(0)
	v_lshl_add_u64 v[6:7], s[4:5], 0, v[2:3]
	v_lshl_add_u64 v[8:9], s[4:5], 0, v[4:5]
	s_mov_b64 s[4:5], 0
.LBB28_3:                               ; =>This Inner Loop Header: Depth=1
	v_add_u32_e32 v3, v11, v1
	v_lshrrev_b32_e32 v4, 1, v3
	v_mov_b32_e32 v13, v5
	v_xad_u32 v12, v4, -1, v10
	v_lshl_add_u64 v[14:15], v[6:7], 0, v[4:5]
	v_lshl_add_u64 v[12:13], v[8:9], 0, v[12:13]
	global_load_sbyte v3, v[14:15], off
	global_load_sbyte v16, v[12:13], off
	v_add_u32_e32 v12, 1, v4
	s_waitcnt vmcnt(0)
	v_cmp_gt_i16_e32 vcc, v16, v3
	s_nop 1
	v_cndmask_b32_e32 v11, v11, v4, vcc
	v_cndmask_b32_e32 v1, v12, v1, vcc
	v_cmp_ge_u32_e32 vcc, v1, v11
	s_or_b64 s[4:5], vcc, s[4:5]
	s_andn2_b64 exec, exec, s[4:5]
	s_cbranch_execnz .LBB28_3
; %bb.4:
	s_or_b64 exec, exec, s[4:5]
.LBB28_5:
	s_or_b64 exec, exec, s[2:3]
	s_load_dwordx2 s[0:1], s[0:1], 0x10
	v_add_u32_e32 v2, v1, v2
	v_mov_b32_e32 v1, 0
	s_waitcnt lgkmcnt(0)
	v_lshl_add_u64 v[0:1], v[0:1], 2, s[0:1]
	global_store_dword v[0:1], v2, off
.LBB28_6:
	s_endpgm
	.section	.rodata,"a",@progbits
	.p2align	6, 0x0
	.amdhsa_kernel _ZN7rocprim17ROCPRIM_304000_NS6detail45device_block_merge_mergepath_partition_kernelINS1_37wrapped_merge_sort_block_merge_configINS0_14default_configEaN2at4cuda3cub6detail10OpaqueTypeILi8EEEEEPajNS1_19radix_merge_compareILb1ELb0EaNS0_19identity_decomposerEEEEEvT0_T1_jPSH_T2_SH_
		.amdhsa_group_segment_fixed_size 0
		.amdhsa_private_segment_fixed_size 0
		.amdhsa_kernarg_size 32
		.amdhsa_user_sgpr_count 2
		.amdhsa_user_sgpr_dispatch_ptr 0
		.amdhsa_user_sgpr_queue_ptr 0
		.amdhsa_user_sgpr_kernarg_segment_ptr 1
		.amdhsa_user_sgpr_dispatch_id 0
		.amdhsa_user_sgpr_kernarg_preload_length 0
		.amdhsa_user_sgpr_kernarg_preload_offset 0
		.amdhsa_user_sgpr_private_segment_size 0
		.amdhsa_uses_dynamic_stack 0
		.amdhsa_enable_private_segment 0
		.amdhsa_system_sgpr_workgroup_id_x 1
		.amdhsa_system_sgpr_workgroup_id_y 0
		.amdhsa_system_sgpr_workgroup_id_z 0
		.amdhsa_system_sgpr_workgroup_info 0
		.amdhsa_system_vgpr_workitem_id 0
		.amdhsa_next_free_vgpr 17
		.amdhsa_next_free_sgpr 6
		.amdhsa_accum_offset 20
		.amdhsa_reserve_vcc 1
		.amdhsa_float_round_mode_32 0
		.amdhsa_float_round_mode_16_64 0
		.amdhsa_float_denorm_mode_32 3
		.amdhsa_float_denorm_mode_16_64 3
		.amdhsa_dx10_clamp 1
		.amdhsa_ieee_mode 1
		.amdhsa_fp16_overflow 0
		.amdhsa_tg_split 0
		.amdhsa_exception_fp_ieee_invalid_op 0
		.amdhsa_exception_fp_denorm_src 0
		.amdhsa_exception_fp_ieee_div_zero 0
		.amdhsa_exception_fp_ieee_overflow 0
		.amdhsa_exception_fp_ieee_underflow 0
		.amdhsa_exception_fp_ieee_inexact 0
		.amdhsa_exception_int_div_zero 0
	.end_amdhsa_kernel
	.section	.text._ZN7rocprim17ROCPRIM_304000_NS6detail45device_block_merge_mergepath_partition_kernelINS1_37wrapped_merge_sort_block_merge_configINS0_14default_configEaN2at4cuda3cub6detail10OpaqueTypeILi8EEEEEPajNS1_19radix_merge_compareILb1ELb0EaNS0_19identity_decomposerEEEEEvT0_T1_jPSH_T2_SH_,"axG",@progbits,_ZN7rocprim17ROCPRIM_304000_NS6detail45device_block_merge_mergepath_partition_kernelINS1_37wrapped_merge_sort_block_merge_configINS0_14default_configEaN2at4cuda3cub6detail10OpaqueTypeILi8EEEEEPajNS1_19radix_merge_compareILb1ELb0EaNS0_19identity_decomposerEEEEEvT0_T1_jPSH_T2_SH_,comdat
.Lfunc_end28:
	.size	_ZN7rocprim17ROCPRIM_304000_NS6detail45device_block_merge_mergepath_partition_kernelINS1_37wrapped_merge_sort_block_merge_configINS0_14default_configEaN2at4cuda3cub6detail10OpaqueTypeILi8EEEEEPajNS1_19radix_merge_compareILb1ELb0EaNS0_19identity_decomposerEEEEEvT0_T1_jPSH_T2_SH_, .Lfunc_end28-_ZN7rocprim17ROCPRIM_304000_NS6detail45device_block_merge_mergepath_partition_kernelINS1_37wrapped_merge_sort_block_merge_configINS0_14default_configEaN2at4cuda3cub6detail10OpaqueTypeILi8EEEEEPajNS1_19radix_merge_compareILb1ELb0EaNS0_19identity_decomposerEEEEEvT0_T1_jPSH_T2_SH_
                                        ; -- End function
	.set _ZN7rocprim17ROCPRIM_304000_NS6detail45device_block_merge_mergepath_partition_kernelINS1_37wrapped_merge_sort_block_merge_configINS0_14default_configEaN2at4cuda3cub6detail10OpaqueTypeILi8EEEEEPajNS1_19radix_merge_compareILb1ELb0EaNS0_19identity_decomposerEEEEEvT0_T1_jPSH_T2_SH_.num_vgpr, 17
	.set _ZN7rocprim17ROCPRIM_304000_NS6detail45device_block_merge_mergepath_partition_kernelINS1_37wrapped_merge_sort_block_merge_configINS0_14default_configEaN2at4cuda3cub6detail10OpaqueTypeILi8EEEEEPajNS1_19radix_merge_compareILb1ELb0EaNS0_19identity_decomposerEEEEEvT0_T1_jPSH_T2_SH_.num_agpr, 0
	.set _ZN7rocprim17ROCPRIM_304000_NS6detail45device_block_merge_mergepath_partition_kernelINS1_37wrapped_merge_sort_block_merge_configINS0_14default_configEaN2at4cuda3cub6detail10OpaqueTypeILi8EEEEEPajNS1_19radix_merge_compareILb1ELb0EaNS0_19identity_decomposerEEEEEvT0_T1_jPSH_T2_SH_.numbered_sgpr, 6
	.set _ZN7rocprim17ROCPRIM_304000_NS6detail45device_block_merge_mergepath_partition_kernelINS1_37wrapped_merge_sort_block_merge_configINS0_14default_configEaN2at4cuda3cub6detail10OpaqueTypeILi8EEEEEPajNS1_19radix_merge_compareILb1ELb0EaNS0_19identity_decomposerEEEEEvT0_T1_jPSH_T2_SH_.num_named_barrier, 0
	.set _ZN7rocprim17ROCPRIM_304000_NS6detail45device_block_merge_mergepath_partition_kernelINS1_37wrapped_merge_sort_block_merge_configINS0_14default_configEaN2at4cuda3cub6detail10OpaqueTypeILi8EEEEEPajNS1_19radix_merge_compareILb1ELb0EaNS0_19identity_decomposerEEEEEvT0_T1_jPSH_T2_SH_.private_seg_size, 0
	.set _ZN7rocprim17ROCPRIM_304000_NS6detail45device_block_merge_mergepath_partition_kernelINS1_37wrapped_merge_sort_block_merge_configINS0_14default_configEaN2at4cuda3cub6detail10OpaqueTypeILi8EEEEEPajNS1_19radix_merge_compareILb1ELb0EaNS0_19identity_decomposerEEEEEvT0_T1_jPSH_T2_SH_.uses_vcc, 1
	.set _ZN7rocprim17ROCPRIM_304000_NS6detail45device_block_merge_mergepath_partition_kernelINS1_37wrapped_merge_sort_block_merge_configINS0_14default_configEaN2at4cuda3cub6detail10OpaqueTypeILi8EEEEEPajNS1_19radix_merge_compareILb1ELb0EaNS0_19identity_decomposerEEEEEvT0_T1_jPSH_T2_SH_.uses_flat_scratch, 0
	.set _ZN7rocprim17ROCPRIM_304000_NS6detail45device_block_merge_mergepath_partition_kernelINS1_37wrapped_merge_sort_block_merge_configINS0_14default_configEaN2at4cuda3cub6detail10OpaqueTypeILi8EEEEEPajNS1_19radix_merge_compareILb1ELb0EaNS0_19identity_decomposerEEEEEvT0_T1_jPSH_T2_SH_.has_dyn_sized_stack, 0
	.set _ZN7rocprim17ROCPRIM_304000_NS6detail45device_block_merge_mergepath_partition_kernelINS1_37wrapped_merge_sort_block_merge_configINS0_14default_configEaN2at4cuda3cub6detail10OpaqueTypeILi8EEEEEPajNS1_19radix_merge_compareILb1ELb0EaNS0_19identity_decomposerEEEEEvT0_T1_jPSH_T2_SH_.has_recursion, 0
	.set _ZN7rocprim17ROCPRIM_304000_NS6detail45device_block_merge_mergepath_partition_kernelINS1_37wrapped_merge_sort_block_merge_configINS0_14default_configEaN2at4cuda3cub6detail10OpaqueTypeILi8EEEEEPajNS1_19radix_merge_compareILb1ELb0EaNS0_19identity_decomposerEEEEEvT0_T1_jPSH_T2_SH_.has_indirect_call, 0
	.section	.AMDGPU.csdata,"",@progbits
; Kernel info:
; codeLenInByte = 320
; TotalNumSgprs: 12
; NumVgprs: 17
; NumAgprs: 0
; TotalNumVgprs: 17
; ScratchSize: 0
; MemoryBound: 0
; FloatMode: 240
; IeeeMode: 1
; LDSByteSize: 0 bytes/workgroup (compile time only)
; SGPRBlocks: 1
; VGPRBlocks: 2
; NumSGPRsForWavesPerEU: 12
; NumVGPRsForWavesPerEU: 17
; AccumOffset: 20
; Occupancy: 8
; WaveLimiterHint : 0
; COMPUTE_PGM_RSRC2:SCRATCH_EN: 0
; COMPUTE_PGM_RSRC2:USER_SGPR: 2
; COMPUTE_PGM_RSRC2:TRAP_HANDLER: 0
; COMPUTE_PGM_RSRC2:TGID_X_EN: 1
; COMPUTE_PGM_RSRC2:TGID_Y_EN: 0
; COMPUTE_PGM_RSRC2:TGID_Z_EN: 0
; COMPUTE_PGM_RSRC2:TIDIG_COMP_CNT: 0
; COMPUTE_PGM_RSRC3_GFX90A:ACCUM_OFFSET: 4
; COMPUTE_PGM_RSRC3_GFX90A:TG_SPLIT: 0
	.section	.text._ZN7rocprim17ROCPRIM_304000_NS6detail35device_block_merge_mergepath_kernelINS1_37wrapped_merge_sort_block_merge_configINS0_14default_configEaN2at4cuda3cub6detail10OpaqueTypeILi8EEEEEPaSC_PSA_SD_jNS1_19radix_merge_compareILb1ELb0EaNS0_19identity_decomposerEEEEEvT0_T1_T2_T3_T4_SL_jT5_PKSL_NS1_7vsmem_tE,"axG",@progbits,_ZN7rocprim17ROCPRIM_304000_NS6detail35device_block_merge_mergepath_kernelINS1_37wrapped_merge_sort_block_merge_configINS0_14default_configEaN2at4cuda3cub6detail10OpaqueTypeILi8EEEEEPaSC_PSA_SD_jNS1_19radix_merge_compareILb1ELb0EaNS0_19identity_decomposerEEEEEvT0_T1_T2_T3_T4_SL_jT5_PKSL_NS1_7vsmem_tE,comdat
	.protected	_ZN7rocprim17ROCPRIM_304000_NS6detail35device_block_merge_mergepath_kernelINS1_37wrapped_merge_sort_block_merge_configINS0_14default_configEaN2at4cuda3cub6detail10OpaqueTypeILi8EEEEEPaSC_PSA_SD_jNS1_19radix_merge_compareILb1ELb0EaNS0_19identity_decomposerEEEEEvT0_T1_T2_T3_T4_SL_jT5_PKSL_NS1_7vsmem_tE ; -- Begin function _ZN7rocprim17ROCPRIM_304000_NS6detail35device_block_merge_mergepath_kernelINS1_37wrapped_merge_sort_block_merge_configINS0_14default_configEaN2at4cuda3cub6detail10OpaqueTypeILi8EEEEEPaSC_PSA_SD_jNS1_19radix_merge_compareILb1ELb0EaNS0_19identity_decomposerEEEEEvT0_T1_T2_T3_T4_SL_jT5_PKSL_NS1_7vsmem_tE
	.globl	_ZN7rocprim17ROCPRIM_304000_NS6detail35device_block_merge_mergepath_kernelINS1_37wrapped_merge_sort_block_merge_configINS0_14default_configEaN2at4cuda3cub6detail10OpaqueTypeILi8EEEEEPaSC_PSA_SD_jNS1_19radix_merge_compareILb1ELb0EaNS0_19identity_decomposerEEEEEvT0_T1_T2_T3_T4_SL_jT5_PKSL_NS1_7vsmem_tE
	.p2align	8
	.type	_ZN7rocprim17ROCPRIM_304000_NS6detail35device_block_merge_mergepath_kernelINS1_37wrapped_merge_sort_block_merge_configINS0_14default_configEaN2at4cuda3cub6detail10OpaqueTypeILi8EEEEEPaSC_PSA_SD_jNS1_19radix_merge_compareILb1ELb0EaNS0_19identity_decomposerEEEEEvT0_T1_T2_T3_T4_SL_jT5_PKSL_NS1_7vsmem_tE,@function
_ZN7rocprim17ROCPRIM_304000_NS6detail35device_block_merge_mergepath_kernelINS1_37wrapped_merge_sort_block_merge_configINS0_14default_configEaN2at4cuda3cub6detail10OpaqueTypeILi8EEEEEPaSC_PSA_SD_jNS1_19radix_merge_compareILb1ELb0EaNS0_19identity_decomposerEEEEEvT0_T1_T2_T3_T4_SL_jT5_PKSL_NS1_7vsmem_tE: ; @_ZN7rocprim17ROCPRIM_304000_NS6detail35device_block_merge_mergepath_kernelINS1_37wrapped_merge_sort_block_merge_configINS0_14default_configEaN2at4cuda3cub6detail10OpaqueTypeILi8EEEEEPaSC_PSA_SD_jNS1_19radix_merge_compareILb1ELb0EaNS0_19identity_decomposerEEEEEvT0_T1_T2_T3_T4_SL_jT5_PKSL_NS1_7vsmem_tE
; %bb.0:
	s_load_dwordx2 s[24:25], s[0:1], 0x40
	s_load_dwordx4 s[12:15], s[0:1], 0x20
	s_add_u32 s22, s0, 64
	s_addc_u32 s23, s1, 0
	s_waitcnt lgkmcnt(0)
	s_mul_i32 s4, s25, s4
	s_add_i32 s3, s4, s3
	s_mul_i32 s3, s3, s24
	s_add_i32 s20, s3, s2
	s_cmp_ge_u32 s20, s14
	s_cbranch_scc1 .LBB29_51
; %bb.1:
	s_load_dwordx8 s[4:11], s[0:1], 0x0
	s_load_dwordx2 s[16:17], s[0:1], 0x30
	s_lshr_b32 s27, s12, 10
	s_cmp_lg_u32 s20, s27
	s_mov_b32 s21, 0
	s_cselect_b64 s[14:15], -1, 0
	s_lshl_b64 s[0:1], s[20:21], 2
	s_waitcnt lgkmcnt(0)
	s_add_u32 s0, s16, s0
	s_addc_u32 s1, s17, s1
	s_load_dwordx2 s[16:17], s[0:1], 0x0
	s_lshr_b32 s0, s13, 9
	s_and_b32 s0, s0, 0x7ffffe
	s_sub_i32 s0, 0, s0
	s_and_b32 s1, s20, s0
	s_lshl_b32 s3, s1, 10
	s_lshl_b32 s25, s20, 10
	s_lshl_b32 s1, s1, 11
	s_sub_i32 s18, s25, s3
	s_add_i32 s1, s1, s13
	s_add_i32 s19, s1, s18
	s_waitcnt lgkmcnt(0)
	s_sub_i32 s18, s19, s16
	s_sub_i32 s19, s19, s17
	;; [unrolled: 1-line block ×3, first 2 shown]
	s_min_u32 s18, s12, s18
	s_addk_i32 s19, 0x400
	s_or_b32 s0, s20, s0
	s_min_u32 s3, s12, s1
	s_add_i32 s1, s1, s13
	s_cmp_eq_u32 s0, -1
	s_cselect_b32 s0, s1, s19
	s_cselect_b32 s1, s3, s17
	s_min_u32 s0, s0, s12
	s_sub_i32 s13, s1, s16
	s_sub_i32 s26, s0, s18
	s_add_u32 s0, s4, s16
	s_addc_u32 s1, s5, 0
	s_add_u32 s4, s4, s18
	s_addc_u32 s5, s5, 0
	s_cmp_lt_u32 s2, s24
	v_mov_b32_e32 v1, 0
	s_cselect_b32 s2, 12, 18
	global_load_dword v2, v1, s[22:23] offset:14
	s_add_u32 s2, s22, s2
	s_addc_u32 s3, s23, 0
	global_load_ushort v3, v1, s[2:3]
	s_mov_b32 s17, s21
	s_mov_b32 s19, s21
	s_cmp_eq_u32 s20, s27
	s_waitcnt vmcnt(1)
	v_lshrrev_b32_e32 v4, 16, v2
	v_and_b32_e32 v2, 0xffff, v2
	v_mul_lo_u32 v2, v2, v4
	s_waitcnt vmcnt(0)
	v_mul_lo_u32 v2, v2, v3
	v_add_u32_e32 v2, v2, v0
	s_cbranch_scc1 .LBB29_3
; %bb.2:
	v_subrev_co_u32_e32 v6, vcc, s13, v0
	v_mov_b32_e32 v7, v1
	v_lshl_add_u64 v[4:5], s[0:1], 0, v[0:1]
	v_lshl_add_u64 v[6:7], s[4:5], 0, v[6:7]
	v_cndmask_b32_e32 v5, v7, v5, vcc
	v_cndmask_b32_e32 v4, v6, v4, vcc
	v_mov_b32_e32 v3, v1
	v_subrev_co_u32_e32 v8, vcc, s13, v2
	v_mov_b32_e32 v9, v1
	v_lshl_add_u64 v[6:7], s[0:1], 0, v[2:3]
	v_lshl_add_u64 v[8:9], s[4:5], 0, v[8:9]
	v_cndmask_b32_e32 v7, v9, v7, vcc
	v_cndmask_b32_e32 v6, v8, v6, vcc
	global_load_ubyte v1, v[4:5], off
	global_load_ubyte v3, v[6:7], off
	s_mov_b32 s20, 0xc0c0004
	s_add_i32 s21, s26, s13
	v_mov_b32_e32 v8, s21
	s_waitcnt vmcnt(0)
	v_perm_b32 v6, v1, v3, s20
	s_cbranch_execz .LBB29_4
	s_branch .LBB29_9
.LBB29_3:
                                        ; implicit-def: $vgpr6
                                        ; implicit-def: $vgpr8
.LBB29_4:
	s_add_i32 s20, s26, s13
	v_cmp_gt_u32_e32 vcc, s20, v0
	v_mov_b32_e32 v6, 0
	s_and_saveexec_b64 s[2:3], vcc
	s_cbranch_execz .LBB29_6
; %bb.5:
	v_mov_b32_e32 v1, 0
	v_subrev_co_u32_e32 v6, vcc, s13, v0
	v_mov_b32_e32 v7, v1
	v_lshl_add_u64 v[4:5], s[0:1], 0, v[0:1]
	v_lshl_add_u64 v[6:7], s[4:5], 0, v[6:7]
	v_cndmask_b32_e32 v5, v7, v5, vcc
	v_cndmask_b32_e32 v4, v6, v4, vcc
	global_load_ubyte v6, v[4:5], off
.LBB29_6:
	s_or_b64 exec, exec, s[2:3]
	v_cmp_gt_u32_e32 vcc, s20, v2
	s_and_saveexec_b64 s[2:3], vcc
	s_cbranch_execz .LBB29_8
; %bb.7:
	v_mov_b32_e32 v3, 0
	v_lshl_add_u64 v[4:5], s[0:1], 0, v[2:3]
	v_subrev_co_u32_e32 v2, vcc, s13, v2
	v_lshl_add_u64 v[2:3], s[4:5], 0, v[2:3]
	s_nop 0
	v_cndmask_b32_e32 v3, v3, v5, vcc
	v_cndmask_b32_e32 v2, v2, v4, vcc
	global_load_ubyte v1, v[2:3], off
	s_waitcnt vmcnt(0)
	v_lshlrev_b16_e32 v1, 8, v1
	v_or_b32_e32 v1, v6, v1
	v_and_b32_e32 v6, 0xffff, v1
.LBB29_8:
	s_or_b64 exec, exec, s[2:3]
	v_mov_b32_e32 v8, s20
.LBB29_9:
	v_lshlrev_b32_e32 v7, 1, v0
	s_waitcnt vmcnt(0)
	v_lshrrev_b16_e32 v1, 8, v6
	v_min_u32_e32 v2, v8, v7
	ds_write_b8 v0, v1 offset:512
	v_sub_u32_e64 v1, v2, s26 clamp
	v_min_u32_e32 v3, s13, v2
	v_cmp_lt_u32_e32 vcc, v1, v3
	ds_write_b8 v0, v6
	s_waitcnt lgkmcnt(0)
	s_barrier
	s_and_saveexec_b64 s[0:1], vcc
	s_cbranch_execz .LBB29_13
; %bb.10:
	v_add_u32_e32 v4, s13, v2
	s_mov_b64 s[2:3], 0
.LBB29_11:                              ; =>This Inner Loop Header: Depth=1
	v_add_u32_e32 v5, v3, v1
	v_lshrrev_b32_e32 v5, 1, v5
	v_xad_u32 v9, v5, -1, v4
	ds_read_i8 v10, v5
	ds_read_i8 v9, v9
	v_add_u32_e32 v11, 1, v5
	s_waitcnt lgkmcnt(0)
	v_cmp_gt_i16_e32 vcc, v9, v10
	s_nop 1
	v_cndmask_b32_e32 v3, v3, v5, vcc
	v_cndmask_b32_e32 v1, v11, v1, vcc
	v_cmp_ge_u32_e32 vcc, v1, v3
	s_or_b64 s[2:3], vcc, s[2:3]
	s_andn2_b64 exec, exec, s[2:3]
	s_cbranch_execnz .LBB29_11
; %bb.12:
	s_or_b64 exec, exec, s[2:3]
.LBB29_13:
	s_or_b64 exec, exec, s[0:1]
	v_sub_u32_e32 v2, v2, v1
	v_add_u32_e32 v2, s13, v2
	v_cmp_ge_u32_e32 vcc, s13, v1
	v_cmp_le_u32_e64 s[0:1], v2, v8
	s_or_b64 s[0:1], vcc, s[0:1]
	v_mov_b32_e32 v9, 0
	v_mov_b32_e32 v10, 0
	s_and_saveexec_b64 s[4:5], s[0:1]
	s_cbranch_execz .LBB29_19
; %bb.14:
	v_cmp_gt_u32_e32 vcc, s13, v1
                                        ; implicit-def: $vgpr3
	s_and_saveexec_b64 s[0:1], vcc
; %bb.15:
	ds_read_u8 v3, v1
; %bb.16:
	s_or_b64 exec, exec, s[0:1]
	v_cmp_ge_u32_e64 s[0:1], v2, v8
	v_cmp_lt_u32_e64 s[2:3], v2, v8
                                        ; implicit-def: $vgpr4
	s_and_saveexec_b64 s[20:21], s[2:3]
; %bb.17:
	ds_read_u8 v4, v2
; %bb.18:
	s_or_b64 exec, exec, s[20:21]
	s_waitcnt lgkmcnt(0)
	v_cmp_le_i16_sdwa s[2:3], sext(v4), sext(v3) src0_sel:BYTE_0 src1_sel:BYTE_0
	s_and_b64 s[2:3], vcc, s[2:3]
	s_or_b64 vcc, s[0:1], s[2:3]
	v_mov_b32_e32 v5, s13
	v_cndmask_b32_e32 v10, v2, v1, vcc
	v_cndmask_b32_e32 v5, v8, v5, vcc
	v_add_u32_e32 v6, 1, v10
	v_add_u32_e32 v5, -1, v5
	v_min_u32_e32 v5, v6, v5
	ds_read_u8 v5, v5
	v_cndmask_b32_e32 v11, v4, v3, vcc
	v_cndmask_b32_e32 v1, v1, v6, vcc
	;; [unrolled: 1-line block ×3, first 2 shown]
	v_cmp_gt_u32_e64 s[0:1], s13, v1
	s_waitcnt lgkmcnt(0)
	v_cndmask_b32_e32 v4, v5, v4, vcc
	v_cndmask_b32_e32 v3, v3, v5, vcc
	v_cmp_le_i16_sdwa s[2:3], sext(v4), sext(v3) src0_sel:BYTE_0 src1_sel:BYTE_0
	v_cmp_ge_u32_e32 vcc, v2, v8
	s_and_b64 s[0:1], s[0:1], s[2:3]
	s_or_b64 vcc, vcc, s[0:1]
	v_cndmask_b32_e32 v9, v2, v1, vcc
	v_cndmask_b32_sdwa v1, v4, v3, vcc dst_sel:BYTE_1 dst_unused:UNUSED_PAD src0_sel:DWORD src1_sel:DWORD
	s_movk_i32 s0, 0xff
	v_bitop3_b16 v1, v11, v1, s0 bitop3:0xec
	v_and_b32_e32 v6, 0xffff, v1
.LBB29_19:
	s_or_b64 exec, exec, s[4:5]
	s_lshl_b64 s[0:1], s[16:17], 3
	s_add_u32 s16, s8, s0
	s_addc_u32 s17, s9, s1
	s_lshl_b64 s[0:1], s[18:19], 3
	s_add_u32 s8, s8, s0
	v_cndmask_b32_e64 v2, 0, 1, s[14:15]
	v_mov_b32_e32 v1, 0
	s_addc_u32 s9, s9, s1
	v_cmp_gt_u32_e64 s[4:5], s13, v0
	v_cmp_ne_u32_e64 s[0:1], 1, v2
	s_andn2_b64 vcc, exec, s[14:15]
	v_cmp_le_u32_e64 s[2:3], s13, v0
	s_barrier
	s_cbranch_vccnz .LBB29_21
; %bb.20:
	v_subrev_u32_e32 v4, s13, v0
	v_lshlrev_b32_e32 v2, 3, v0
	v_mov_b32_e32 v3, v1
	v_lshlrev_b32_e32 v4, 3, v4
	v_mov_b32_e32 v5, v1
	v_lshl_add_u64 v[2:3], s[16:17], 0, v[2:3]
	v_lshl_add_u64 v[4:5], s[8:9], 0, v[4:5]
	v_cndmask_b32_e64 v3, v5, v3, s[4:5]
	v_cndmask_b32_e64 v2, v4, v2, s[4:5]
	global_load_dwordx2 v[12:13], v[2:3], off
	v_or_b32_e32 v11, 0x200, v0
	v_mov_b32_e32 v2, s9
	v_mov_b32_e32 v3, s17
	;; [unrolled: 1-line block ×4, first 2 shown]
	v_subrev_u32_e32 v4, s13, v11
	v_cmp_gt_u32_e32 vcc, s13, v11
	v_mad_u32_u24 v5, v0, 7, v0
	s_nop 0
	v_cndmask_b32_e32 v3, v2, v3, vcc
	v_min_u32_e32 v4, v11, v4
	v_cndmask_b32_e32 v2, v14, v15, vcc
	s_mov_b64 s[4:5], -1
	s_waitcnt vmcnt(0)
	ds_write_b64 v5, v[12:13]
	s_cbranch_execz .LBB29_22
	s_branch .LBB29_31
.LBB29_21:
	s_mov_b64 s[4:5], 0
                                        ; implicit-def: $vgpr11
                                        ; implicit-def: $vgpr2_vgpr3
                                        ; implicit-def: $vgpr4
.LBB29_22:
	s_and_saveexec_b64 s[4:5], s[2:3]
	s_xor_b64 s[2:3], exec, s[4:5]
	s_cbranch_execz .LBB29_26
; %bb.23:
	v_subrev_u32_e32 v2, s13, v0
	v_cmp_gt_u32_e32 vcc, s26, v2
	s_and_saveexec_b64 s[4:5], vcc
	s_cbranch_execz .LBB29_25
; %bb.24:
	v_lshlrev_b32_e32 v2, 3, v2
	global_load_dwordx2 v[2:3], v2, s[8:9]
	v_mad_u32_u24 v4, v0, 7, v0
	s_waitcnt vmcnt(0)
	ds_write_b64 v4, v[2:3]
.LBB29_25:
	s_or_b64 exec, exec, s[4:5]
.LBB29_26:
	s_andn2_saveexec_b64 s[2:3], s[2:3]
	s_cbranch_execz .LBB29_28
; %bb.27:
	v_lshlrev_b32_e32 v2, 3, v0
	global_load_dwordx2 v[2:3], v2, s[16:17]
	v_mad_u32_u24 v4, v0, 7, v0
	s_waitcnt vmcnt(0)
	ds_write_b64 v4, v[2:3]
.LBB29_28:
	s_or_b64 exec, exec, s[2:3]
	v_or_b32_e32 v11, 0x200, v0
	v_cmp_le_u32_e32 vcc, s13, v11
	s_mov_b64 s[4:5], -1
	v_mov_b64_e32 v[2:3], s[16:17]
	v_mov_b32_e32 v4, v11
	s_and_saveexec_b64 s[2:3], vcc
; %bb.29:
	v_subrev_u32_e32 v4, s13, v11
	v_cmp_gt_u32_e32 vcc, s26, v4
	v_mov_b64_e32 v[2:3], s[8:9]
	s_orn2_b64 s[4:5], vcc, exec
; %bb.30:
	s_or_b64 exec, exec, s[2:3]
.LBB29_31:
	s_and_saveexec_b64 s[2:3], s[4:5]
	s_cbranch_execz .LBB29_33
; %bb.32:
	v_mov_b32_e32 v5, 0
	v_lshl_add_u64 v[2:3], v[4:5], 3, v[2:3]
	global_load_dwordx2 v[2:3], v[2:3], off
	v_lshlrev_b32_e32 v4, 3, v11
	s_waitcnt vmcnt(0)
	ds_write_b64 v4, v[2:3]
.LBB29_33:
	s_or_b64 exec, exec, s[2:3]
	s_and_b64 vcc, exec, s[0:1]
	v_add_u32_e32 v2, s25, v7
	s_waitcnt lgkmcnt(0)
	s_barrier
	s_cbranch_vccnz .LBB29_35
; %bb.34:
	v_lshlrev_b32_e32 v3, 3, v10
	ds_read_b64 v[4:5], v3
	v_mov_b32_e32 v3, 0
	v_lshl_add_u64 v[12:13], v[2:3], 3, s[10:11]
	s_mov_b64 s[0:1], -1
	s_waitcnt lgkmcnt(0)
	global_store_dwordx2 v[12:13], v[4:5], off
	s_cbranch_execz .LBB29_36
	s_branch .LBB29_41
.LBB29_35:
	s_mov_b64 s[0:1], 0
.LBB29_36:
	v_cmp_lt_u32_e32 vcc, v7, v8
	s_and_saveexec_b64 s[2:3], vcc
	s_cbranch_execz .LBB29_38
; %bb.37:
	v_lshlrev_b32_e32 v3, 3, v10
	ds_read_b64 v[4:5], v3
	v_mov_b32_e32 v3, 0
	v_lshl_add_u64 v[10:11], v[2:3], 3, s[10:11]
	s_waitcnt lgkmcnt(0)
	global_store_dwordx2 v[10:11], v[4:5], off
.LBB29_38:
	s_or_b64 exec, exec, s[2:3]
	v_or_b32_e32 v3, 1, v7
	v_cmp_lt_u32_e32 vcc, v3, v8
	s_and_saveexec_b64 s[2:3], vcc
; %bb.39:
	v_mov_b32_e32 v3, 0
	s_or_b64 s[0:1], s[0:1], exec
; %bb.40:
	s_or_b64 exec, exec, s[2:3]
.LBB29_41:
	s_and_saveexec_b64 s[2:3], s[0:1]
	s_cbranch_execz .LBB29_43
; %bb.42:
	v_lshlrev_b32_e32 v4, 3, v9
	ds_read_b64 v[4:5], v4
	v_lshl_add_u64 v[2:3], v[2:3], 3, s[10:11]
	s_waitcnt lgkmcnt(0)
	global_store_dwordx2 v[2:3], v[4:5], off offset:8
.LBB29_43:
	s_or_b64 exec, exec, s[2:3]
	v_lshrrev_b32_e32 v2, 4, v0
	v_and_b32_e32 v2, 28, v2
	v_add_u32_e32 v2, v2, v7
	s_barrier
	s_barrier
	ds_write_b16 v2, v6
	v_lshrrev_b32_e32 v2, 5, v0
	v_or_b32_e32 v4, 0x200, v0
	s_add_u32 s0, s6, s25
	v_and_b32_e32 v5, 12, v2
	v_lshrrev_b32_e32 v2, 5, v4
	s_addc_u32 s1, s7, 0
	v_and_b32_e32 v6, 28, v2
	v_lshl_add_u64 v[2:3], s[0:1], 0, v[0:1]
	s_and_b64 vcc, exec, s[14:15]
	v_add_u32_e32 v6, v6, v0
	s_waitcnt lgkmcnt(0)
	s_cbranch_vccz .LBB29_45
; %bb.44:
	v_add_u32_e32 v1, v5, v0
	s_barrier
	ds_read_u8 v7, v1
	ds_read_u8 v1, v6 offset:512
	s_mov_b64 s[0:1], -1
	s_waitcnt lgkmcnt(1)
	global_store_byte v[2:3], v7, off
	s_cbranch_execz .LBB29_46
	s_branch .LBB29_49
.LBB29_45:
	s_mov_b64 s[0:1], 0
                                        ; implicit-def: $vgpr1
.LBB29_46:
	s_barrier
	s_waitcnt lgkmcnt(0)
	ds_read_u8 v1, v6 offset:512
	s_sub_i32 s2, s12, s25
	v_cmp_gt_u32_e32 vcc, s2, v0
	s_and_saveexec_b64 s[0:1], vcc
	s_cbranch_execz .LBB29_48
; %bb.47:
	v_add_u32_e32 v0, v5, v0
	ds_read_u8 v0, v0
	s_waitcnt lgkmcnt(0)
	global_store_byte v[2:3], v0, off
.LBB29_48:
	s_or_b64 exec, exec, s[0:1]
	v_cmp_gt_u32_e64 s[0:1], s2, v4
.LBB29_49:
	s_and_saveexec_b64 s[2:3], s[0:1]
	s_cbranch_execz .LBB29_51
; %bb.50:
	s_waitcnt lgkmcnt(0)
	global_store_byte v[2:3], v1, off offset:512
.LBB29_51:
	s_endpgm
	.section	.rodata,"a",@progbits
	.p2align	6, 0x0
	.amdhsa_kernel _ZN7rocprim17ROCPRIM_304000_NS6detail35device_block_merge_mergepath_kernelINS1_37wrapped_merge_sort_block_merge_configINS0_14default_configEaN2at4cuda3cub6detail10OpaqueTypeILi8EEEEEPaSC_PSA_SD_jNS1_19radix_merge_compareILb1ELb0EaNS0_19identity_decomposerEEEEEvT0_T1_T2_T3_T4_SL_jT5_PKSL_NS1_7vsmem_tE
		.amdhsa_group_segment_fixed_size 8208
		.amdhsa_private_segment_fixed_size 0
		.amdhsa_kernarg_size 320
		.amdhsa_user_sgpr_count 2
		.amdhsa_user_sgpr_dispatch_ptr 0
		.amdhsa_user_sgpr_queue_ptr 0
		.amdhsa_user_sgpr_kernarg_segment_ptr 1
		.amdhsa_user_sgpr_dispatch_id 0
		.amdhsa_user_sgpr_kernarg_preload_length 0
		.amdhsa_user_sgpr_kernarg_preload_offset 0
		.amdhsa_user_sgpr_private_segment_size 0
		.amdhsa_uses_dynamic_stack 0
		.amdhsa_enable_private_segment 0
		.amdhsa_system_sgpr_workgroup_id_x 1
		.amdhsa_system_sgpr_workgroup_id_y 1
		.amdhsa_system_sgpr_workgroup_id_z 1
		.amdhsa_system_sgpr_workgroup_info 0
		.amdhsa_system_vgpr_workitem_id 0
		.amdhsa_next_free_vgpr 16
		.amdhsa_next_free_sgpr 28
		.amdhsa_accum_offset 16
		.amdhsa_reserve_vcc 1
		.amdhsa_float_round_mode_32 0
		.amdhsa_float_round_mode_16_64 0
		.amdhsa_float_denorm_mode_32 3
		.amdhsa_float_denorm_mode_16_64 3
		.amdhsa_dx10_clamp 1
		.amdhsa_ieee_mode 1
		.amdhsa_fp16_overflow 0
		.amdhsa_tg_split 0
		.amdhsa_exception_fp_ieee_invalid_op 0
		.amdhsa_exception_fp_denorm_src 0
		.amdhsa_exception_fp_ieee_div_zero 0
		.amdhsa_exception_fp_ieee_overflow 0
		.amdhsa_exception_fp_ieee_underflow 0
		.amdhsa_exception_fp_ieee_inexact 0
		.amdhsa_exception_int_div_zero 0
	.end_amdhsa_kernel
	.section	.text._ZN7rocprim17ROCPRIM_304000_NS6detail35device_block_merge_mergepath_kernelINS1_37wrapped_merge_sort_block_merge_configINS0_14default_configEaN2at4cuda3cub6detail10OpaqueTypeILi8EEEEEPaSC_PSA_SD_jNS1_19radix_merge_compareILb1ELb0EaNS0_19identity_decomposerEEEEEvT0_T1_T2_T3_T4_SL_jT5_PKSL_NS1_7vsmem_tE,"axG",@progbits,_ZN7rocprim17ROCPRIM_304000_NS6detail35device_block_merge_mergepath_kernelINS1_37wrapped_merge_sort_block_merge_configINS0_14default_configEaN2at4cuda3cub6detail10OpaqueTypeILi8EEEEEPaSC_PSA_SD_jNS1_19radix_merge_compareILb1ELb0EaNS0_19identity_decomposerEEEEEvT0_T1_T2_T3_T4_SL_jT5_PKSL_NS1_7vsmem_tE,comdat
.Lfunc_end29:
	.size	_ZN7rocprim17ROCPRIM_304000_NS6detail35device_block_merge_mergepath_kernelINS1_37wrapped_merge_sort_block_merge_configINS0_14default_configEaN2at4cuda3cub6detail10OpaqueTypeILi8EEEEEPaSC_PSA_SD_jNS1_19radix_merge_compareILb1ELb0EaNS0_19identity_decomposerEEEEEvT0_T1_T2_T3_T4_SL_jT5_PKSL_NS1_7vsmem_tE, .Lfunc_end29-_ZN7rocprim17ROCPRIM_304000_NS6detail35device_block_merge_mergepath_kernelINS1_37wrapped_merge_sort_block_merge_configINS0_14default_configEaN2at4cuda3cub6detail10OpaqueTypeILi8EEEEEPaSC_PSA_SD_jNS1_19radix_merge_compareILb1ELb0EaNS0_19identity_decomposerEEEEEvT0_T1_T2_T3_T4_SL_jT5_PKSL_NS1_7vsmem_tE
                                        ; -- End function
	.set _ZN7rocprim17ROCPRIM_304000_NS6detail35device_block_merge_mergepath_kernelINS1_37wrapped_merge_sort_block_merge_configINS0_14default_configEaN2at4cuda3cub6detail10OpaqueTypeILi8EEEEEPaSC_PSA_SD_jNS1_19radix_merge_compareILb1ELb0EaNS0_19identity_decomposerEEEEEvT0_T1_T2_T3_T4_SL_jT5_PKSL_NS1_7vsmem_tE.num_vgpr, 16
	.set _ZN7rocprim17ROCPRIM_304000_NS6detail35device_block_merge_mergepath_kernelINS1_37wrapped_merge_sort_block_merge_configINS0_14default_configEaN2at4cuda3cub6detail10OpaqueTypeILi8EEEEEPaSC_PSA_SD_jNS1_19radix_merge_compareILb1ELb0EaNS0_19identity_decomposerEEEEEvT0_T1_T2_T3_T4_SL_jT5_PKSL_NS1_7vsmem_tE.num_agpr, 0
	.set _ZN7rocprim17ROCPRIM_304000_NS6detail35device_block_merge_mergepath_kernelINS1_37wrapped_merge_sort_block_merge_configINS0_14default_configEaN2at4cuda3cub6detail10OpaqueTypeILi8EEEEEPaSC_PSA_SD_jNS1_19radix_merge_compareILb1ELb0EaNS0_19identity_decomposerEEEEEvT0_T1_T2_T3_T4_SL_jT5_PKSL_NS1_7vsmem_tE.numbered_sgpr, 28
	.set _ZN7rocprim17ROCPRIM_304000_NS6detail35device_block_merge_mergepath_kernelINS1_37wrapped_merge_sort_block_merge_configINS0_14default_configEaN2at4cuda3cub6detail10OpaqueTypeILi8EEEEEPaSC_PSA_SD_jNS1_19radix_merge_compareILb1ELb0EaNS0_19identity_decomposerEEEEEvT0_T1_T2_T3_T4_SL_jT5_PKSL_NS1_7vsmem_tE.num_named_barrier, 0
	.set _ZN7rocprim17ROCPRIM_304000_NS6detail35device_block_merge_mergepath_kernelINS1_37wrapped_merge_sort_block_merge_configINS0_14default_configEaN2at4cuda3cub6detail10OpaqueTypeILi8EEEEEPaSC_PSA_SD_jNS1_19radix_merge_compareILb1ELb0EaNS0_19identity_decomposerEEEEEvT0_T1_T2_T3_T4_SL_jT5_PKSL_NS1_7vsmem_tE.private_seg_size, 0
	.set _ZN7rocprim17ROCPRIM_304000_NS6detail35device_block_merge_mergepath_kernelINS1_37wrapped_merge_sort_block_merge_configINS0_14default_configEaN2at4cuda3cub6detail10OpaqueTypeILi8EEEEEPaSC_PSA_SD_jNS1_19radix_merge_compareILb1ELb0EaNS0_19identity_decomposerEEEEEvT0_T1_T2_T3_T4_SL_jT5_PKSL_NS1_7vsmem_tE.uses_vcc, 1
	.set _ZN7rocprim17ROCPRIM_304000_NS6detail35device_block_merge_mergepath_kernelINS1_37wrapped_merge_sort_block_merge_configINS0_14default_configEaN2at4cuda3cub6detail10OpaqueTypeILi8EEEEEPaSC_PSA_SD_jNS1_19radix_merge_compareILb1ELb0EaNS0_19identity_decomposerEEEEEvT0_T1_T2_T3_T4_SL_jT5_PKSL_NS1_7vsmem_tE.uses_flat_scratch, 0
	.set _ZN7rocprim17ROCPRIM_304000_NS6detail35device_block_merge_mergepath_kernelINS1_37wrapped_merge_sort_block_merge_configINS0_14default_configEaN2at4cuda3cub6detail10OpaqueTypeILi8EEEEEPaSC_PSA_SD_jNS1_19radix_merge_compareILb1ELb0EaNS0_19identity_decomposerEEEEEvT0_T1_T2_T3_T4_SL_jT5_PKSL_NS1_7vsmem_tE.has_dyn_sized_stack, 0
	.set _ZN7rocprim17ROCPRIM_304000_NS6detail35device_block_merge_mergepath_kernelINS1_37wrapped_merge_sort_block_merge_configINS0_14default_configEaN2at4cuda3cub6detail10OpaqueTypeILi8EEEEEPaSC_PSA_SD_jNS1_19radix_merge_compareILb1ELb0EaNS0_19identity_decomposerEEEEEvT0_T1_T2_T3_T4_SL_jT5_PKSL_NS1_7vsmem_tE.has_recursion, 0
	.set _ZN7rocprim17ROCPRIM_304000_NS6detail35device_block_merge_mergepath_kernelINS1_37wrapped_merge_sort_block_merge_configINS0_14default_configEaN2at4cuda3cub6detail10OpaqueTypeILi8EEEEEPaSC_PSA_SD_jNS1_19radix_merge_compareILb1ELb0EaNS0_19identity_decomposerEEEEEvT0_T1_T2_T3_T4_SL_jT5_PKSL_NS1_7vsmem_tE.has_indirect_call, 0
	.section	.AMDGPU.csdata,"",@progbits
; Kernel info:
; codeLenInByte = 1816
; TotalNumSgprs: 34
; NumVgprs: 16
; NumAgprs: 0
; TotalNumVgprs: 16
; ScratchSize: 0
; MemoryBound: 0
; FloatMode: 240
; IeeeMode: 1
; LDSByteSize: 8208 bytes/workgroup (compile time only)
; SGPRBlocks: 4
; VGPRBlocks: 1
; NumSGPRsForWavesPerEU: 34
; NumVGPRsForWavesPerEU: 16
; AccumOffset: 16
; Occupancy: 8
; WaveLimiterHint : 1
; COMPUTE_PGM_RSRC2:SCRATCH_EN: 0
; COMPUTE_PGM_RSRC2:USER_SGPR: 2
; COMPUTE_PGM_RSRC2:TRAP_HANDLER: 0
; COMPUTE_PGM_RSRC2:TGID_X_EN: 1
; COMPUTE_PGM_RSRC2:TGID_Y_EN: 1
; COMPUTE_PGM_RSRC2:TGID_Z_EN: 1
; COMPUTE_PGM_RSRC2:TIDIG_COMP_CNT: 0
; COMPUTE_PGM_RSRC3_GFX90A:ACCUM_OFFSET: 3
; COMPUTE_PGM_RSRC3_GFX90A:TG_SPLIT: 0
	.section	.text._ZN7rocprim17ROCPRIM_304000_NS6detail33device_block_merge_oddeven_kernelINS1_37wrapped_merge_sort_block_merge_configINS0_14default_configEaN2at4cuda3cub6detail10OpaqueTypeILi8EEEEEPaSC_PSA_SD_jNS1_19radix_merge_compareILb1ELb0EaNS0_19identity_decomposerEEEEEvT0_T1_T2_T3_T4_SL_T5_,"axG",@progbits,_ZN7rocprim17ROCPRIM_304000_NS6detail33device_block_merge_oddeven_kernelINS1_37wrapped_merge_sort_block_merge_configINS0_14default_configEaN2at4cuda3cub6detail10OpaqueTypeILi8EEEEEPaSC_PSA_SD_jNS1_19radix_merge_compareILb1ELb0EaNS0_19identity_decomposerEEEEEvT0_T1_T2_T3_T4_SL_T5_,comdat
	.protected	_ZN7rocprim17ROCPRIM_304000_NS6detail33device_block_merge_oddeven_kernelINS1_37wrapped_merge_sort_block_merge_configINS0_14default_configEaN2at4cuda3cub6detail10OpaqueTypeILi8EEEEEPaSC_PSA_SD_jNS1_19radix_merge_compareILb1ELb0EaNS0_19identity_decomposerEEEEEvT0_T1_T2_T3_T4_SL_T5_ ; -- Begin function _ZN7rocprim17ROCPRIM_304000_NS6detail33device_block_merge_oddeven_kernelINS1_37wrapped_merge_sort_block_merge_configINS0_14default_configEaN2at4cuda3cub6detail10OpaqueTypeILi8EEEEEPaSC_PSA_SD_jNS1_19radix_merge_compareILb1ELb0EaNS0_19identity_decomposerEEEEEvT0_T1_T2_T3_T4_SL_T5_
	.globl	_ZN7rocprim17ROCPRIM_304000_NS6detail33device_block_merge_oddeven_kernelINS1_37wrapped_merge_sort_block_merge_configINS0_14default_configEaN2at4cuda3cub6detail10OpaqueTypeILi8EEEEEPaSC_PSA_SD_jNS1_19radix_merge_compareILb1ELb0EaNS0_19identity_decomposerEEEEEvT0_T1_T2_T3_T4_SL_T5_
	.p2align	8
	.type	_ZN7rocprim17ROCPRIM_304000_NS6detail33device_block_merge_oddeven_kernelINS1_37wrapped_merge_sort_block_merge_configINS0_14default_configEaN2at4cuda3cub6detail10OpaqueTypeILi8EEEEEPaSC_PSA_SD_jNS1_19radix_merge_compareILb1ELb0EaNS0_19identity_decomposerEEEEEvT0_T1_T2_T3_T4_SL_T5_,@function
_ZN7rocprim17ROCPRIM_304000_NS6detail33device_block_merge_oddeven_kernelINS1_37wrapped_merge_sort_block_merge_configINS0_14default_configEaN2at4cuda3cub6detail10OpaqueTypeILi8EEEEEPaSC_PSA_SD_jNS1_19radix_merge_compareILb1ELb0EaNS0_19identity_decomposerEEEEEvT0_T1_T2_T3_T4_SL_T5_: ; @_ZN7rocprim17ROCPRIM_304000_NS6detail33device_block_merge_oddeven_kernelINS1_37wrapped_merge_sort_block_merge_configINS0_14default_configEaN2at4cuda3cub6detail10OpaqueTypeILi8EEEEEPaSC_PSA_SD_jNS1_19radix_merge_compareILb1ELb0EaNS0_19identity_decomposerEEEEEvT0_T1_T2_T3_T4_SL_T5_
; %bb.0:
	s_load_dwordx2 s[16:17], s[0:1], 0x20
	s_waitcnt lgkmcnt(0)
	s_lshr_b32 s3, s16, 8
	s_cmp_eq_u32 s2, s3
	s_cselect_b64 s[6:7], -1, 0
	s_cmp_lg_u32 s2, s3
	s_cselect_b64 s[8:9], -1, 0
	s_lshl_b32 s18, s2, 8
	s_sub_i32 s3, s16, s18
	v_cmp_gt_u32_e64 s[4:5], s3, v0
	s_or_b64 s[8:9], s[8:9], s[4:5]
	s_and_saveexec_b64 s[10:11], s[8:9]
	s_cbranch_execz .LBB30_24
; %bb.1:
	s_load_dwordx8 s[8:15], s[0:1], 0x0
	s_mov_b32 s19, 0
	v_lshlrev_b32_e32 v1, 3, v0
	s_waitcnt lgkmcnt(0)
	s_add_u32 s0, s8, s18
	s_addc_u32 s1, s9, 0
	s_lshl_b64 s[20:21], s[18:19], 3
	s_add_u32 s12, s12, s20
	s_addc_u32 s13, s13, s21
	global_load_dwordx2 v[2:3], v1, s[12:13]
	global_load_sbyte v4, v0, s[0:1]
	s_lshr_b32 s0, s17, 8
	s_sub_i32 s1, 0, s0
	s_and_b32 s1, s2, s1
	s_and_b32 s0, s1, s0
	s_lshl_b32 s19, s1, 8
	s_sub_i32 s12, 0, s17
	s_cmp_eq_u32 s0, 0
	s_cselect_b64 s[0:1], -1, 0
	s_and_b64 s[2:3], s[0:1], exec
	s_cselect_b32 s12, s17, s12
	s_add_i32 s12, s12, s19
	s_mov_b64 s[2:3], -1
	s_cmp_gt_u32 s16, s12
	v_add_u32_e32 v0, s18, v0
	s_cbranch_scc1 .LBB30_9
; %bb.2:
	s_and_b64 vcc, exec, s[6:7]
	s_cbranch_vccz .LBB30_6
; %bb.3:
	v_cmp_gt_u32_e32 vcc, s16, v0
	s_and_saveexec_b64 s[2:3], vcc
	s_cbranch_execz .LBB30_5
; %bb.4:
	v_mov_b32_e32 v1, 0
	v_lshl_add_u64 v[6:7], v[0:1], 3, s[14:15]
	s_waitcnt vmcnt(0)
	global_store_byte v0, v4, s[10:11]
	global_store_dwordx2 v[6:7], v[2:3], off
.LBB30_5:
	s_or_b64 exec, exec, s[2:3]
	s_mov_b64 s[2:3], 0
.LBB30_6:
	s_andn2_b64 vcc, exec, s[2:3]
	s_cbranch_vccnz .LBB30_8
; %bb.7:
	v_mov_b32_e32 v1, 0
	v_lshl_add_u64 v[6:7], v[0:1], 3, s[14:15]
	s_waitcnt vmcnt(0)
	global_store_byte v0, v4, s[10:11]
	global_store_dwordx2 v[6:7], v[2:3], off
.LBB30_8:
	s_mov_b64 s[2:3], 0
.LBB30_9:
	s_andn2_b64 vcc, exec, s[2:3]
	s_cbranch_vccnz .LBB30_24
; %bb.10:
	s_min_u32 s13, s12, s16
	s_add_i32 s2, s13, s17
	s_min_u32 s16, s2, s16
	s_min_u32 s2, s19, s13
	s_add_i32 s19, s19, s13
	v_subrev_u32_e32 v0, s19, v0
	v_add_u32_e32 v0, s2, v0
	s_andn2_b64 vcc, exec, s[6:7]
	s_mov_b64 s[2:3], -1
	s_cbranch_vccnz .LBB30_18
; %bb.11:
	s_and_saveexec_b64 s[2:3], s[4:5]
	s_cbranch_execz .LBB30_17
; %bb.12:
	s_cmp_ge_u32 s12, s16
	v_mov_b32_e32 v1, s13
	s_cbranch_scc1 .LBB30_16
; %bb.13:
	s_mov_b64 s[4:5], 0
	v_mov_b32_e32 v5, s16
	v_mov_b32_e32 v1, s13
.LBB30_14:                              ; =>This Inner Loop Header: Depth=1
	v_add_u32_e32 v6, v1, v5
	v_lshrrev_b32_e32 v6, 1, v6
	global_load_sbyte v7, v6, s[8:9]
	v_add_u32_e32 v8, 1, v6
	s_waitcnt vmcnt(0)
	v_cmp_gt_i16_e32 vcc, v7, v4
	s_nop 1
	v_cndmask_b32_e64 v9, 0, 1, vcc
	v_cmp_le_i16_e32 vcc, v4, v7
	s_nop 1
	v_cndmask_b32_e64 v7, 0, 1, vcc
	v_cndmask_b32_e64 v7, v7, v9, s[0:1]
	v_and_b32_e32 v7, 1, v7
	v_cmp_eq_u32_e32 vcc, 1, v7
	s_nop 1
	v_cndmask_b32_e32 v5, v6, v5, vcc
	v_cndmask_b32_e32 v1, v1, v8, vcc
	v_cmp_ge_u32_e32 vcc, v1, v5
	s_or_b64 s[4:5], vcc, s[4:5]
	s_andn2_b64 exec, exec, s[4:5]
	s_cbranch_execnz .LBB30_14
; %bb.15:
	s_or_b64 exec, exec, s[4:5]
.LBB30_16:
	v_add_u32_e32 v6, v1, v0
	v_mov_b32_e32 v7, 0
	s_waitcnt vmcnt(0)
	global_store_byte v6, v4, s[10:11]
	v_lshl_add_u64 v[6:7], v[6:7], 3, s[14:15]
	global_store_dwordx2 v[6:7], v[2:3], off
.LBB30_17:
	s_or_b64 exec, exec, s[2:3]
	s_mov_b64 s[2:3], 0
.LBB30_18:
	s_andn2_b64 vcc, exec, s[2:3]
	s_cbranch_vccnz .LBB30_24
; %bb.19:
	s_cmp_ge_u32 s12, s16
	v_mov_b32_e32 v1, s13
	s_cbranch_scc1 .LBB30_23
; %bb.20:
	s_mov_b64 s[2:3], 0
	v_mov_b32_e32 v5, s16
	v_mov_b32_e32 v1, s13
.LBB30_21:                              ; =>This Inner Loop Header: Depth=1
	v_add_u32_e32 v6, v1, v5
	v_lshrrev_b32_e32 v6, 1, v6
	global_load_sbyte v7, v6, s[8:9]
	v_add_u32_e32 v8, 1, v6
	s_waitcnt vmcnt(0)
	v_cmp_gt_i16_e32 vcc, v7, v4
	s_nop 1
	v_cndmask_b32_e64 v9, 0, 1, vcc
	v_cmp_le_i16_e32 vcc, v4, v7
	s_nop 1
	v_cndmask_b32_e64 v7, 0, 1, vcc
	v_cndmask_b32_e64 v7, v7, v9, s[0:1]
	v_and_b32_e32 v7, 1, v7
	v_cmp_eq_u32_e32 vcc, 1, v7
	s_nop 1
	v_cndmask_b32_e32 v5, v6, v5, vcc
	v_cndmask_b32_e32 v1, v1, v8, vcc
	v_cmp_ge_u32_e32 vcc, v1, v5
	s_or_b64 s[2:3], vcc, s[2:3]
	s_andn2_b64 exec, exec, s[2:3]
	s_cbranch_execnz .LBB30_21
; %bb.22:
	s_or_b64 exec, exec, s[2:3]
.LBB30_23:
	v_add_u32_e32 v0, v1, v0
	v_mov_b32_e32 v1, 0
	s_waitcnt vmcnt(0)
	global_store_byte v0, v4, s[10:11]
	v_lshl_add_u64 v[0:1], v[0:1], 3, s[14:15]
	global_store_dwordx2 v[0:1], v[2:3], off
.LBB30_24:
	s_endpgm
	.section	.rodata,"a",@progbits
	.p2align	6, 0x0
	.amdhsa_kernel _ZN7rocprim17ROCPRIM_304000_NS6detail33device_block_merge_oddeven_kernelINS1_37wrapped_merge_sort_block_merge_configINS0_14default_configEaN2at4cuda3cub6detail10OpaqueTypeILi8EEEEEPaSC_PSA_SD_jNS1_19radix_merge_compareILb1ELb0EaNS0_19identity_decomposerEEEEEvT0_T1_T2_T3_T4_SL_T5_
		.amdhsa_group_segment_fixed_size 0
		.amdhsa_private_segment_fixed_size 0
		.amdhsa_kernarg_size 44
		.amdhsa_user_sgpr_count 2
		.amdhsa_user_sgpr_dispatch_ptr 0
		.amdhsa_user_sgpr_queue_ptr 0
		.amdhsa_user_sgpr_kernarg_segment_ptr 1
		.amdhsa_user_sgpr_dispatch_id 0
		.amdhsa_user_sgpr_kernarg_preload_length 0
		.amdhsa_user_sgpr_kernarg_preload_offset 0
		.amdhsa_user_sgpr_private_segment_size 0
		.amdhsa_uses_dynamic_stack 0
		.amdhsa_enable_private_segment 0
		.amdhsa_system_sgpr_workgroup_id_x 1
		.amdhsa_system_sgpr_workgroup_id_y 0
		.amdhsa_system_sgpr_workgroup_id_z 0
		.amdhsa_system_sgpr_workgroup_info 0
		.amdhsa_system_vgpr_workitem_id 0
		.amdhsa_next_free_vgpr 10
		.amdhsa_next_free_sgpr 22
		.amdhsa_accum_offset 12
		.amdhsa_reserve_vcc 1
		.amdhsa_float_round_mode_32 0
		.amdhsa_float_round_mode_16_64 0
		.amdhsa_float_denorm_mode_32 3
		.amdhsa_float_denorm_mode_16_64 3
		.amdhsa_dx10_clamp 1
		.amdhsa_ieee_mode 1
		.amdhsa_fp16_overflow 0
		.amdhsa_tg_split 0
		.amdhsa_exception_fp_ieee_invalid_op 0
		.amdhsa_exception_fp_denorm_src 0
		.amdhsa_exception_fp_ieee_div_zero 0
		.amdhsa_exception_fp_ieee_overflow 0
		.amdhsa_exception_fp_ieee_underflow 0
		.amdhsa_exception_fp_ieee_inexact 0
		.amdhsa_exception_int_div_zero 0
	.end_amdhsa_kernel
	.section	.text._ZN7rocprim17ROCPRIM_304000_NS6detail33device_block_merge_oddeven_kernelINS1_37wrapped_merge_sort_block_merge_configINS0_14default_configEaN2at4cuda3cub6detail10OpaqueTypeILi8EEEEEPaSC_PSA_SD_jNS1_19radix_merge_compareILb1ELb0EaNS0_19identity_decomposerEEEEEvT0_T1_T2_T3_T4_SL_T5_,"axG",@progbits,_ZN7rocprim17ROCPRIM_304000_NS6detail33device_block_merge_oddeven_kernelINS1_37wrapped_merge_sort_block_merge_configINS0_14default_configEaN2at4cuda3cub6detail10OpaqueTypeILi8EEEEEPaSC_PSA_SD_jNS1_19radix_merge_compareILb1ELb0EaNS0_19identity_decomposerEEEEEvT0_T1_T2_T3_T4_SL_T5_,comdat
.Lfunc_end30:
	.size	_ZN7rocprim17ROCPRIM_304000_NS6detail33device_block_merge_oddeven_kernelINS1_37wrapped_merge_sort_block_merge_configINS0_14default_configEaN2at4cuda3cub6detail10OpaqueTypeILi8EEEEEPaSC_PSA_SD_jNS1_19radix_merge_compareILb1ELb0EaNS0_19identity_decomposerEEEEEvT0_T1_T2_T3_T4_SL_T5_, .Lfunc_end30-_ZN7rocprim17ROCPRIM_304000_NS6detail33device_block_merge_oddeven_kernelINS1_37wrapped_merge_sort_block_merge_configINS0_14default_configEaN2at4cuda3cub6detail10OpaqueTypeILi8EEEEEPaSC_PSA_SD_jNS1_19radix_merge_compareILb1ELb0EaNS0_19identity_decomposerEEEEEvT0_T1_T2_T3_T4_SL_T5_
                                        ; -- End function
	.set _ZN7rocprim17ROCPRIM_304000_NS6detail33device_block_merge_oddeven_kernelINS1_37wrapped_merge_sort_block_merge_configINS0_14default_configEaN2at4cuda3cub6detail10OpaqueTypeILi8EEEEEPaSC_PSA_SD_jNS1_19radix_merge_compareILb1ELb0EaNS0_19identity_decomposerEEEEEvT0_T1_T2_T3_T4_SL_T5_.num_vgpr, 10
	.set _ZN7rocprim17ROCPRIM_304000_NS6detail33device_block_merge_oddeven_kernelINS1_37wrapped_merge_sort_block_merge_configINS0_14default_configEaN2at4cuda3cub6detail10OpaqueTypeILi8EEEEEPaSC_PSA_SD_jNS1_19radix_merge_compareILb1ELb0EaNS0_19identity_decomposerEEEEEvT0_T1_T2_T3_T4_SL_T5_.num_agpr, 0
	.set _ZN7rocprim17ROCPRIM_304000_NS6detail33device_block_merge_oddeven_kernelINS1_37wrapped_merge_sort_block_merge_configINS0_14default_configEaN2at4cuda3cub6detail10OpaqueTypeILi8EEEEEPaSC_PSA_SD_jNS1_19radix_merge_compareILb1ELb0EaNS0_19identity_decomposerEEEEEvT0_T1_T2_T3_T4_SL_T5_.numbered_sgpr, 22
	.set _ZN7rocprim17ROCPRIM_304000_NS6detail33device_block_merge_oddeven_kernelINS1_37wrapped_merge_sort_block_merge_configINS0_14default_configEaN2at4cuda3cub6detail10OpaqueTypeILi8EEEEEPaSC_PSA_SD_jNS1_19radix_merge_compareILb1ELb0EaNS0_19identity_decomposerEEEEEvT0_T1_T2_T3_T4_SL_T5_.num_named_barrier, 0
	.set _ZN7rocprim17ROCPRIM_304000_NS6detail33device_block_merge_oddeven_kernelINS1_37wrapped_merge_sort_block_merge_configINS0_14default_configEaN2at4cuda3cub6detail10OpaqueTypeILi8EEEEEPaSC_PSA_SD_jNS1_19radix_merge_compareILb1ELb0EaNS0_19identity_decomposerEEEEEvT0_T1_T2_T3_T4_SL_T5_.private_seg_size, 0
	.set _ZN7rocprim17ROCPRIM_304000_NS6detail33device_block_merge_oddeven_kernelINS1_37wrapped_merge_sort_block_merge_configINS0_14default_configEaN2at4cuda3cub6detail10OpaqueTypeILi8EEEEEPaSC_PSA_SD_jNS1_19radix_merge_compareILb1ELb0EaNS0_19identity_decomposerEEEEEvT0_T1_T2_T3_T4_SL_T5_.uses_vcc, 1
	.set _ZN7rocprim17ROCPRIM_304000_NS6detail33device_block_merge_oddeven_kernelINS1_37wrapped_merge_sort_block_merge_configINS0_14default_configEaN2at4cuda3cub6detail10OpaqueTypeILi8EEEEEPaSC_PSA_SD_jNS1_19radix_merge_compareILb1ELb0EaNS0_19identity_decomposerEEEEEvT0_T1_T2_T3_T4_SL_T5_.uses_flat_scratch, 0
	.set _ZN7rocprim17ROCPRIM_304000_NS6detail33device_block_merge_oddeven_kernelINS1_37wrapped_merge_sort_block_merge_configINS0_14default_configEaN2at4cuda3cub6detail10OpaqueTypeILi8EEEEEPaSC_PSA_SD_jNS1_19radix_merge_compareILb1ELb0EaNS0_19identity_decomposerEEEEEvT0_T1_T2_T3_T4_SL_T5_.has_dyn_sized_stack, 0
	.set _ZN7rocprim17ROCPRIM_304000_NS6detail33device_block_merge_oddeven_kernelINS1_37wrapped_merge_sort_block_merge_configINS0_14default_configEaN2at4cuda3cub6detail10OpaqueTypeILi8EEEEEPaSC_PSA_SD_jNS1_19radix_merge_compareILb1ELb0EaNS0_19identity_decomposerEEEEEvT0_T1_T2_T3_T4_SL_T5_.has_recursion, 0
	.set _ZN7rocprim17ROCPRIM_304000_NS6detail33device_block_merge_oddeven_kernelINS1_37wrapped_merge_sort_block_merge_configINS0_14default_configEaN2at4cuda3cub6detail10OpaqueTypeILi8EEEEEPaSC_PSA_SD_jNS1_19radix_merge_compareILb1ELb0EaNS0_19identity_decomposerEEEEEvT0_T1_T2_T3_T4_SL_T5_.has_indirect_call, 0
	.section	.AMDGPU.csdata,"",@progbits
; Kernel info:
; codeLenInByte = 684
; TotalNumSgprs: 28
; NumVgprs: 10
; NumAgprs: 0
; TotalNumVgprs: 10
; ScratchSize: 0
; MemoryBound: 0
; FloatMode: 240
; IeeeMode: 1
; LDSByteSize: 0 bytes/workgroup (compile time only)
; SGPRBlocks: 3
; VGPRBlocks: 1
; NumSGPRsForWavesPerEU: 28
; NumVGPRsForWavesPerEU: 10
; AccumOffset: 12
; Occupancy: 8
; WaveLimiterHint : 0
; COMPUTE_PGM_RSRC2:SCRATCH_EN: 0
; COMPUTE_PGM_RSRC2:USER_SGPR: 2
; COMPUTE_PGM_RSRC2:TRAP_HANDLER: 0
; COMPUTE_PGM_RSRC2:TGID_X_EN: 1
; COMPUTE_PGM_RSRC2:TGID_Y_EN: 0
; COMPUTE_PGM_RSRC2:TGID_Z_EN: 0
; COMPUTE_PGM_RSRC2:TIDIG_COMP_CNT: 0
; COMPUTE_PGM_RSRC3_GFX90A:ACCUM_OFFSET: 2
; COMPUTE_PGM_RSRC3_GFX90A:TG_SPLIT: 0
	.section	.text._ZN7rocprim17ROCPRIM_304000_NS6detail16transform_kernelINS1_24wrapped_transform_configINS0_14default_configEaEEaPaS6_NS0_8identityIaEEEEvT1_mT2_T3_,"axG",@progbits,_ZN7rocprim17ROCPRIM_304000_NS6detail16transform_kernelINS1_24wrapped_transform_configINS0_14default_configEaEEaPaS6_NS0_8identityIaEEEEvT1_mT2_T3_,comdat
	.protected	_ZN7rocprim17ROCPRIM_304000_NS6detail16transform_kernelINS1_24wrapped_transform_configINS0_14default_configEaEEaPaS6_NS0_8identityIaEEEEvT1_mT2_T3_ ; -- Begin function _ZN7rocprim17ROCPRIM_304000_NS6detail16transform_kernelINS1_24wrapped_transform_configINS0_14default_configEaEEaPaS6_NS0_8identityIaEEEEvT1_mT2_T3_
	.globl	_ZN7rocprim17ROCPRIM_304000_NS6detail16transform_kernelINS1_24wrapped_transform_configINS0_14default_configEaEEaPaS6_NS0_8identityIaEEEEvT1_mT2_T3_
	.p2align	8
	.type	_ZN7rocprim17ROCPRIM_304000_NS6detail16transform_kernelINS1_24wrapped_transform_configINS0_14default_configEaEEaPaS6_NS0_8identityIaEEEEvT1_mT2_T3_,@function
_ZN7rocprim17ROCPRIM_304000_NS6detail16transform_kernelINS1_24wrapped_transform_configINS0_14default_configEaEEaPaS6_NS0_8identityIaEEEEvT1_mT2_T3_: ; @_ZN7rocprim17ROCPRIM_304000_NS6detail16transform_kernelINS1_24wrapped_transform_configINS0_14default_configEaEEaPaS6_NS0_8identityIaEEEEvT1_mT2_T3_
; %bb.0:
	s_load_dword s3, s[0:1], 0x20
	s_load_dwordx4 s[4:7], s[0:1], 0x0
	s_load_dwordx2 s[14:15], s[0:1], 0x10
	s_lshl_b32 s20, s2, 10
	v_mov_b32_e32 v1, 0
	s_waitcnt lgkmcnt(0)
	s_add_i32 s3, s3, -1
	s_add_u32 s0, s4, s20
	s_addc_u32 s1, s5, 0
	s_cmp_lg_u32 s2, s3
	v_lshl_add_u64 v[2:3], s[0:1], 0, v[0:1]
	s_cbranch_scc0 .LBB31_2
; %bb.1:
	global_load_ubyte v5, v[2:3], off
	global_load_ubyte v8, v[2:3], off offset:128
	global_load_ubyte v9, v[2:3], off offset:256
	;; [unrolled: 1-line block ×7, first 2 shown]
	s_add_u32 s2, s14, s20
	s_addc_u32 s3, s15, 0
	v_lshl_add_u64 v[6:7], s[2:3], 0, v[0:1]
	s_mov_b64 s[16:17], -1
	s_waitcnt vmcnt(7)
	global_store_byte v[6:7], v5, off
	s_waitcnt vmcnt(7)
	global_store_byte v[6:7], v8, off offset:128
	s_waitcnt vmcnt(7)
	global_store_byte v[6:7], v9, off offset:256
	;; [unrolled: 2-line block ×6, first 2 shown]
	s_cbranch_execz .LBB31_3
	s_branch .LBB31_34
.LBB31_2:
	s_mov_b64 s[16:17], 0
                                        ; implicit-def: $vgpr4
.LBB31_3:
	s_sub_i32 s18, s6, s20
	v_cmp_gt_u32_e32 vcc, s18, v0
	v_mov_b32_e32 v12, 0
	v_mov_b32_e32 v13, 0
	;; [unrolled: 1-line block ×7, first 2 shown]
	s_and_saveexec_b64 s[0:1], vcc
	s_cbranch_execz .LBB31_5
; %bb.4:
	global_load_ubyte v13, v[2:3], off
	v_mov_b32_e32 v14, 0
	v_mov_b32_e32 v8, 0
	;; [unrolled: 1-line block ×5, first 2 shown]
.LBB31_5:
	s_or_b64 exec, exec, s[0:1]
	s_waitcnt vmcnt(7)
	v_or_b32_e32 v4, 0x80, v0
	v_cmp_gt_u32_e64 s[0:1], s18, v4
	v_mov_b32_e32 v15, v12
	s_and_saveexec_b64 s[2:3], s[0:1]
	s_cbranch_execz .LBB31_7
; %bb.6:
	global_load_ubyte v15, v[2:3], off offset:128
.LBB31_7:
	s_or_b64 exec, exec, s[2:3]
	v_or_b32_e32 v4, 0x100, v0
	v_cmp_gt_u32_e64 s[2:3], s18, v4
	s_and_saveexec_b64 s[4:5], s[2:3]
	s_cbranch_execz .LBB31_9
; %bb.8:
	global_load_ubyte v12, v[2:3], off offset:256
.LBB31_9:
	s_or_b64 exec, exec, s[4:5]
	v_or_b32_e32 v4, 0x180, v0
	v_cmp_gt_u32_e64 s[4:5], s18, v4
	;; [unrolled: 8-line block ×6, first 2 shown]
	s_and_saveexec_b64 s[18:19], s[12:13]
	s_cbranch_execz .LBB31_19
; %bb.18:
	global_load_ubyte v11, v[2:3], off offset:896
.LBB31_19:
	s_or_b64 exec, exec, s[18:19]
	s_mov_b32 s18, 0xffff
	s_waitcnt vmcnt(0)
	v_and_b32_sdwa v2, s18, v13 dst_sel:DWORD dst_unused:UNUSED_PAD src0_sel:DWORD src1_sel:BYTE_0
	s_add_u32 s18, s14, s20
	s_addc_u32 s19, s15, 0
	v_mov_b32_e32 v5, 0
	v_cndmask_b32_e32 v4, 0, v2, vcc
	v_lshl_add_u64 v[2:3], s[18:19], 0, v[0:1]
	s_and_saveexec_b64 s[18:19], vcc
	s_cbranch_execz .LBB31_21
; %bb.20:
	global_store_byte v[2:3], v4, off
.LBB31_21:
	s_or_b64 exec, exec, s[18:19]
	s_mov_b32 s18, 0xc0c0004
	v_perm_b32 v6, v13, v15, s18
	v_perm_b32 v7, v12, v14, s18
	v_lshl_or_b32 v16, v7, 16, v6
	v_cndmask_b32_e64 v17, v4, v16, s[0:1]
	s_and_saveexec_b64 s[18:19], s[0:1]
	s_cbranch_execz .LBB31_23
; %bb.22:
	v_lshrrev_b32_e32 v6, 8, v17
	global_store_byte v[2:3], v6, off offset:128
.LBB31_23:
	s_or_b64 exec, exec, s[18:19]
	s_movk_i32 s0, 0xff00
	s_mov_b64 vcc, s[2:3]
	v_bitop3_b16 v18, v4, v17, s0 bitop3:0xf8
	v_lshrrev_b64 v[6:7], 24, v[4:5]
	v_mov_b32_e32 v5, 8
	v_lshrrev_b32_sdwa v5, v5, v17 dst_sel:BYTE_1 dst_unused:UNUSED_PAD src0_sel:DWORD src1_sel:DWORD
	v_cndmask_b32_sdwa v7, v18, v16, vcc dst_sel:DWORD dst_unused:UNUSED_PAD src0_sel:WORD_0 src1_sel:DWORD
	s_and_saveexec_b64 s[0:1], s[2:3]
	s_cbranch_execz .LBB31_25
; %bb.24:
	global_store_byte_d16_hi v[2:3], v7, off offset:256
.LBB31_25:
	s_or_b64 exec, exec, s[0:1]
	s_mov_b32 s0, 0xc0c0006
	v_or_b32_e32 v4, v4, v5
	v_perm_b32 v6, v7, v6, s0
	v_and_b32_e32 v4, 0xffff, v4
	s_mov_b32 s0, 0xc0c0004
	v_lshl_or_b32 v4, v6, 16, v4
	v_perm_b32 v5, v13, v15, s0
	v_perm_b32 v6, v12, v14, s0
	v_lshl_or_b32 v5, v6, 16, v5
	v_cndmask_b32_e64 v4, v4, v5, s[4:5]
	v_perm_b32 v5, v8, v9, s0
	v_perm_b32 v6, v10, v11, s0
	v_lshl_or_b32 v5, v6, 16, v5
	s_and_saveexec_b64 s[0:1], s[4:5]
	s_cbranch_execz .LBB31_27
; %bb.26:
	v_lshrrev_b32_e32 v4, 24, v4
	global_store_byte v[2:3], v4, off offset:384
.LBB31_27:
	s_or_b64 exec, exec, s[0:1]
	v_cndmask_b32_e64 v5, 0, v5, s[6:7]
	s_and_saveexec_b64 s[0:1], s[6:7]
	s_cbranch_execz .LBB31_29
; %bb.28:
	global_store_byte v[2:3], v5, off offset:512
.LBB31_29:
	s_or_b64 exec, exec, s[0:1]
	s_mov_b32 s0, 0xc0c0004
	v_perm_b32 v4, v8, v9, s0
	v_perm_b32 v6, v10, v11, s0
	v_lshl_or_b32 v4, v6, 16, v4
	s_mov_b64 vcc, s[8:9]
	v_cndmask_b32_sdwa v4, v5, v4, vcc dst_sel:DWORD dst_unused:UNUSED_PAD src0_sel:BYTE_0 src1_sel:DWORD
	v_lshrrev_b32_e32 v6, 8, v4
	s_and_saveexec_b64 s[0:1], s[8:9]
	s_cbranch_execnz .LBB31_37
; %bb.30:
	s_or_b64 exec, exec, s[0:1]
	s_and_saveexec_b64 s[0:1], s[10:11]
	s_cbranch_execnz .LBB31_38
.LBB31_31:
	s_or_b64 exec, exec, s[0:1]
                                        ; implicit-def: $vgpr4
	s_and_saveexec_b64 s[0:1], s[12:13]
.LBB31_32:
	s_mov_b32 s2, 0xc0c0004
	v_perm_b32 v2, v8, v9, s2
	v_perm_b32 v3, v10, v11, s2
	v_lshl_or_b32 v2, v3, 16, v2
	v_perm_b32 v3, v5, v6, s2
	v_cndmask_b32_e64 v2, v3, v2, s[12:13]
	v_lshrrev_b32_e32 v4, 24, v2
	s_or_b64 s[16:17], s[16:17], exec
.LBB31_33:
	s_or_b64 exec, exec, s[0:1]
.LBB31_34:
	s_and_saveexec_b64 s[0:1], s[16:17]
	s_cbranch_execnz .LBB31_36
; %bb.35:
	s_endpgm
.LBB31_36:
	s_add_u32 s0, s14, s20
	s_addc_u32 s1, s15, 0
	v_lshl_add_u64 v[0:1], s[0:1], 0, v[0:1]
	s_waitcnt vmcnt(7)
	global_store_byte v[0:1], v4, off offset:896
	s_endpgm
.LBB31_37:
	global_store_byte v[2:3], v6, off offset:640
	s_or_b64 exec, exec, s[0:1]
	s_and_saveexec_b64 s[0:1], s[10:11]
	s_cbranch_execz .LBB31_31
.LBB31_38:
	s_mov_b32 s2, 0xc0c0004
	v_perm_b32 v4, v8, v9, s2
	v_perm_b32 v7, v10, v11, s2
	v_lshl_or_b32 v4, v7, 16, v4
	v_perm_b32 v7, v5, v6, s2
	v_cndmask_b32_e64 v4, v7, v4, s[10:11]
	global_store_byte_d16_hi v[2:3], v4, off offset:768
	s_or_b64 exec, exec, s[0:1]
                                        ; implicit-def: $vgpr4
	s_and_saveexec_b64 s[0:1], s[12:13]
	s_cbranch_execnz .LBB31_32
	s_branch .LBB31_33
	.section	.rodata,"a",@progbits
	.p2align	6, 0x0
	.amdhsa_kernel _ZN7rocprim17ROCPRIM_304000_NS6detail16transform_kernelINS1_24wrapped_transform_configINS0_14default_configEaEEaPaS6_NS0_8identityIaEEEEvT1_mT2_T3_
		.amdhsa_group_segment_fixed_size 0
		.amdhsa_private_segment_fixed_size 0
		.amdhsa_kernarg_size 288
		.amdhsa_user_sgpr_count 2
		.amdhsa_user_sgpr_dispatch_ptr 0
		.amdhsa_user_sgpr_queue_ptr 0
		.amdhsa_user_sgpr_kernarg_segment_ptr 1
		.amdhsa_user_sgpr_dispatch_id 0
		.amdhsa_user_sgpr_kernarg_preload_length 0
		.amdhsa_user_sgpr_kernarg_preload_offset 0
		.amdhsa_user_sgpr_private_segment_size 0
		.amdhsa_uses_dynamic_stack 0
		.amdhsa_enable_private_segment 0
		.amdhsa_system_sgpr_workgroup_id_x 1
		.amdhsa_system_sgpr_workgroup_id_y 0
		.amdhsa_system_sgpr_workgroup_id_z 0
		.amdhsa_system_sgpr_workgroup_info 0
		.amdhsa_system_vgpr_workitem_id 0
		.amdhsa_next_free_vgpr 19
		.amdhsa_next_free_sgpr 21
		.amdhsa_accum_offset 20
		.amdhsa_reserve_vcc 1
		.amdhsa_float_round_mode_32 0
		.amdhsa_float_round_mode_16_64 0
		.amdhsa_float_denorm_mode_32 3
		.amdhsa_float_denorm_mode_16_64 3
		.amdhsa_dx10_clamp 1
		.amdhsa_ieee_mode 1
		.amdhsa_fp16_overflow 0
		.amdhsa_tg_split 0
		.amdhsa_exception_fp_ieee_invalid_op 0
		.amdhsa_exception_fp_denorm_src 0
		.amdhsa_exception_fp_ieee_div_zero 0
		.amdhsa_exception_fp_ieee_overflow 0
		.amdhsa_exception_fp_ieee_underflow 0
		.amdhsa_exception_fp_ieee_inexact 0
		.amdhsa_exception_int_div_zero 0
	.end_amdhsa_kernel
	.section	.text._ZN7rocprim17ROCPRIM_304000_NS6detail16transform_kernelINS1_24wrapped_transform_configINS0_14default_configEaEEaPaS6_NS0_8identityIaEEEEvT1_mT2_T3_,"axG",@progbits,_ZN7rocprim17ROCPRIM_304000_NS6detail16transform_kernelINS1_24wrapped_transform_configINS0_14default_configEaEEaPaS6_NS0_8identityIaEEEEvT1_mT2_T3_,comdat
.Lfunc_end31:
	.size	_ZN7rocprim17ROCPRIM_304000_NS6detail16transform_kernelINS1_24wrapped_transform_configINS0_14default_configEaEEaPaS6_NS0_8identityIaEEEEvT1_mT2_T3_, .Lfunc_end31-_ZN7rocprim17ROCPRIM_304000_NS6detail16transform_kernelINS1_24wrapped_transform_configINS0_14default_configEaEEaPaS6_NS0_8identityIaEEEEvT1_mT2_T3_
                                        ; -- End function
	.set _ZN7rocprim17ROCPRIM_304000_NS6detail16transform_kernelINS1_24wrapped_transform_configINS0_14default_configEaEEaPaS6_NS0_8identityIaEEEEvT1_mT2_T3_.num_vgpr, 19
	.set _ZN7rocprim17ROCPRIM_304000_NS6detail16transform_kernelINS1_24wrapped_transform_configINS0_14default_configEaEEaPaS6_NS0_8identityIaEEEEvT1_mT2_T3_.num_agpr, 0
	.set _ZN7rocprim17ROCPRIM_304000_NS6detail16transform_kernelINS1_24wrapped_transform_configINS0_14default_configEaEEaPaS6_NS0_8identityIaEEEEvT1_mT2_T3_.numbered_sgpr, 21
	.set _ZN7rocprim17ROCPRIM_304000_NS6detail16transform_kernelINS1_24wrapped_transform_configINS0_14default_configEaEEaPaS6_NS0_8identityIaEEEEvT1_mT2_T3_.num_named_barrier, 0
	.set _ZN7rocprim17ROCPRIM_304000_NS6detail16transform_kernelINS1_24wrapped_transform_configINS0_14default_configEaEEaPaS6_NS0_8identityIaEEEEvT1_mT2_T3_.private_seg_size, 0
	.set _ZN7rocprim17ROCPRIM_304000_NS6detail16transform_kernelINS1_24wrapped_transform_configINS0_14default_configEaEEaPaS6_NS0_8identityIaEEEEvT1_mT2_T3_.uses_vcc, 1
	.set _ZN7rocprim17ROCPRIM_304000_NS6detail16transform_kernelINS1_24wrapped_transform_configINS0_14default_configEaEEaPaS6_NS0_8identityIaEEEEvT1_mT2_T3_.uses_flat_scratch, 0
	.set _ZN7rocprim17ROCPRIM_304000_NS6detail16transform_kernelINS1_24wrapped_transform_configINS0_14default_configEaEEaPaS6_NS0_8identityIaEEEEvT1_mT2_T3_.has_dyn_sized_stack, 0
	.set _ZN7rocprim17ROCPRIM_304000_NS6detail16transform_kernelINS1_24wrapped_transform_configINS0_14default_configEaEEaPaS6_NS0_8identityIaEEEEvT1_mT2_T3_.has_recursion, 0
	.set _ZN7rocprim17ROCPRIM_304000_NS6detail16transform_kernelINS1_24wrapped_transform_configINS0_14default_configEaEEaPaS6_NS0_8identityIaEEEEvT1_mT2_T3_.has_indirect_call, 0
	.section	.AMDGPU.csdata,"",@progbits
; Kernel info:
; codeLenInByte = 1196
; TotalNumSgprs: 27
; NumVgprs: 19
; NumAgprs: 0
; TotalNumVgprs: 19
; ScratchSize: 0
; MemoryBound: 0
; FloatMode: 240
; IeeeMode: 1
; LDSByteSize: 0 bytes/workgroup (compile time only)
; SGPRBlocks: 3
; VGPRBlocks: 2
; NumSGPRsForWavesPerEU: 27
; NumVGPRsForWavesPerEU: 19
; AccumOffset: 20
; Occupancy: 8
; WaveLimiterHint : 1
; COMPUTE_PGM_RSRC2:SCRATCH_EN: 0
; COMPUTE_PGM_RSRC2:USER_SGPR: 2
; COMPUTE_PGM_RSRC2:TRAP_HANDLER: 0
; COMPUTE_PGM_RSRC2:TGID_X_EN: 1
; COMPUTE_PGM_RSRC2:TGID_Y_EN: 0
; COMPUTE_PGM_RSRC2:TGID_Z_EN: 0
; COMPUTE_PGM_RSRC2:TIDIG_COMP_CNT: 0
; COMPUTE_PGM_RSRC3_GFX90A:ACCUM_OFFSET: 4
; COMPUTE_PGM_RSRC3_GFX90A:TG_SPLIT: 0
	.section	.text._ZN7rocprim17ROCPRIM_304000_NS6detail45device_block_merge_mergepath_partition_kernelINS1_37wrapped_merge_sort_block_merge_configINS0_14default_configEaN2at4cuda3cub6detail10OpaqueTypeILi8EEEEEPajNS1_19radix_merge_compareILb1ELb1EaNS0_19identity_decomposerEEEEEvT0_T1_jPSH_T2_SH_,"axG",@progbits,_ZN7rocprim17ROCPRIM_304000_NS6detail45device_block_merge_mergepath_partition_kernelINS1_37wrapped_merge_sort_block_merge_configINS0_14default_configEaN2at4cuda3cub6detail10OpaqueTypeILi8EEEEEPajNS1_19radix_merge_compareILb1ELb1EaNS0_19identity_decomposerEEEEEvT0_T1_jPSH_T2_SH_,comdat
	.protected	_ZN7rocprim17ROCPRIM_304000_NS6detail45device_block_merge_mergepath_partition_kernelINS1_37wrapped_merge_sort_block_merge_configINS0_14default_configEaN2at4cuda3cub6detail10OpaqueTypeILi8EEEEEPajNS1_19radix_merge_compareILb1ELb1EaNS0_19identity_decomposerEEEEEvT0_T1_jPSH_T2_SH_ ; -- Begin function _ZN7rocprim17ROCPRIM_304000_NS6detail45device_block_merge_mergepath_partition_kernelINS1_37wrapped_merge_sort_block_merge_configINS0_14default_configEaN2at4cuda3cub6detail10OpaqueTypeILi8EEEEEPajNS1_19radix_merge_compareILb1ELb1EaNS0_19identity_decomposerEEEEEvT0_T1_jPSH_T2_SH_
	.globl	_ZN7rocprim17ROCPRIM_304000_NS6detail45device_block_merge_mergepath_partition_kernelINS1_37wrapped_merge_sort_block_merge_configINS0_14default_configEaN2at4cuda3cub6detail10OpaqueTypeILi8EEEEEPajNS1_19radix_merge_compareILb1ELb1EaNS0_19identity_decomposerEEEEEvT0_T1_jPSH_T2_SH_
	.p2align	8
	.type	_ZN7rocprim17ROCPRIM_304000_NS6detail45device_block_merge_mergepath_partition_kernelINS1_37wrapped_merge_sort_block_merge_configINS0_14default_configEaN2at4cuda3cub6detail10OpaqueTypeILi8EEEEEPajNS1_19radix_merge_compareILb1ELb1EaNS0_19identity_decomposerEEEEEvT0_T1_jPSH_T2_SH_,@function
_ZN7rocprim17ROCPRIM_304000_NS6detail45device_block_merge_mergepath_partition_kernelINS1_37wrapped_merge_sort_block_merge_configINS0_14default_configEaN2at4cuda3cub6detail10OpaqueTypeILi8EEEEEPajNS1_19radix_merge_compareILb1ELb1EaNS0_19identity_decomposerEEEEEvT0_T1_jPSH_T2_SH_: ; @_ZN7rocprim17ROCPRIM_304000_NS6detail45device_block_merge_mergepath_partition_kernelINS1_37wrapped_merge_sort_block_merge_configINS0_14default_configEaN2at4cuda3cub6detail10OpaqueTypeILi8EEEEEPajNS1_19radix_merge_compareILb1ELb1EaNS0_19identity_decomposerEEEEEvT0_T1_jPSH_T2_SH_
; %bb.0:
	s_load_dwordx2 s[4:5], s[0:1], 0x8
	v_lshl_or_b32 v0, s2, 7, v0
	s_waitcnt lgkmcnt(0)
	v_cmp_gt_u32_e32 vcc, s5, v0
	s_and_saveexec_b64 s[2:3], vcc
	s_cbranch_execz .LBB32_6
; %bb.1:
	s_load_dwordx2 s[2:3], s[0:1], 0x18
	s_waitcnt lgkmcnt(0)
	s_lshr_b32 s5, s3, 9
	s_and_b32 s5, s5, 0x7ffffe
	s_add_i32 s6, s5, -1
	s_sub_i32 s5, 0, s5
	v_and_b32_e32 v1, s5, v0
	v_and_b32_e32 v2, s6, v0
	v_lshlrev_b32_e32 v1, 10, v1
	v_lshlrev_b32_e32 v3, 10, v2
	v_min_u32_e32 v2, s4, v1
	v_add_u32_e32 v1, s3, v1
	v_min_u32_e32 v4, s4, v1
	v_add_u32_e32 v1, s3, v4
	v_min_u32_e32 v1, s4, v1
	v_sub_u32_e32 v5, v1, v2
	v_min_u32_e32 v10, v5, v3
	v_sub_u32_e32 v3, v4, v2
	v_sub_u32_e32 v1, v1, v4
	v_sub_u32_e64 v1, v10, v1 clamp
	v_min_u32_e32 v11, v10, v3
	v_cmp_lt_u32_e32 vcc, v1, v11
	s_and_saveexec_b64 s[4:5], vcc
	s_cbranch_execz .LBB32_5
; %bb.2:
	s_load_dwordx2 s[6:7], s[0:1], 0x0
	v_mov_b32_e32 v5, 0
	v_mov_b32_e32 v3, v5
	s_waitcnt lgkmcnt(0)
	v_lshl_add_u64 v[6:7], s[6:7], 0, v[2:3]
	v_lshl_add_u64 v[8:9], s[6:7], 0, v[4:5]
	s_mov_b64 s[6:7], 0
.LBB32_3:                               ; =>This Inner Loop Header: Depth=1
	v_add_u32_e32 v3, v11, v1
	v_lshrrev_b32_e32 v4, 1, v3
	v_mov_b32_e32 v13, v5
	v_xad_u32 v12, v4, -1, v10
	v_lshl_add_u64 v[14:15], v[6:7], 0, v[4:5]
	v_lshl_add_u64 v[12:13], v[8:9], 0, v[12:13]
	global_load_ubyte v3, v[14:15], off
	global_load_ubyte v16, v[12:13], off
	v_add_u32_e32 v12, 1, v4
	s_waitcnt vmcnt(1)
	v_and_b32_e32 v3, s2, v3
	s_waitcnt vmcnt(0)
	v_and_b32_e32 v13, s2, v16
	v_cmp_gt_i16_sdwa vcc, sext(v13), sext(v3) src0_sel:BYTE_0 src1_sel:BYTE_0
	s_nop 1
	v_cndmask_b32_e32 v11, v11, v4, vcc
	v_cndmask_b32_e32 v1, v12, v1, vcc
	v_cmp_ge_u32_e32 vcc, v1, v11
	s_or_b64 s[6:7], vcc, s[6:7]
	s_andn2_b64 exec, exec, s[6:7]
	s_cbranch_execnz .LBB32_3
; %bb.4:
	s_or_b64 exec, exec, s[6:7]
.LBB32_5:
	s_or_b64 exec, exec, s[4:5]
	s_load_dwordx2 s[0:1], s[0:1], 0x10
	v_add_u32_e32 v2, v1, v2
	v_mov_b32_e32 v1, 0
	s_waitcnt lgkmcnt(0)
	v_lshl_add_u64 v[0:1], v[0:1], 2, s[0:1]
	global_store_dword v[0:1], v2, off
.LBB32_6:
	s_endpgm
	.section	.rodata,"a",@progbits
	.p2align	6, 0x0
	.amdhsa_kernel _ZN7rocprim17ROCPRIM_304000_NS6detail45device_block_merge_mergepath_partition_kernelINS1_37wrapped_merge_sort_block_merge_configINS0_14default_configEaN2at4cuda3cub6detail10OpaqueTypeILi8EEEEEPajNS1_19radix_merge_compareILb1ELb1EaNS0_19identity_decomposerEEEEEvT0_T1_jPSH_T2_SH_
		.amdhsa_group_segment_fixed_size 0
		.amdhsa_private_segment_fixed_size 0
		.amdhsa_kernarg_size 32
		.amdhsa_user_sgpr_count 2
		.amdhsa_user_sgpr_dispatch_ptr 0
		.amdhsa_user_sgpr_queue_ptr 0
		.amdhsa_user_sgpr_kernarg_segment_ptr 1
		.amdhsa_user_sgpr_dispatch_id 0
		.amdhsa_user_sgpr_kernarg_preload_length 0
		.amdhsa_user_sgpr_kernarg_preload_offset 0
		.amdhsa_user_sgpr_private_segment_size 0
		.amdhsa_uses_dynamic_stack 0
		.amdhsa_enable_private_segment 0
		.amdhsa_system_sgpr_workgroup_id_x 1
		.amdhsa_system_sgpr_workgroup_id_y 0
		.amdhsa_system_sgpr_workgroup_id_z 0
		.amdhsa_system_sgpr_workgroup_info 0
		.amdhsa_system_vgpr_workitem_id 0
		.amdhsa_next_free_vgpr 17
		.amdhsa_next_free_sgpr 8
		.amdhsa_accum_offset 20
		.amdhsa_reserve_vcc 1
		.amdhsa_float_round_mode_32 0
		.amdhsa_float_round_mode_16_64 0
		.amdhsa_float_denorm_mode_32 3
		.amdhsa_float_denorm_mode_16_64 3
		.amdhsa_dx10_clamp 1
		.amdhsa_ieee_mode 1
		.amdhsa_fp16_overflow 0
		.amdhsa_tg_split 0
		.amdhsa_exception_fp_ieee_invalid_op 0
		.amdhsa_exception_fp_denorm_src 0
		.amdhsa_exception_fp_ieee_div_zero 0
		.amdhsa_exception_fp_ieee_overflow 0
		.amdhsa_exception_fp_ieee_underflow 0
		.amdhsa_exception_fp_ieee_inexact 0
		.amdhsa_exception_int_div_zero 0
	.end_amdhsa_kernel
	.section	.text._ZN7rocprim17ROCPRIM_304000_NS6detail45device_block_merge_mergepath_partition_kernelINS1_37wrapped_merge_sort_block_merge_configINS0_14default_configEaN2at4cuda3cub6detail10OpaqueTypeILi8EEEEEPajNS1_19radix_merge_compareILb1ELb1EaNS0_19identity_decomposerEEEEEvT0_T1_jPSH_T2_SH_,"axG",@progbits,_ZN7rocprim17ROCPRIM_304000_NS6detail45device_block_merge_mergepath_partition_kernelINS1_37wrapped_merge_sort_block_merge_configINS0_14default_configEaN2at4cuda3cub6detail10OpaqueTypeILi8EEEEEPajNS1_19radix_merge_compareILb1ELb1EaNS0_19identity_decomposerEEEEEvT0_T1_jPSH_T2_SH_,comdat
.Lfunc_end32:
	.size	_ZN7rocprim17ROCPRIM_304000_NS6detail45device_block_merge_mergepath_partition_kernelINS1_37wrapped_merge_sort_block_merge_configINS0_14default_configEaN2at4cuda3cub6detail10OpaqueTypeILi8EEEEEPajNS1_19radix_merge_compareILb1ELb1EaNS0_19identity_decomposerEEEEEvT0_T1_jPSH_T2_SH_, .Lfunc_end32-_ZN7rocprim17ROCPRIM_304000_NS6detail45device_block_merge_mergepath_partition_kernelINS1_37wrapped_merge_sort_block_merge_configINS0_14default_configEaN2at4cuda3cub6detail10OpaqueTypeILi8EEEEEPajNS1_19radix_merge_compareILb1ELb1EaNS0_19identity_decomposerEEEEEvT0_T1_jPSH_T2_SH_
                                        ; -- End function
	.set _ZN7rocprim17ROCPRIM_304000_NS6detail45device_block_merge_mergepath_partition_kernelINS1_37wrapped_merge_sort_block_merge_configINS0_14default_configEaN2at4cuda3cub6detail10OpaqueTypeILi8EEEEEPajNS1_19radix_merge_compareILb1ELb1EaNS0_19identity_decomposerEEEEEvT0_T1_jPSH_T2_SH_.num_vgpr, 17
	.set _ZN7rocprim17ROCPRIM_304000_NS6detail45device_block_merge_mergepath_partition_kernelINS1_37wrapped_merge_sort_block_merge_configINS0_14default_configEaN2at4cuda3cub6detail10OpaqueTypeILi8EEEEEPajNS1_19radix_merge_compareILb1ELb1EaNS0_19identity_decomposerEEEEEvT0_T1_jPSH_T2_SH_.num_agpr, 0
	.set _ZN7rocprim17ROCPRIM_304000_NS6detail45device_block_merge_mergepath_partition_kernelINS1_37wrapped_merge_sort_block_merge_configINS0_14default_configEaN2at4cuda3cub6detail10OpaqueTypeILi8EEEEEPajNS1_19radix_merge_compareILb1ELb1EaNS0_19identity_decomposerEEEEEvT0_T1_jPSH_T2_SH_.numbered_sgpr, 8
	.set _ZN7rocprim17ROCPRIM_304000_NS6detail45device_block_merge_mergepath_partition_kernelINS1_37wrapped_merge_sort_block_merge_configINS0_14default_configEaN2at4cuda3cub6detail10OpaqueTypeILi8EEEEEPajNS1_19radix_merge_compareILb1ELb1EaNS0_19identity_decomposerEEEEEvT0_T1_jPSH_T2_SH_.num_named_barrier, 0
	.set _ZN7rocprim17ROCPRIM_304000_NS6detail45device_block_merge_mergepath_partition_kernelINS1_37wrapped_merge_sort_block_merge_configINS0_14default_configEaN2at4cuda3cub6detail10OpaqueTypeILi8EEEEEPajNS1_19radix_merge_compareILb1ELb1EaNS0_19identity_decomposerEEEEEvT0_T1_jPSH_T2_SH_.private_seg_size, 0
	.set _ZN7rocprim17ROCPRIM_304000_NS6detail45device_block_merge_mergepath_partition_kernelINS1_37wrapped_merge_sort_block_merge_configINS0_14default_configEaN2at4cuda3cub6detail10OpaqueTypeILi8EEEEEPajNS1_19radix_merge_compareILb1ELb1EaNS0_19identity_decomposerEEEEEvT0_T1_jPSH_T2_SH_.uses_vcc, 1
	.set _ZN7rocprim17ROCPRIM_304000_NS6detail45device_block_merge_mergepath_partition_kernelINS1_37wrapped_merge_sort_block_merge_configINS0_14default_configEaN2at4cuda3cub6detail10OpaqueTypeILi8EEEEEPajNS1_19radix_merge_compareILb1ELb1EaNS0_19identity_decomposerEEEEEvT0_T1_jPSH_T2_SH_.uses_flat_scratch, 0
	.set _ZN7rocprim17ROCPRIM_304000_NS6detail45device_block_merge_mergepath_partition_kernelINS1_37wrapped_merge_sort_block_merge_configINS0_14default_configEaN2at4cuda3cub6detail10OpaqueTypeILi8EEEEEPajNS1_19radix_merge_compareILb1ELb1EaNS0_19identity_decomposerEEEEEvT0_T1_jPSH_T2_SH_.has_dyn_sized_stack, 0
	.set _ZN7rocprim17ROCPRIM_304000_NS6detail45device_block_merge_mergepath_partition_kernelINS1_37wrapped_merge_sort_block_merge_configINS0_14default_configEaN2at4cuda3cub6detail10OpaqueTypeILi8EEEEEPajNS1_19radix_merge_compareILb1ELb1EaNS0_19identity_decomposerEEEEEvT0_T1_jPSH_T2_SH_.has_recursion, 0
	.set _ZN7rocprim17ROCPRIM_304000_NS6detail45device_block_merge_mergepath_partition_kernelINS1_37wrapped_merge_sort_block_merge_configINS0_14default_configEaN2at4cuda3cub6detail10OpaqueTypeILi8EEEEEPajNS1_19radix_merge_compareILb1ELb1EaNS0_19identity_decomposerEEEEEvT0_T1_jPSH_T2_SH_.has_indirect_call, 0
	.section	.AMDGPU.csdata,"",@progbits
; Kernel info:
; codeLenInByte = 336
; TotalNumSgprs: 14
; NumVgprs: 17
; NumAgprs: 0
; TotalNumVgprs: 17
; ScratchSize: 0
; MemoryBound: 0
; FloatMode: 240
; IeeeMode: 1
; LDSByteSize: 0 bytes/workgroup (compile time only)
; SGPRBlocks: 1
; VGPRBlocks: 2
; NumSGPRsForWavesPerEU: 14
; NumVGPRsForWavesPerEU: 17
; AccumOffset: 20
; Occupancy: 8
; WaveLimiterHint : 0
; COMPUTE_PGM_RSRC2:SCRATCH_EN: 0
; COMPUTE_PGM_RSRC2:USER_SGPR: 2
; COMPUTE_PGM_RSRC2:TRAP_HANDLER: 0
; COMPUTE_PGM_RSRC2:TGID_X_EN: 1
; COMPUTE_PGM_RSRC2:TGID_Y_EN: 0
; COMPUTE_PGM_RSRC2:TGID_Z_EN: 0
; COMPUTE_PGM_RSRC2:TIDIG_COMP_CNT: 0
; COMPUTE_PGM_RSRC3_GFX90A:ACCUM_OFFSET: 4
; COMPUTE_PGM_RSRC3_GFX90A:TG_SPLIT: 0
	.section	.text._ZN7rocprim17ROCPRIM_304000_NS6detail35device_block_merge_mergepath_kernelINS1_37wrapped_merge_sort_block_merge_configINS0_14default_configEaN2at4cuda3cub6detail10OpaqueTypeILi8EEEEEPaSC_PSA_SD_jNS1_19radix_merge_compareILb1ELb1EaNS0_19identity_decomposerEEEEEvT0_T1_T2_T3_T4_SL_jT5_PKSL_NS1_7vsmem_tE,"axG",@progbits,_ZN7rocprim17ROCPRIM_304000_NS6detail35device_block_merge_mergepath_kernelINS1_37wrapped_merge_sort_block_merge_configINS0_14default_configEaN2at4cuda3cub6detail10OpaqueTypeILi8EEEEEPaSC_PSA_SD_jNS1_19radix_merge_compareILb1ELb1EaNS0_19identity_decomposerEEEEEvT0_T1_T2_T3_T4_SL_jT5_PKSL_NS1_7vsmem_tE,comdat
	.protected	_ZN7rocprim17ROCPRIM_304000_NS6detail35device_block_merge_mergepath_kernelINS1_37wrapped_merge_sort_block_merge_configINS0_14default_configEaN2at4cuda3cub6detail10OpaqueTypeILi8EEEEEPaSC_PSA_SD_jNS1_19radix_merge_compareILb1ELb1EaNS0_19identity_decomposerEEEEEvT0_T1_T2_T3_T4_SL_jT5_PKSL_NS1_7vsmem_tE ; -- Begin function _ZN7rocprim17ROCPRIM_304000_NS6detail35device_block_merge_mergepath_kernelINS1_37wrapped_merge_sort_block_merge_configINS0_14default_configEaN2at4cuda3cub6detail10OpaqueTypeILi8EEEEEPaSC_PSA_SD_jNS1_19radix_merge_compareILb1ELb1EaNS0_19identity_decomposerEEEEEvT0_T1_T2_T3_T4_SL_jT5_PKSL_NS1_7vsmem_tE
	.globl	_ZN7rocprim17ROCPRIM_304000_NS6detail35device_block_merge_mergepath_kernelINS1_37wrapped_merge_sort_block_merge_configINS0_14default_configEaN2at4cuda3cub6detail10OpaqueTypeILi8EEEEEPaSC_PSA_SD_jNS1_19radix_merge_compareILb1ELb1EaNS0_19identity_decomposerEEEEEvT0_T1_T2_T3_T4_SL_jT5_PKSL_NS1_7vsmem_tE
	.p2align	8
	.type	_ZN7rocprim17ROCPRIM_304000_NS6detail35device_block_merge_mergepath_kernelINS1_37wrapped_merge_sort_block_merge_configINS0_14default_configEaN2at4cuda3cub6detail10OpaqueTypeILi8EEEEEPaSC_PSA_SD_jNS1_19radix_merge_compareILb1ELb1EaNS0_19identity_decomposerEEEEEvT0_T1_T2_T3_T4_SL_jT5_PKSL_NS1_7vsmem_tE,@function
_ZN7rocprim17ROCPRIM_304000_NS6detail35device_block_merge_mergepath_kernelINS1_37wrapped_merge_sort_block_merge_configINS0_14default_configEaN2at4cuda3cub6detail10OpaqueTypeILi8EEEEEPaSC_PSA_SD_jNS1_19radix_merge_compareILb1ELb1EaNS0_19identity_decomposerEEEEEvT0_T1_T2_T3_T4_SL_jT5_PKSL_NS1_7vsmem_tE: ; @_ZN7rocprim17ROCPRIM_304000_NS6detail35device_block_merge_mergepath_kernelINS1_37wrapped_merge_sort_block_merge_configINS0_14default_configEaN2at4cuda3cub6detail10OpaqueTypeILi8EEEEEPaSC_PSA_SD_jNS1_19radix_merge_compareILb1ELb1EaNS0_19identity_decomposerEEEEEvT0_T1_T2_T3_T4_SL_jT5_PKSL_NS1_7vsmem_tE
; %bb.0:
	s_load_dwordx2 s[26:27], s[0:1], 0x40
	s_load_dwordx4 s[12:15], s[0:1], 0x20
	s_add_u32 s24, s0, 64
	s_addc_u32 s25, s1, 0
	s_waitcnt lgkmcnt(0)
	s_mul_i32 s4, s27, s4
	s_add_i32 s3, s4, s3
	s_mul_i32 s3, s3, s26
	s_add_i32 s22, s3, s2
	s_cmp_ge_u32 s22, s14
	s_cbranch_scc1 .LBB33_51
; %bb.1:
	s_load_dwordx8 s[4:11], s[0:1], 0x0
	s_load_dwordx2 s[18:19], s[0:1], 0x30
	s_lshr_b32 s14, s12, 10
	s_cmp_lg_u32 s22, s14
	s_mov_b32 s23, 0
	s_cselect_b64 s[16:17], -1, 0
	s_lshl_b64 s[0:1], s[22:23], 2
	s_waitcnt lgkmcnt(0)
	s_add_u32 s0, s18, s0
	s_addc_u32 s1, s19, s1
	s_load_dwordx2 s[18:19], s[0:1], 0x0
	s_lshr_b32 s0, s13, 9
	s_and_b32 s0, s0, 0x7ffffe
	s_sub_i32 s0, 0, s0
	s_and_b32 s1, s22, s0
	s_lshl_b32 s3, s1, 10
	s_lshl_b32 s27, s22, 10
	;; [unrolled: 1-line block ×3, first 2 shown]
	s_sub_i32 s20, s27, s3
	s_add_i32 s1, s1, s13
	s_add_i32 s21, s1, s20
	s_waitcnt lgkmcnt(0)
	s_sub_i32 s20, s21, s18
	s_sub_i32 s21, s21, s19
	;; [unrolled: 1-line block ×3, first 2 shown]
	s_min_u32 s20, s12, s20
	s_addk_i32 s21, 0x400
	s_or_b32 s0, s22, s0
	s_min_u32 s3, s12, s1
	s_add_i32 s1, s1, s13
	s_cmp_eq_u32 s0, -1
	s_cselect_b32 s0, s1, s21
	s_cselect_b32 s1, s3, s19
	s_min_u32 s0, s0, s12
	s_sub_i32 s13, s1, s18
	s_sub_i32 s28, s0, s20
	s_add_u32 s0, s4, s18
	s_addc_u32 s1, s5, 0
	s_add_u32 s4, s4, s20
	s_addc_u32 s5, s5, 0
	s_cmp_lt_u32 s2, s26
	v_mov_b32_e32 v1, 0
	s_cselect_b32 s2, 12, 18
	global_load_dword v2, v1, s[24:25] offset:14
	s_add_u32 s2, s24, s2
	s_addc_u32 s3, s25, 0
	global_load_ushort v3, v1, s[2:3]
	s_mov_b32 s19, s23
	s_mov_b32 s21, s23
	s_cmp_eq_u32 s22, s14
	s_waitcnt vmcnt(1)
	v_lshrrev_b32_e32 v4, 16, v2
	v_and_b32_e32 v2, 0xffff, v2
	v_mul_lo_u32 v2, v2, v4
	s_waitcnt vmcnt(0)
	v_mul_lo_u32 v2, v2, v3
	v_add_u32_e32 v2, v2, v0
	s_cbranch_scc1 .LBB33_3
; %bb.2:
	v_subrev_co_u32_e32 v6, vcc, s13, v0
	v_mov_b32_e32 v7, v1
	v_lshl_add_u64 v[4:5], s[0:1], 0, v[0:1]
	v_lshl_add_u64 v[6:7], s[4:5], 0, v[6:7]
	v_cndmask_b32_e32 v5, v7, v5, vcc
	v_cndmask_b32_e32 v4, v6, v4, vcc
	v_mov_b32_e32 v3, v1
	v_subrev_co_u32_e32 v8, vcc, s13, v2
	v_mov_b32_e32 v9, v1
	v_lshl_add_u64 v[6:7], s[0:1], 0, v[2:3]
	v_lshl_add_u64 v[8:9], s[4:5], 0, v[8:9]
	v_cndmask_b32_e32 v7, v9, v7, vcc
	v_cndmask_b32_e32 v6, v8, v6, vcc
	global_load_ubyte v1, v[4:5], off
	global_load_ubyte v3, v[6:7], off
	s_mov_b32 s14, 0xc0c0004
	s_add_i32 s22, s28, s13
	v_mov_b32_e32 v8, s22
	s_waitcnt vmcnt(0)
	v_perm_b32 v6, v1, v3, s14
	s_cbranch_execz .LBB33_4
	s_branch .LBB33_9
.LBB33_3:
                                        ; implicit-def: $vgpr6
                                        ; implicit-def: $vgpr8
.LBB33_4:
	s_add_i32 s14, s28, s13
	v_cmp_gt_u32_e32 vcc, s14, v0
	v_mov_b32_e32 v6, 0
	s_and_saveexec_b64 s[2:3], vcc
	s_cbranch_execz .LBB33_6
; %bb.5:
	v_mov_b32_e32 v1, 0
	v_subrev_co_u32_e32 v6, vcc, s13, v0
	v_mov_b32_e32 v7, v1
	v_lshl_add_u64 v[4:5], s[0:1], 0, v[0:1]
	v_lshl_add_u64 v[6:7], s[4:5], 0, v[6:7]
	v_cndmask_b32_e32 v5, v7, v5, vcc
	v_cndmask_b32_e32 v4, v6, v4, vcc
	global_load_ubyte v6, v[4:5], off
.LBB33_6:
	s_or_b64 exec, exec, s[2:3]
	v_cmp_gt_u32_e32 vcc, s14, v2
	s_and_saveexec_b64 s[2:3], vcc
	s_cbranch_execz .LBB33_8
; %bb.7:
	v_mov_b32_e32 v3, 0
	v_lshl_add_u64 v[4:5], s[0:1], 0, v[2:3]
	v_subrev_co_u32_e32 v2, vcc, s13, v2
	v_lshl_add_u64 v[2:3], s[4:5], 0, v[2:3]
	s_nop 0
	v_cndmask_b32_e32 v3, v3, v5, vcc
	v_cndmask_b32_e32 v2, v2, v4, vcc
	global_load_ubyte v1, v[2:3], off
	s_waitcnt vmcnt(0)
	v_lshlrev_b16_e32 v1, 8, v1
	v_or_b32_e32 v1, v6, v1
	v_and_b32_e32 v6, 0xffff, v1
.LBB33_8:
	s_or_b64 exec, exec, s[2:3]
	v_mov_b32_e32 v8, s14
.LBB33_9:
	v_lshlrev_b32_e32 v7, 1, v0
	s_waitcnt vmcnt(0)
	v_lshrrev_b16_e32 v1, 8, v6
	v_min_u32_e32 v2, v8, v7
	ds_write_b8 v0, v1 offset:512
	v_sub_u32_e64 v1, v2, s28 clamp
	v_min_u32_e32 v3, s13, v2
	v_cmp_lt_u32_e32 vcc, v1, v3
	ds_write_b8 v0, v6
	s_waitcnt lgkmcnt(0)
	s_barrier
	s_and_saveexec_b64 s[0:1], vcc
	s_cbranch_execz .LBB33_13
; %bb.10:
	v_add_u32_e32 v4, s13, v2
	s_mov_b64 s[2:3], 0
.LBB33_11:                              ; =>This Inner Loop Header: Depth=1
	v_add_u32_e32 v5, v3, v1
	v_lshrrev_b32_e32 v5, 1, v5
	v_xad_u32 v9, v5, -1, v4
	ds_read_u8 v10, v5
	ds_read_u8 v9, v9
	v_add_u32_e32 v11, 1, v5
	s_waitcnt lgkmcnt(1)
	v_and_b32_e32 v10, s15, v10
	s_waitcnt lgkmcnt(0)
	v_and_b32_e32 v9, s15, v9
	v_cmp_gt_i16_sdwa vcc, sext(v9), sext(v10) src0_sel:BYTE_0 src1_sel:BYTE_0
	s_nop 1
	v_cndmask_b32_e32 v3, v3, v5, vcc
	v_cndmask_b32_e32 v1, v11, v1, vcc
	v_cmp_ge_u32_e32 vcc, v1, v3
	s_or_b64 s[2:3], vcc, s[2:3]
	s_andn2_b64 exec, exec, s[2:3]
	s_cbranch_execnz .LBB33_11
; %bb.12:
	s_or_b64 exec, exec, s[2:3]
.LBB33_13:
	s_or_b64 exec, exec, s[0:1]
	v_sub_u32_e32 v2, v2, v1
	v_add_u32_e32 v2, s13, v2
	v_cmp_ge_u32_e32 vcc, s13, v1
	v_cmp_le_u32_e64 s[0:1], v2, v8
	s_or_b64 s[0:1], vcc, s[0:1]
	v_mov_b32_e32 v9, 0
	v_mov_b32_e32 v10, 0
	s_and_saveexec_b64 s[4:5], s[0:1]
	s_cbranch_execz .LBB33_19
; %bb.14:
	v_cmp_gt_u32_e32 vcc, s13, v1
                                        ; implicit-def: $vgpr3
	s_and_saveexec_b64 s[0:1], vcc
; %bb.15:
	ds_read_u8 v3, v1
; %bb.16:
	s_or_b64 exec, exec, s[0:1]
	v_cmp_ge_u32_e64 s[0:1], v2, v8
	v_cmp_lt_u32_e64 s[2:3], v2, v8
                                        ; implicit-def: $vgpr4
	s_and_saveexec_b64 s[22:23], s[2:3]
; %bb.17:
	ds_read_u8 v4, v2
; %bb.18:
	s_or_b64 exec, exec, s[22:23]
	s_waitcnt lgkmcnt(0)
	v_and_b32_e32 v5, s15, v4
	v_and_b32_e32 v6, s15, v3
	v_cmp_le_i16_sdwa s[2:3], sext(v5), sext(v6) src0_sel:BYTE_0 src1_sel:BYTE_0
	s_and_b64 s[2:3], vcc, s[2:3]
	s_or_b64 vcc, s[0:1], s[2:3]
	v_mov_b32_e32 v5, s13
	v_cndmask_b32_e32 v10, v2, v1, vcc
	v_cndmask_b32_e32 v5, v8, v5, vcc
	v_add_u32_e32 v6, 1, v10
	v_add_u32_e32 v5, -1, v5
	v_min_u32_e32 v5, v6, v5
	ds_read_u8 v5, v5
	v_cndmask_b32_e32 v11, v4, v3, vcc
	v_cndmask_b32_e32 v2, v6, v2, vcc
	;; [unrolled: 1-line block ×3, first 2 shown]
	v_cmp_gt_u32_e64 s[0:1], s13, v1
	s_waitcnt lgkmcnt(0)
	v_cndmask_b32_e32 v4, v5, v4, vcc
	v_cndmask_b32_e32 v3, v3, v5, vcc
	v_and_b32_e32 v5, s15, v4
	v_and_b32_e32 v6, s15, v3
	v_cmp_le_i16_sdwa s[2:3], sext(v5), sext(v6) src0_sel:BYTE_0 src1_sel:BYTE_0
	v_cmp_ge_u32_e32 vcc, v2, v8
	s_and_b64 s[0:1], s[0:1], s[2:3]
	s_or_b64 vcc, vcc, s[0:1]
	v_cndmask_b32_e32 v9, v2, v1, vcc
	v_cndmask_b32_sdwa v1, v4, v3, vcc dst_sel:BYTE_1 dst_unused:UNUSED_PAD src0_sel:DWORD src1_sel:DWORD
	s_movk_i32 s0, 0xff
	v_bitop3_b16 v1, v11, v1, s0 bitop3:0xec
	v_and_b32_e32 v6, 0xffff, v1
.LBB33_19:
	s_or_b64 exec, exec, s[4:5]
	s_lshl_b64 s[0:1], s[18:19], 3
	s_add_u32 s14, s8, s0
	s_addc_u32 s15, s9, s1
	s_lshl_b64 s[0:1], s[20:21], 3
	s_add_u32 s8, s8, s0
	v_cndmask_b32_e64 v2, 0, 1, s[16:17]
	v_mov_b32_e32 v1, 0
	s_addc_u32 s9, s9, s1
	v_cmp_gt_u32_e64 s[4:5], s13, v0
	v_cmp_ne_u32_e64 s[0:1], 1, v2
	s_andn2_b64 vcc, exec, s[16:17]
	v_cmp_le_u32_e64 s[2:3], s13, v0
	s_barrier
	s_cbranch_vccnz .LBB33_21
; %bb.20:
	v_subrev_u32_e32 v4, s13, v0
	v_lshlrev_b32_e32 v2, 3, v0
	v_mov_b32_e32 v3, v1
	v_lshlrev_b32_e32 v4, 3, v4
	v_mov_b32_e32 v5, v1
	v_lshl_add_u64 v[2:3], s[14:15], 0, v[2:3]
	v_lshl_add_u64 v[4:5], s[8:9], 0, v[4:5]
	v_cndmask_b32_e64 v3, v5, v3, s[4:5]
	v_cndmask_b32_e64 v2, v4, v2, s[4:5]
	global_load_dwordx2 v[12:13], v[2:3], off
	v_or_b32_e32 v11, 0x200, v0
	v_mov_b32_e32 v2, s9
	v_mov_b32_e32 v3, s15
	;; [unrolled: 1-line block ×4, first 2 shown]
	v_subrev_u32_e32 v4, s13, v11
	v_cmp_gt_u32_e32 vcc, s13, v11
	v_mad_u32_u24 v5, v0, 7, v0
	s_nop 0
	v_cndmask_b32_e32 v3, v2, v3, vcc
	v_min_u32_e32 v4, v11, v4
	v_cndmask_b32_e32 v2, v14, v15, vcc
	s_mov_b64 s[4:5], -1
	s_waitcnt vmcnt(0)
	ds_write_b64 v5, v[12:13]
	s_cbranch_execz .LBB33_22
	s_branch .LBB33_31
.LBB33_21:
	s_mov_b64 s[4:5], 0
                                        ; implicit-def: $vgpr11
                                        ; implicit-def: $vgpr2_vgpr3
                                        ; implicit-def: $vgpr4
.LBB33_22:
	s_and_saveexec_b64 s[4:5], s[2:3]
	s_xor_b64 s[2:3], exec, s[4:5]
	s_cbranch_execz .LBB33_26
; %bb.23:
	v_subrev_u32_e32 v2, s13, v0
	v_cmp_gt_u32_e32 vcc, s28, v2
	s_and_saveexec_b64 s[4:5], vcc
	s_cbranch_execz .LBB33_25
; %bb.24:
	v_lshlrev_b32_e32 v2, 3, v2
	global_load_dwordx2 v[2:3], v2, s[8:9]
	v_mad_u32_u24 v4, v0, 7, v0
	s_waitcnt vmcnt(0)
	ds_write_b64 v4, v[2:3]
.LBB33_25:
	s_or_b64 exec, exec, s[4:5]
.LBB33_26:
	s_andn2_saveexec_b64 s[2:3], s[2:3]
	s_cbranch_execz .LBB33_28
; %bb.27:
	v_lshlrev_b32_e32 v2, 3, v0
	global_load_dwordx2 v[2:3], v2, s[14:15]
	v_mad_u32_u24 v4, v0, 7, v0
	s_waitcnt vmcnt(0)
	ds_write_b64 v4, v[2:3]
.LBB33_28:
	s_or_b64 exec, exec, s[2:3]
	v_or_b32_e32 v11, 0x200, v0
	v_cmp_le_u32_e32 vcc, s13, v11
	s_mov_b64 s[4:5], -1
	v_mov_b64_e32 v[2:3], s[14:15]
	v_mov_b32_e32 v4, v11
	s_and_saveexec_b64 s[2:3], vcc
; %bb.29:
	v_subrev_u32_e32 v4, s13, v11
	v_cmp_gt_u32_e32 vcc, s28, v4
	v_mov_b64_e32 v[2:3], s[8:9]
	s_orn2_b64 s[4:5], vcc, exec
; %bb.30:
	s_or_b64 exec, exec, s[2:3]
.LBB33_31:
	s_and_saveexec_b64 s[2:3], s[4:5]
	s_cbranch_execz .LBB33_33
; %bb.32:
	v_mov_b32_e32 v5, 0
	v_lshl_add_u64 v[2:3], v[4:5], 3, v[2:3]
	global_load_dwordx2 v[2:3], v[2:3], off
	v_lshlrev_b32_e32 v4, 3, v11
	s_waitcnt vmcnt(0)
	ds_write_b64 v4, v[2:3]
.LBB33_33:
	s_or_b64 exec, exec, s[2:3]
	s_and_b64 vcc, exec, s[0:1]
	v_add_u32_e32 v2, s27, v7
	s_waitcnt lgkmcnt(0)
	s_barrier
	s_cbranch_vccnz .LBB33_35
; %bb.34:
	v_lshlrev_b32_e32 v3, 3, v10
	ds_read_b64 v[4:5], v3
	v_mov_b32_e32 v3, 0
	v_lshl_add_u64 v[12:13], v[2:3], 3, s[10:11]
	s_mov_b64 s[0:1], -1
	s_waitcnt lgkmcnt(0)
	global_store_dwordx2 v[12:13], v[4:5], off
	s_cbranch_execz .LBB33_36
	s_branch .LBB33_41
.LBB33_35:
	s_mov_b64 s[0:1], 0
.LBB33_36:
	v_cmp_lt_u32_e32 vcc, v7, v8
	s_and_saveexec_b64 s[2:3], vcc
	s_cbranch_execz .LBB33_38
; %bb.37:
	v_lshlrev_b32_e32 v3, 3, v10
	ds_read_b64 v[4:5], v3
	v_mov_b32_e32 v3, 0
	v_lshl_add_u64 v[10:11], v[2:3], 3, s[10:11]
	s_waitcnt lgkmcnt(0)
	global_store_dwordx2 v[10:11], v[4:5], off
.LBB33_38:
	s_or_b64 exec, exec, s[2:3]
	v_or_b32_e32 v3, 1, v7
	v_cmp_lt_u32_e32 vcc, v3, v8
	s_and_saveexec_b64 s[2:3], vcc
; %bb.39:
	v_mov_b32_e32 v3, 0
	s_or_b64 s[0:1], s[0:1], exec
; %bb.40:
	s_or_b64 exec, exec, s[2:3]
.LBB33_41:
	s_and_saveexec_b64 s[2:3], s[0:1]
	s_cbranch_execz .LBB33_43
; %bb.42:
	v_lshlrev_b32_e32 v4, 3, v9
	ds_read_b64 v[4:5], v4
	v_lshl_add_u64 v[2:3], v[2:3], 3, s[10:11]
	s_waitcnt lgkmcnt(0)
	global_store_dwordx2 v[2:3], v[4:5], off offset:8
.LBB33_43:
	s_or_b64 exec, exec, s[2:3]
	v_lshrrev_b32_e32 v2, 4, v0
	v_and_b32_e32 v2, 28, v2
	v_add_u32_e32 v2, v2, v7
	s_barrier
	s_barrier
	ds_write_b16 v2, v6
	v_lshrrev_b32_e32 v2, 5, v0
	v_or_b32_e32 v4, 0x200, v0
	s_add_u32 s0, s6, s27
	v_and_b32_e32 v5, 12, v2
	v_lshrrev_b32_e32 v2, 5, v4
	s_addc_u32 s1, s7, 0
	v_and_b32_e32 v6, 28, v2
	v_lshl_add_u64 v[2:3], s[0:1], 0, v[0:1]
	s_and_b64 vcc, exec, s[16:17]
	v_add_u32_e32 v6, v6, v0
	s_waitcnt lgkmcnt(0)
	s_cbranch_vccz .LBB33_45
; %bb.44:
	v_add_u32_e32 v1, v5, v0
	s_barrier
	ds_read_u8 v7, v1
	ds_read_u8 v1, v6 offset:512
	s_mov_b64 s[0:1], -1
	s_waitcnt lgkmcnt(1)
	global_store_byte v[2:3], v7, off
	s_cbranch_execz .LBB33_46
	s_branch .LBB33_49
.LBB33_45:
	s_mov_b64 s[0:1], 0
                                        ; implicit-def: $vgpr1
.LBB33_46:
	s_barrier
	s_waitcnt lgkmcnt(0)
	ds_read_u8 v1, v6 offset:512
	s_sub_i32 s2, s12, s27
	v_cmp_gt_u32_e32 vcc, s2, v0
	s_and_saveexec_b64 s[0:1], vcc
	s_cbranch_execz .LBB33_48
; %bb.47:
	v_add_u32_e32 v0, v5, v0
	ds_read_u8 v0, v0
	s_waitcnt lgkmcnt(0)
	global_store_byte v[2:3], v0, off
.LBB33_48:
	s_or_b64 exec, exec, s[0:1]
	v_cmp_gt_u32_e64 s[0:1], s2, v4
.LBB33_49:
	s_and_saveexec_b64 s[2:3], s[0:1]
	s_cbranch_execz .LBB33_51
; %bb.50:
	s_waitcnt lgkmcnt(0)
	global_store_byte v[2:3], v1, off offset:512
.LBB33_51:
	s_endpgm
	.section	.rodata,"a",@progbits
	.p2align	6, 0x0
	.amdhsa_kernel _ZN7rocprim17ROCPRIM_304000_NS6detail35device_block_merge_mergepath_kernelINS1_37wrapped_merge_sort_block_merge_configINS0_14default_configEaN2at4cuda3cub6detail10OpaqueTypeILi8EEEEEPaSC_PSA_SD_jNS1_19radix_merge_compareILb1ELb1EaNS0_19identity_decomposerEEEEEvT0_T1_T2_T3_T4_SL_jT5_PKSL_NS1_7vsmem_tE
		.amdhsa_group_segment_fixed_size 8208
		.amdhsa_private_segment_fixed_size 0
		.amdhsa_kernarg_size 320
		.amdhsa_user_sgpr_count 2
		.amdhsa_user_sgpr_dispatch_ptr 0
		.amdhsa_user_sgpr_queue_ptr 0
		.amdhsa_user_sgpr_kernarg_segment_ptr 1
		.amdhsa_user_sgpr_dispatch_id 0
		.amdhsa_user_sgpr_kernarg_preload_length 0
		.amdhsa_user_sgpr_kernarg_preload_offset 0
		.amdhsa_user_sgpr_private_segment_size 0
		.amdhsa_uses_dynamic_stack 0
		.amdhsa_enable_private_segment 0
		.amdhsa_system_sgpr_workgroup_id_x 1
		.amdhsa_system_sgpr_workgroup_id_y 1
		.amdhsa_system_sgpr_workgroup_id_z 1
		.amdhsa_system_sgpr_workgroup_info 0
		.amdhsa_system_vgpr_workitem_id 0
		.amdhsa_next_free_vgpr 16
		.amdhsa_next_free_sgpr 29
		.amdhsa_accum_offset 16
		.amdhsa_reserve_vcc 1
		.amdhsa_float_round_mode_32 0
		.amdhsa_float_round_mode_16_64 0
		.amdhsa_float_denorm_mode_32 3
		.amdhsa_float_denorm_mode_16_64 3
		.amdhsa_dx10_clamp 1
		.amdhsa_ieee_mode 1
		.amdhsa_fp16_overflow 0
		.amdhsa_tg_split 0
		.amdhsa_exception_fp_ieee_invalid_op 0
		.amdhsa_exception_fp_denorm_src 0
		.amdhsa_exception_fp_ieee_div_zero 0
		.amdhsa_exception_fp_ieee_overflow 0
		.amdhsa_exception_fp_ieee_underflow 0
		.amdhsa_exception_fp_ieee_inexact 0
		.amdhsa_exception_int_div_zero 0
	.end_amdhsa_kernel
	.section	.text._ZN7rocprim17ROCPRIM_304000_NS6detail35device_block_merge_mergepath_kernelINS1_37wrapped_merge_sort_block_merge_configINS0_14default_configEaN2at4cuda3cub6detail10OpaqueTypeILi8EEEEEPaSC_PSA_SD_jNS1_19radix_merge_compareILb1ELb1EaNS0_19identity_decomposerEEEEEvT0_T1_T2_T3_T4_SL_jT5_PKSL_NS1_7vsmem_tE,"axG",@progbits,_ZN7rocprim17ROCPRIM_304000_NS6detail35device_block_merge_mergepath_kernelINS1_37wrapped_merge_sort_block_merge_configINS0_14default_configEaN2at4cuda3cub6detail10OpaqueTypeILi8EEEEEPaSC_PSA_SD_jNS1_19radix_merge_compareILb1ELb1EaNS0_19identity_decomposerEEEEEvT0_T1_T2_T3_T4_SL_jT5_PKSL_NS1_7vsmem_tE,comdat
.Lfunc_end33:
	.size	_ZN7rocprim17ROCPRIM_304000_NS6detail35device_block_merge_mergepath_kernelINS1_37wrapped_merge_sort_block_merge_configINS0_14default_configEaN2at4cuda3cub6detail10OpaqueTypeILi8EEEEEPaSC_PSA_SD_jNS1_19radix_merge_compareILb1ELb1EaNS0_19identity_decomposerEEEEEvT0_T1_T2_T3_T4_SL_jT5_PKSL_NS1_7vsmem_tE, .Lfunc_end33-_ZN7rocprim17ROCPRIM_304000_NS6detail35device_block_merge_mergepath_kernelINS1_37wrapped_merge_sort_block_merge_configINS0_14default_configEaN2at4cuda3cub6detail10OpaqueTypeILi8EEEEEPaSC_PSA_SD_jNS1_19radix_merge_compareILb1ELb1EaNS0_19identity_decomposerEEEEEvT0_T1_T2_T3_T4_SL_jT5_PKSL_NS1_7vsmem_tE
                                        ; -- End function
	.set _ZN7rocprim17ROCPRIM_304000_NS6detail35device_block_merge_mergepath_kernelINS1_37wrapped_merge_sort_block_merge_configINS0_14default_configEaN2at4cuda3cub6detail10OpaqueTypeILi8EEEEEPaSC_PSA_SD_jNS1_19radix_merge_compareILb1ELb1EaNS0_19identity_decomposerEEEEEvT0_T1_T2_T3_T4_SL_jT5_PKSL_NS1_7vsmem_tE.num_vgpr, 16
	.set _ZN7rocprim17ROCPRIM_304000_NS6detail35device_block_merge_mergepath_kernelINS1_37wrapped_merge_sort_block_merge_configINS0_14default_configEaN2at4cuda3cub6detail10OpaqueTypeILi8EEEEEPaSC_PSA_SD_jNS1_19radix_merge_compareILb1ELb1EaNS0_19identity_decomposerEEEEEvT0_T1_T2_T3_T4_SL_jT5_PKSL_NS1_7vsmem_tE.num_agpr, 0
	.set _ZN7rocprim17ROCPRIM_304000_NS6detail35device_block_merge_mergepath_kernelINS1_37wrapped_merge_sort_block_merge_configINS0_14default_configEaN2at4cuda3cub6detail10OpaqueTypeILi8EEEEEPaSC_PSA_SD_jNS1_19radix_merge_compareILb1ELb1EaNS0_19identity_decomposerEEEEEvT0_T1_T2_T3_T4_SL_jT5_PKSL_NS1_7vsmem_tE.numbered_sgpr, 29
	.set _ZN7rocprim17ROCPRIM_304000_NS6detail35device_block_merge_mergepath_kernelINS1_37wrapped_merge_sort_block_merge_configINS0_14default_configEaN2at4cuda3cub6detail10OpaqueTypeILi8EEEEEPaSC_PSA_SD_jNS1_19radix_merge_compareILb1ELb1EaNS0_19identity_decomposerEEEEEvT0_T1_T2_T3_T4_SL_jT5_PKSL_NS1_7vsmem_tE.num_named_barrier, 0
	.set _ZN7rocprim17ROCPRIM_304000_NS6detail35device_block_merge_mergepath_kernelINS1_37wrapped_merge_sort_block_merge_configINS0_14default_configEaN2at4cuda3cub6detail10OpaqueTypeILi8EEEEEPaSC_PSA_SD_jNS1_19radix_merge_compareILb1ELb1EaNS0_19identity_decomposerEEEEEvT0_T1_T2_T3_T4_SL_jT5_PKSL_NS1_7vsmem_tE.private_seg_size, 0
	.set _ZN7rocprim17ROCPRIM_304000_NS6detail35device_block_merge_mergepath_kernelINS1_37wrapped_merge_sort_block_merge_configINS0_14default_configEaN2at4cuda3cub6detail10OpaqueTypeILi8EEEEEPaSC_PSA_SD_jNS1_19radix_merge_compareILb1ELb1EaNS0_19identity_decomposerEEEEEvT0_T1_T2_T3_T4_SL_jT5_PKSL_NS1_7vsmem_tE.uses_vcc, 1
	.set _ZN7rocprim17ROCPRIM_304000_NS6detail35device_block_merge_mergepath_kernelINS1_37wrapped_merge_sort_block_merge_configINS0_14default_configEaN2at4cuda3cub6detail10OpaqueTypeILi8EEEEEPaSC_PSA_SD_jNS1_19radix_merge_compareILb1ELb1EaNS0_19identity_decomposerEEEEEvT0_T1_T2_T3_T4_SL_jT5_PKSL_NS1_7vsmem_tE.uses_flat_scratch, 0
	.set _ZN7rocprim17ROCPRIM_304000_NS6detail35device_block_merge_mergepath_kernelINS1_37wrapped_merge_sort_block_merge_configINS0_14default_configEaN2at4cuda3cub6detail10OpaqueTypeILi8EEEEEPaSC_PSA_SD_jNS1_19radix_merge_compareILb1ELb1EaNS0_19identity_decomposerEEEEEvT0_T1_T2_T3_T4_SL_jT5_PKSL_NS1_7vsmem_tE.has_dyn_sized_stack, 0
	.set _ZN7rocprim17ROCPRIM_304000_NS6detail35device_block_merge_mergepath_kernelINS1_37wrapped_merge_sort_block_merge_configINS0_14default_configEaN2at4cuda3cub6detail10OpaqueTypeILi8EEEEEPaSC_PSA_SD_jNS1_19radix_merge_compareILb1ELb1EaNS0_19identity_decomposerEEEEEvT0_T1_T2_T3_T4_SL_jT5_PKSL_NS1_7vsmem_tE.has_recursion, 0
	.set _ZN7rocprim17ROCPRIM_304000_NS6detail35device_block_merge_mergepath_kernelINS1_37wrapped_merge_sort_block_merge_configINS0_14default_configEaN2at4cuda3cub6detail10OpaqueTypeILi8EEEEEPaSC_PSA_SD_jNS1_19radix_merge_compareILb1ELb1EaNS0_19identity_decomposerEEEEEvT0_T1_T2_T3_T4_SL_jT5_PKSL_NS1_7vsmem_tE.has_indirect_call, 0
	.section	.AMDGPU.csdata,"",@progbits
; Kernel info:
; codeLenInByte = 1848
; TotalNumSgprs: 35
; NumVgprs: 16
; NumAgprs: 0
; TotalNumVgprs: 16
; ScratchSize: 0
; MemoryBound: 0
; FloatMode: 240
; IeeeMode: 1
; LDSByteSize: 8208 bytes/workgroup (compile time only)
; SGPRBlocks: 4
; VGPRBlocks: 1
; NumSGPRsForWavesPerEU: 35
; NumVGPRsForWavesPerEU: 16
; AccumOffset: 16
; Occupancy: 8
; WaveLimiterHint : 1
; COMPUTE_PGM_RSRC2:SCRATCH_EN: 0
; COMPUTE_PGM_RSRC2:USER_SGPR: 2
; COMPUTE_PGM_RSRC2:TRAP_HANDLER: 0
; COMPUTE_PGM_RSRC2:TGID_X_EN: 1
; COMPUTE_PGM_RSRC2:TGID_Y_EN: 1
; COMPUTE_PGM_RSRC2:TGID_Z_EN: 1
; COMPUTE_PGM_RSRC2:TIDIG_COMP_CNT: 0
; COMPUTE_PGM_RSRC3_GFX90A:ACCUM_OFFSET: 3
; COMPUTE_PGM_RSRC3_GFX90A:TG_SPLIT: 0
	.section	.text._ZN7rocprim17ROCPRIM_304000_NS6detail33device_block_merge_oddeven_kernelINS1_37wrapped_merge_sort_block_merge_configINS0_14default_configEaN2at4cuda3cub6detail10OpaqueTypeILi8EEEEEPaSC_PSA_SD_jNS1_19radix_merge_compareILb1ELb1EaNS0_19identity_decomposerEEEEEvT0_T1_T2_T3_T4_SL_T5_,"axG",@progbits,_ZN7rocprim17ROCPRIM_304000_NS6detail33device_block_merge_oddeven_kernelINS1_37wrapped_merge_sort_block_merge_configINS0_14default_configEaN2at4cuda3cub6detail10OpaqueTypeILi8EEEEEPaSC_PSA_SD_jNS1_19radix_merge_compareILb1ELb1EaNS0_19identity_decomposerEEEEEvT0_T1_T2_T3_T4_SL_T5_,comdat
	.protected	_ZN7rocprim17ROCPRIM_304000_NS6detail33device_block_merge_oddeven_kernelINS1_37wrapped_merge_sort_block_merge_configINS0_14default_configEaN2at4cuda3cub6detail10OpaqueTypeILi8EEEEEPaSC_PSA_SD_jNS1_19radix_merge_compareILb1ELb1EaNS0_19identity_decomposerEEEEEvT0_T1_T2_T3_T4_SL_T5_ ; -- Begin function _ZN7rocprim17ROCPRIM_304000_NS6detail33device_block_merge_oddeven_kernelINS1_37wrapped_merge_sort_block_merge_configINS0_14default_configEaN2at4cuda3cub6detail10OpaqueTypeILi8EEEEEPaSC_PSA_SD_jNS1_19radix_merge_compareILb1ELb1EaNS0_19identity_decomposerEEEEEvT0_T1_T2_T3_T4_SL_T5_
	.globl	_ZN7rocprim17ROCPRIM_304000_NS6detail33device_block_merge_oddeven_kernelINS1_37wrapped_merge_sort_block_merge_configINS0_14default_configEaN2at4cuda3cub6detail10OpaqueTypeILi8EEEEEPaSC_PSA_SD_jNS1_19radix_merge_compareILb1ELb1EaNS0_19identity_decomposerEEEEEvT0_T1_T2_T3_T4_SL_T5_
	.p2align	8
	.type	_ZN7rocprim17ROCPRIM_304000_NS6detail33device_block_merge_oddeven_kernelINS1_37wrapped_merge_sort_block_merge_configINS0_14default_configEaN2at4cuda3cub6detail10OpaqueTypeILi8EEEEEPaSC_PSA_SD_jNS1_19radix_merge_compareILb1ELb1EaNS0_19identity_decomposerEEEEEvT0_T1_T2_T3_T4_SL_T5_,@function
_ZN7rocprim17ROCPRIM_304000_NS6detail33device_block_merge_oddeven_kernelINS1_37wrapped_merge_sort_block_merge_configINS0_14default_configEaN2at4cuda3cub6detail10OpaqueTypeILi8EEEEEPaSC_PSA_SD_jNS1_19radix_merge_compareILb1ELb1EaNS0_19identity_decomposerEEEEEvT0_T1_T2_T3_T4_SL_T5_: ; @_ZN7rocprim17ROCPRIM_304000_NS6detail33device_block_merge_oddeven_kernelINS1_37wrapped_merge_sort_block_merge_configINS0_14default_configEaN2at4cuda3cub6detail10OpaqueTypeILi8EEEEEPaSC_PSA_SD_jNS1_19radix_merge_compareILb1ELb1EaNS0_19identity_decomposerEEEEEvT0_T1_T2_T3_T4_SL_T5_
; %bb.0:
	s_load_dwordx4 s[16:19], s[0:1], 0x20
	s_waitcnt lgkmcnt(0)
	s_lshr_b32 s3, s16, 8
	s_cmp_eq_u32 s2, s3
	s_cselect_b64 s[6:7], -1, 0
	s_cmp_lg_u32 s2, s3
	s_cselect_b64 s[8:9], -1, 0
	s_lshl_b32 s20, s2, 8
	s_sub_i32 s3, s16, s20
	v_cmp_gt_u32_e64 s[4:5], s3, v0
	s_or_b64 s[8:9], s[8:9], s[4:5]
	s_and_saveexec_b64 s[10:11], s[8:9]
	s_cbranch_execz .LBB34_24
; %bb.1:
	s_load_dwordx8 s[8:15], s[0:1], 0x0
	s_mov_b32 s21, 0
	v_lshlrev_b32_e32 v1, 3, v0
	s_waitcnt lgkmcnt(0)
	s_add_u32 s0, s8, s20
	s_addc_u32 s1, s9, 0
	s_lshl_b64 s[22:23], s[20:21], 3
	s_add_u32 s12, s12, s22
	s_addc_u32 s13, s13, s23
	global_load_dwordx2 v[2:3], v1, s[12:13]
	global_load_ubyte v4, v0, s[0:1]
	s_lshr_b32 s0, s17, 8
	s_sub_i32 s1, 0, s0
	s_and_b32 s1, s2, s1
	s_and_b32 s0, s1, s0
	s_lshl_b32 s19, s1, 8
	s_sub_i32 s12, 0, s17
	s_cmp_eq_u32 s0, 0
	s_cselect_b64 s[0:1], -1, 0
	s_and_b64 s[2:3], s[0:1], exec
	s_cselect_b32 s12, s17, s12
	s_add_i32 s12, s12, s19
	s_mov_b64 s[2:3], -1
	s_cmp_gt_u32 s16, s12
	v_add_u32_e32 v0, s20, v0
	s_cbranch_scc1 .LBB34_9
; %bb.2:
	s_and_b64 vcc, exec, s[6:7]
	s_cbranch_vccz .LBB34_6
; %bb.3:
	v_cmp_gt_u32_e32 vcc, s16, v0
	s_and_saveexec_b64 s[2:3], vcc
	s_cbranch_execz .LBB34_5
; %bb.4:
	v_mov_b32_e32 v1, 0
	v_lshl_add_u64 v[6:7], v[0:1], 3, s[14:15]
	s_waitcnt vmcnt(0)
	global_store_byte v0, v4, s[10:11]
	global_store_dwordx2 v[6:7], v[2:3], off
.LBB34_5:
	s_or_b64 exec, exec, s[2:3]
	s_mov_b64 s[2:3], 0
.LBB34_6:
	s_andn2_b64 vcc, exec, s[2:3]
	s_cbranch_vccnz .LBB34_8
; %bb.7:
	v_mov_b32_e32 v1, 0
	v_lshl_add_u64 v[6:7], v[0:1], 3, s[14:15]
	s_waitcnt vmcnt(0)
	global_store_byte v0, v4, s[10:11]
	global_store_dwordx2 v[6:7], v[2:3], off
.LBB34_8:
	s_mov_b64 s[2:3], 0
.LBB34_9:
	s_andn2_b64 vcc, exec, s[2:3]
	s_cbranch_vccnz .LBB34_24
; %bb.10:
	s_min_u32 s13, s12, s16
	s_add_i32 s2, s13, s17
	s_min_u32 s16, s2, s16
	s_min_u32 s2, s19, s13
	s_add_i32 s19, s19, s13
	v_subrev_u32_e32 v0, s19, v0
	v_add_u32_e32 v0, s2, v0
	s_waitcnt vmcnt(0)
	v_and_b32_e32 v1, s18, v4
	s_mov_b64 s[2:3], -1
	s_and_b64 vcc, exec, s[6:7]
	s_cbranch_vccz .LBB34_18
; %bb.11:
	s_and_saveexec_b64 s[2:3], s[4:5]
	s_cbranch_execz .LBB34_17
; %bb.12:
	s_cmp_ge_u32 s12, s16
	v_mov_b32_e32 v5, s13
	s_cbranch_scc1 .LBB34_16
; %bb.13:
	s_mov_b64 s[4:5], 0
	v_mov_b32_e32 v6, s16
	v_mov_b32_e32 v5, s13
.LBB34_14:                              ; =>This Inner Loop Header: Depth=1
	v_add_u32_e32 v7, v5, v6
	v_lshrrev_b32_e32 v7, 1, v7
	global_load_ubyte v8, v7, s[8:9]
	v_add_u32_e32 v9, 1, v7
	s_waitcnt vmcnt(0)
	v_and_b32_e32 v8, s18, v8
	v_cmp_gt_i16_sdwa s[6:7], sext(v8), sext(v1) src0_sel:BYTE_0 src1_sel:BYTE_0
	s_nop 1
	v_cndmask_b32_e64 v10, 0, 1, s[6:7]
	v_cmp_le_i16_sdwa s[6:7], sext(v1), sext(v8) src0_sel:BYTE_0 src1_sel:BYTE_0
	s_nop 1
	v_cndmask_b32_e64 v8, 0, 1, s[6:7]
	v_cndmask_b32_e64 v8, v8, v10, s[0:1]
	v_and_b32_e32 v8, 1, v8
	v_cmp_eq_u32_e32 vcc, 1, v8
	s_nop 1
	v_cndmask_b32_e32 v6, v7, v6, vcc
	v_cndmask_b32_e32 v5, v5, v9, vcc
	v_cmp_ge_u32_e32 vcc, v5, v6
	s_or_b64 s[4:5], vcc, s[4:5]
	s_andn2_b64 exec, exec, s[4:5]
	s_cbranch_execnz .LBB34_14
; %bb.15:
	s_or_b64 exec, exec, s[4:5]
.LBB34_16:
	v_add_u32_e32 v6, v5, v0
	v_mov_b32_e32 v7, 0
	global_store_byte v6, v4, s[10:11]
	v_lshl_add_u64 v[6:7], v[6:7], 3, s[14:15]
	global_store_dwordx2 v[6:7], v[2:3], off
.LBB34_17:
	s_or_b64 exec, exec, s[2:3]
	s_mov_b64 s[2:3], 0
.LBB34_18:
	s_andn2_b64 vcc, exec, s[2:3]
	s_cbranch_vccnz .LBB34_24
; %bb.19:
	s_cmp_ge_u32 s12, s16
	v_mov_b32_e32 v5, s13
	s_cbranch_scc1 .LBB34_23
; %bb.20:
	s_mov_b64 s[2:3], 0
	v_mov_b32_e32 v6, s16
	v_mov_b32_e32 v5, s13
.LBB34_21:                              ; =>This Inner Loop Header: Depth=1
	v_add_u32_e32 v7, v5, v6
	v_lshrrev_b32_e32 v7, 1, v7
	global_load_ubyte v8, v7, s[8:9]
	v_add_u32_e32 v9, 1, v7
	s_waitcnt vmcnt(0)
	v_and_b32_e32 v8, s18, v8
	v_cmp_gt_i16_sdwa s[4:5], sext(v8), sext(v1) src0_sel:BYTE_0 src1_sel:BYTE_0
	s_nop 1
	v_cndmask_b32_e64 v10, 0, 1, s[4:5]
	v_cmp_le_i16_sdwa s[4:5], sext(v1), sext(v8) src0_sel:BYTE_0 src1_sel:BYTE_0
	s_nop 1
	v_cndmask_b32_e64 v8, 0, 1, s[4:5]
	v_cndmask_b32_e64 v8, v8, v10, s[0:1]
	v_and_b32_e32 v8, 1, v8
	v_cmp_eq_u32_e32 vcc, 1, v8
	s_nop 1
	v_cndmask_b32_e32 v6, v7, v6, vcc
	v_cndmask_b32_e32 v5, v5, v9, vcc
	v_cmp_ge_u32_e32 vcc, v5, v6
	s_or_b64 s[2:3], vcc, s[2:3]
	s_andn2_b64 exec, exec, s[2:3]
	s_cbranch_execnz .LBB34_21
; %bb.22:
	s_or_b64 exec, exec, s[2:3]
.LBB34_23:
	v_add_u32_e32 v0, v5, v0
	v_mov_b32_e32 v1, 0
	global_store_byte v0, v4, s[10:11]
	v_lshl_add_u64 v[0:1], v[0:1], 3, s[14:15]
	global_store_dwordx2 v[0:1], v[2:3], off
.LBB34_24:
	s_endpgm
	.section	.rodata,"a",@progbits
	.p2align	6, 0x0
	.amdhsa_kernel _ZN7rocprim17ROCPRIM_304000_NS6detail33device_block_merge_oddeven_kernelINS1_37wrapped_merge_sort_block_merge_configINS0_14default_configEaN2at4cuda3cub6detail10OpaqueTypeILi8EEEEEPaSC_PSA_SD_jNS1_19radix_merge_compareILb1ELb1EaNS0_19identity_decomposerEEEEEvT0_T1_T2_T3_T4_SL_T5_
		.amdhsa_group_segment_fixed_size 0
		.amdhsa_private_segment_fixed_size 0
		.amdhsa_kernarg_size 44
		.amdhsa_user_sgpr_count 2
		.amdhsa_user_sgpr_dispatch_ptr 0
		.amdhsa_user_sgpr_queue_ptr 0
		.amdhsa_user_sgpr_kernarg_segment_ptr 1
		.amdhsa_user_sgpr_dispatch_id 0
		.amdhsa_user_sgpr_kernarg_preload_length 0
		.amdhsa_user_sgpr_kernarg_preload_offset 0
		.amdhsa_user_sgpr_private_segment_size 0
		.amdhsa_uses_dynamic_stack 0
		.amdhsa_enable_private_segment 0
		.amdhsa_system_sgpr_workgroup_id_x 1
		.amdhsa_system_sgpr_workgroup_id_y 0
		.amdhsa_system_sgpr_workgroup_id_z 0
		.amdhsa_system_sgpr_workgroup_info 0
		.amdhsa_system_vgpr_workitem_id 0
		.amdhsa_next_free_vgpr 11
		.amdhsa_next_free_sgpr 24
		.amdhsa_accum_offset 12
		.amdhsa_reserve_vcc 1
		.amdhsa_float_round_mode_32 0
		.amdhsa_float_round_mode_16_64 0
		.amdhsa_float_denorm_mode_32 3
		.amdhsa_float_denorm_mode_16_64 3
		.amdhsa_dx10_clamp 1
		.amdhsa_ieee_mode 1
		.amdhsa_fp16_overflow 0
		.amdhsa_tg_split 0
		.amdhsa_exception_fp_ieee_invalid_op 0
		.amdhsa_exception_fp_denorm_src 0
		.amdhsa_exception_fp_ieee_div_zero 0
		.amdhsa_exception_fp_ieee_overflow 0
		.amdhsa_exception_fp_ieee_underflow 0
		.amdhsa_exception_fp_ieee_inexact 0
		.amdhsa_exception_int_div_zero 0
	.end_amdhsa_kernel
	.section	.text._ZN7rocprim17ROCPRIM_304000_NS6detail33device_block_merge_oddeven_kernelINS1_37wrapped_merge_sort_block_merge_configINS0_14default_configEaN2at4cuda3cub6detail10OpaqueTypeILi8EEEEEPaSC_PSA_SD_jNS1_19radix_merge_compareILb1ELb1EaNS0_19identity_decomposerEEEEEvT0_T1_T2_T3_T4_SL_T5_,"axG",@progbits,_ZN7rocprim17ROCPRIM_304000_NS6detail33device_block_merge_oddeven_kernelINS1_37wrapped_merge_sort_block_merge_configINS0_14default_configEaN2at4cuda3cub6detail10OpaqueTypeILi8EEEEEPaSC_PSA_SD_jNS1_19radix_merge_compareILb1ELb1EaNS0_19identity_decomposerEEEEEvT0_T1_T2_T3_T4_SL_T5_,comdat
.Lfunc_end34:
	.size	_ZN7rocprim17ROCPRIM_304000_NS6detail33device_block_merge_oddeven_kernelINS1_37wrapped_merge_sort_block_merge_configINS0_14default_configEaN2at4cuda3cub6detail10OpaqueTypeILi8EEEEEPaSC_PSA_SD_jNS1_19radix_merge_compareILb1ELb1EaNS0_19identity_decomposerEEEEEvT0_T1_T2_T3_T4_SL_T5_, .Lfunc_end34-_ZN7rocprim17ROCPRIM_304000_NS6detail33device_block_merge_oddeven_kernelINS1_37wrapped_merge_sort_block_merge_configINS0_14default_configEaN2at4cuda3cub6detail10OpaqueTypeILi8EEEEEPaSC_PSA_SD_jNS1_19radix_merge_compareILb1ELb1EaNS0_19identity_decomposerEEEEEvT0_T1_T2_T3_T4_SL_T5_
                                        ; -- End function
	.set _ZN7rocprim17ROCPRIM_304000_NS6detail33device_block_merge_oddeven_kernelINS1_37wrapped_merge_sort_block_merge_configINS0_14default_configEaN2at4cuda3cub6detail10OpaqueTypeILi8EEEEEPaSC_PSA_SD_jNS1_19radix_merge_compareILb1ELb1EaNS0_19identity_decomposerEEEEEvT0_T1_T2_T3_T4_SL_T5_.num_vgpr, 11
	.set _ZN7rocprim17ROCPRIM_304000_NS6detail33device_block_merge_oddeven_kernelINS1_37wrapped_merge_sort_block_merge_configINS0_14default_configEaN2at4cuda3cub6detail10OpaqueTypeILi8EEEEEPaSC_PSA_SD_jNS1_19radix_merge_compareILb1ELb1EaNS0_19identity_decomposerEEEEEvT0_T1_T2_T3_T4_SL_T5_.num_agpr, 0
	.set _ZN7rocprim17ROCPRIM_304000_NS6detail33device_block_merge_oddeven_kernelINS1_37wrapped_merge_sort_block_merge_configINS0_14default_configEaN2at4cuda3cub6detail10OpaqueTypeILi8EEEEEPaSC_PSA_SD_jNS1_19radix_merge_compareILb1ELb1EaNS0_19identity_decomposerEEEEEvT0_T1_T2_T3_T4_SL_T5_.numbered_sgpr, 24
	.set _ZN7rocprim17ROCPRIM_304000_NS6detail33device_block_merge_oddeven_kernelINS1_37wrapped_merge_sort_block_merge_configINS0_14default_configEaN2at4cuda3cub6detail10OpaqueTypeILi8EEEEEPaSC_PSA_SD_jNS1_19radix_merge_compareILb1ELb1EaNS0_19identity_decomposerEEEEEvT0_T1_T2_T3_T4_SL_T5_.num_named_barrier, 0
	.set _ZN7rocprim17ROCPRIM_304000_NS6detail33device_block_merge_oddeven_kernelINS1_37wrapped_merge_sort_block_merge_configINS0_14default_configEaN2at4cuda3cub6detail10OpaqueTypeILi8EEEEEPaSC_PSA_SD_jNS1_19radix_merge_compareILb1ELb1EaNS0_19identity_decomposerEEEEEvT0_T1_T2_T3_T4_SL_T5_.private_seg_size, 0
	.set _ZN7rocprim17ROCPRIM_304000_NS6detail33device_block_merge_oddeven_kernelINS1_37wrapped_merge_sort_block_merge_configINS0_14default_configEaN2at4cuda3cub6detail10OpaqueTypeILi8EEEEEPaSC_PSA_SD_jNS1_19radix_merge_compareILb1ELb1EaNS0_19identity_decomposerEEEEEvT0_T1_T2_T3_T4_SL_T5_.uses_vcc, 1
	.set _ZN7rocprim17ROCPRIM_304000_NS6detail33device_block_merge_oddeven_kernelINS1_37wrapped_merge_sort_block_merge_configINS0_14default_configEaN2at4cuda3cub6detail10OpaqueTypeILi8EEEEEPaSC_PSA_SD_jNS1_19radix_merge_compareILb1ELb1EaNS0_19identity_decomposerEEEEEvT0_T1_T2_T3_T4_SL_T5_.uses_flat_scratch, 0
	.set _ZN7rocprim17ROCPRIM_304000_NS6detail33device_block_merge_oddeven_kernelINS1_37wrapped_merge_sort_block_merge_configINS0_14default_configEaN2at4cuda3cub6detail10OpaqueTypeILi8EEEEEPaSC_PSA_SD_jNS1_19radix_merge_compareILb1ELb1EaNS0_19identity_decomposerEEEEEvT0_T1_T2_T3_T4_SL_T5_.has_dyn_sized_stack, 0
	.set _ZN7rocprim17ROCPRIM_304000_NS6detail33device_block_merge_oddeven_kernelINS1_37wrapped_merge_sort_block_merge_configINS0_14default_configEaN2at4cuda3cub6detail10OpaqueTypeILi8EEEEEPaSC_PSA_SD_jNS1_19radix_merge_compareILb1ELb1EaNS0_19identity_decomposerEEEEEvT0_T1_T2_T3_T4_SL_T5_.has_recursion, 0
	.set _ZN7rocprim17ROCPRIM_304000_NS6detail33device_block_merge_oddeven_kernelINS1_37wrapped_merge_sort_block_merge_configINS0_14default_configEaN2at4cuda3cub6detail10OpaqueTypeILi8EEEEEPaSC_PSA_SD_jNS1_19radix_merge_compareILb1ELb1EaNS0_19identity_decomposerEEEEEvT0_T1_T2_T3_T4_SL_T5_.has_indirect_call, 0
	.section	.AMDGPU.csdata,"",@progbits
; Kernel info:
; codeLenInByte = 708
; TotalNumSgprs: 30
; NumVgprs: 11
; NumAgprs: 0
; TotalNumVgprs: 11
; ScratchSize: 0
; MemoryBound: 0
; FloatMode: 240
; IeeeMode: 1
; LDSByteSize: 0 bytes/workgroup (compile time only)
; SGPRBlocks: 3
; VGPRBlocks: 1
; NumSGPRsForWavesPerEU: 30
; NumVGPRsForWavesPerEU: 11
; AccumOffset: 12
; Occupancy: 8
; WaveLimiterHint : 0
; COMPUTE_PGM_RSRC2:SCRATCH_EN: 0
; COMPUTE_PGM_RSRC2:USER_SGPR: 2
; COMPUTE_PGM_RSRC2:TRAP_HANDLER: 0
; COMPUTE_PGM_RSRC2:TGID_X_EN: 1
; COMPUTE_PGM_RSRC2:TGID_Y_EN: 0
; COMPUTE_PGM_RSRC2:TGID_Z_EN: 0
; COMPUTE_PGM_RSRC2:TIDIG_COMP_CNT: 0
; COMPUTE_PGM_RSRC3_GFX90A:ACCUM_OFFSET: 2
; COMPUTE_PGM_RSRC3_GFX90A:TG_SPLIT: 0
	.section	.text._ZN7rocprim17ROCPRIM_304000_NS6detail26onesweep_histograms_kernelINS1_34wrapped_radix_sort_onesweep_configINS0_14default_configEaN2at4cuda3cub6detail10OpaqueTypeILi8EEEEELb1EPKamNS0_19identity_decomposerEEEvT1_PT2_SG_SG_T3_jj,"axG",@progbits,_ZN7rocprim17ROCPRIM_304000_NS6detail26onesweep_histograms_kernelINS1_34wrapped_radix_sort_onesweep_configINS0_14default_configEaN2at4cuda3cub6detail10OpaqueTypeILi8EEEEELb1EPKamNS0_19identity_decomposerEEEvT1_PT2_SG_SG_T3_jj,comdat
	.protected	_ZN7rocprim17ROCPRIM_304000_NS6detail26onesweep_histograms_kernelINS1_34wrapped_radix_sort_onesweep_configINS0_14default_configEaN2at4cuda3cub6detail10OpaqueTypeILi8EEEEELb1EPKamNS0_19identity_decomposerEEEvT1_PT2_SG_SG_T3_jj ; -- Begin function _ZN7rocprim17ROCPRIM_304000_NS6detail26onesweep_histograms_kernelINS1_34wrapped_radix_sort_onesweep_configINS0_14default_configEaN2at4cuda3cub6detail10OpaqueTypeILi8EEEEELb1EPKamNS0_19identity_decomposerEEEvT1_PT2_SG_SG_T3_jj
	.globl	_ZN7rocprim17ROCPRIM_304000_NS6detail26onesweep_histograms_kernelINS1_34wrapped_radix_sort_onesweep_configINS0_14default_configEaN2at4cuda3cub6detail10OpaqueTypeILi8EEEEELb1EPKamNS0_19identity_decomposerEEEvT1_PT2_SG_SG_T3_jj
	.p2align	8
	.type	_ZN7rocprim17ROCPRIM_304000_NS6detail26onesweep_histograms_kernelINS1_34wrapped_radix_sort_onesweep_configINS0_14default_configEaN2at4cuda3cub6detail10OpaqueTypeILi8EEEEELb1EPKamNS0_19identity_decomposerEEEvT1_PT2_SG_SG_T3_jj,@function
_ZN7rocprim17ROCPRIM_304000_NS6detail26onesweep_histograms_kernelINS1_34wrapped_radix_sort_onesweep_configINS0_14default_configEaN2at4cuda3cub6detail10OpaqueTypeILi8EEEEELb1EPKamNS0_19identity_decomposerEEEvT1_PT2_SG_SG_T3_jj: ; @_ZN7rocprim17ROCPRIM_304000_NS6detail26onesweep_histograms_kernelINS1_34wrapped_radix_sort_onesweep_configINS0_14default_configEaN2at4cuda3cub6detail10OpaqueTypeILi8EEEEELb1EPKamNS0_19identity_decomposerEEEvT1_PT2_SG_SG_T3_jj
; %bb.0:
	s_load_dwordx8 s[8:15], s[0:1], 0x0
	s_load_dwordx2 s[16:17], s[0:1], 0x24
	v_mov_b32_e32 v1, 0
	v_mov_b32_e32 v2, s2
	;; [unrolled: 1-line block ×3, first 2 shown]
	s_mul_hi_u32 s0, s2, 0xc00
	s_mulk_i32 s2, 0xc00
	s_waitcnt lgkmcnt(0)
	v_cmp_le_u64_e32 vcc, s[14:15], v[2:3]
	s_add_u32 s18, s8, s2
	s_addc_u32 s19, s9, s0
	s_mov_b64 s[0:1], -1
	s_cbranch_vccz .LBB35_50
; %bb.1:
	s_mul_i32 s0, s14, 0xfffff400
	s_add_i32 s12, s0, s12
	v_lshl_add_u64 v[2:3], s[18:19], 0, v[0:1]
	v_cmp_gt_u32_e64 s[4:5], s12, v0
	v_mov_b32_e32 v8, 0
	v_mov_b32_e32 v6, 0
	;; [unrolled: 1-line block ×4, first 2 shown]
	s_and_saveexec_b64 s[0:1], s[4:5]
	s_cbranch_execz .LBB35_3
; %bb.2:
	global_load_ubyte v8, v[2:3], off
	v_mov_b32_e32 v6, 0
	v_mov_b32_e32 v5, 0
	;; [unrolled: 1-line block ×3, first 2 shown]
.LBB35_3:
	s_or_b64 exec, exec, s[0:1]
	v_or_b32_e32 v7, 0x200, v0
	v_cmp_gt_u32_e32 vcc, s12, v7
	v_mov_b32_e32 v7, v1
	s_and_saveexec_b64 s[0:1], vcc
	s_cbranch_execz .LBB35_5
; %bb.4:
	global_load_ubyte v7, v[2:3], off offset:512
.LBB35_5:
	s_or_b64 exec, exec, s[0:1]
	v_or_b32_e32 v9, 0x400, v0
	v_cmp_gt_u32_e64 s[0:1], s12, v9
	s_and_saveexec_b64 s[2:3], s[0:1]
	s_cbranch_execz .LBB35_7
; %bb.6:
	global_load_ubyte v1, v[2:3], off offset:1024
.LBB35_7:
	s_or_b64 exec, exec, s[2:3]
	v_or_b32_e32 v9, 0x600, v0
	v_cmp_gt_u32_e64 s[2:3], s12, v9
	s_and_saveexec_b64 s[6:7], s[2:3]
	;; [unrolled: 8-line block ×4, first 2 shown]
	s_cbranch_execz .LBB35_13
; %bb.12:
	global_load_ubyte v4, v[2:3], off offset:2560
.LBB35_13:
	s_or_b64 exec, exec, s[12:13]
	s_mov_b32 s12, 0
	s_mov_b32 s13, 1
	v_lshlrev_b32_e32 v2, 2, v0
	s_mov_b64 s[14:15], 0
	v_mov_b32_e32 v3, 0
	s_mov_b32 s20, s12
	s_branch .LBB35_15
.LBB35_14:                              ;   in Loop: Header=BB35_15 Depth=1
	s_or_b64 exec, exec, s[24:25]
	s_add_i32 s20, s20, 2
	v_cmp_eq_u32_e64 s[22:23], 2, s20
	s_or_b64 s[14:15], s[22:23], s[14:15]
	v_add_u32_e32 v2, 0x1000, v2
	s_andn2_b64 exec, exec, s[14:15]
	s_cbranch_execz .LBB35_19
.LBB35_15:                              ; =>This Inner Loop Header: Depth=1
	s_mov_b32 s21, s20
	s_or_b64 s[24:25], s[20:21], s[12:13]
	v_cmp_le_u32_e64 s[22:23], s25, 1
	v_cmp_le_u32_e64 s[26:27], s24, 1
	s_and_saveexec_b64 s[24:25], s[26:27]
; %bb.16:                               ;   in Loop: Header=BB35_15 Depth=1
	ds_write_b32 v2, v3
; %bb.17:                               ;   in Loop: Header=BB35_15 Depth=1
	s_or_b64 exec, exec, s[24:25]
	s_and_saveexec_b64 s[24:25], s[22:23]
	s_cbranch_execz .LBB35_14
; %bb.18:                               ;   in Loop: Header=BB35_15 Depth=1
	ds_write_b32 v2, v3 offset:2048
	s_branch .LBB35_14
.LBB35_19:
	s_or_b64 exec, exec, s[14:15]
	s_cmp_gt_u32 s17, s16
	s_cselect_b64 s[12:13], -1, 0
	s_cmp_le_u32 s17, s16
	s_waitcnt lgkmcnt(0)
	s_barrier
	s_cbranch_scc1 .LBB35_44
; %bb.20:
	v_and_b32_e32 v2, 3, v0
	v_lshlrev_b32_e32 v2, 2, v2
	s_sub_i32 s20, s17, s16
	s_waitcnt vmcnt(0)
	v_xor_b32_e32 v3, 0x7f, v8
	v_mov_b32_e32 v8, 1
	s_mov_b32 s21, s20
	v_mov_b32_e32 v9, v2
	s_mov_b32 s22, s16
	s_branch .LBB35_22
.LBB35_21:                              ;   in Loop: Header=BB35_22 Depth=1
	s_or_b64 exec, exec, s[14:15]
	s_add_i32 s22, s22, 8
	s_add_i32 s21, s21, -8
	s_cmp_ge_u32 s22, s17
	v_add_u32_e32 v9, 0x1000, v9
	s_cbranch_scc1 .LBB35_24
.LBB35_22:                              ; =>This Inner Loop Header: Depth=1
	s_and_saveexec_b64 s[14:15], s[4:5]
	s_cbranch_execz .LBB35_21
; %bb.23:                               ;   in Loop: Header=BB35_22 Depth=1
	s_min_u32 s23, s21, 8
	v_lshrrev_b32_sdwa v10, s22, v3 dst_sel:DWORD dst_unused:UNUSED_PAD src0_sel:DWORD src1_sel:BYTE_0
	v_bfe_u32 v10, v10, 0, s23
	v_lshl_add_u32 v10, v10, 4, v9
	ds_add_u32 v10, v8
	s_branch .LBB35_21
.LBB35_24:
	v_xor_b32_e32 v3, 0x7f, v7
	v_mov_b32_e32 v7, 1
	s_mov_b32 s14, s20
	v_mov_b32_e32 v8, v2
	s_mov_b32 s15, s16
	s_branch .LBB35_26
.LBB35_25:                              ;   in Loop: Header=BB35_26 Depth=1
	s_or_b64 exec, exec, s[4:5]
	s_add_i32 s15, s15, 8
	s_add_i32 s14, s14, -8
	s_cmp_lt_u32 s15, s17
	v_add_u32_e32 v8, 0x1000, v8
	s_cbranch_scc0 .LBB35_28
.LBB35_26:                              ; =>This Inner Loop Header: Depth=1
	s_and_saveexec_b64 s[4:5], vcc
	s_cbranch_execz .LBB35_25
; %bb.27:                               ;   in Loop: Header=BB35_26 Depth=1
	s_min_u32 s21, s14, 8
	v_lshrrev_b32_sdwa v9, s15, v3 dst_sel:DWORD dst_unused:UNUSED_PAD src0_sel:DWORD src1_sel:BYTE_0
	v_bfe_u32 v9, v9, 0, s21
	v_lshl_add_u32 v9, v9, 4, v8
	ds_add_u32 v9, v7
	s_branch .LBB35_25
.LBB35_28:
	v_xor_b32_e32 v1, 0x7f, v1
	v_mov_b32_e32 v3, 1
	s_mov_b32 s14, s20
	v_mov_b32_e32 v7, v2
	s_mov_b32 s15, s16
	s_branch .LBB35_30
.LBB35_29:                              ;   in Loop: Header=BB35_30 Depth=1
	s_or_b64 exec, exec, s[4:5]
	s_add_i32 s15, s15, 8
	s_add_i32 s14, s14, -8
	s_cmp_lt_u32 s15, s17
	v_add_u32_e32 v7, 0x1000, v7
	s_cbranch_scc0 .LBB35_32
.LBB35_30:                              ; =>This Inner Loop Header: Depth=1
	s_and_saveexec_b64 s[4:5], s[0:1]
	s_cbranch_execz .LBB35_29
; %bb.31:                               ;   in Loop: Header=BB35_30 Depth=1
	s_min_u32 s21, s14, 8
	v_lshrrev_b32_sdwa v8, s15, v1 dst_sel:DWORD dst_unused:UNUSED_PAD src0_sel:DWORD src1_sel:BYTE_0
	v_bfe_u32 v8, v8, 0, s21
	v_lshl_add_u32 v8, v8, 4, v7
	ds_add_u32 v8, v3
	s_branch .LBB35_29
.LBB35_32:
	v_xor_b32_e32 v1, 0x7f, v6
	v_mov_b32_e32 v3, 1
	s_mov_b32 s4, s20
	v_mov_b32_e32 v6, v2
	s_mov_b32 s5, s16
	s_branch .LBB35_34
.LBB35_33:                              ;   in Loop: Header=BB35_34 Depth=1
	s_or_b64 exec, exec, s[0:1]
	s_add_i32 s5, s5, 8
	s_add_i32 s4, s4, -8
	s_cmp_lt_u32 s5, s17
	v_add_u32_e32 v6, 0x1000, v6
	s_cbranch_scc0 .LBB35_36
.LBB35_34:                              ; =>This Inner Loop Header: Depth=1
	s_and_saveexec_b64 s[0:1], s[2:3]
	s_cbranch_execz .LBB35_33
; %bb.35:                               ;   in Loop: Header=BB35_34 Depth=1
	s_min_u32 s14, s4, 8
	v_lshrrev_b32_sdwa v7, s5, v1 dst_sel:DWORD dst_unused:UNUSED_PAD src0_sel:DWORD src1_sel:BYTE_0
	v_bfe_u32 v7, v7, 0, s14
	v_lshl_add_u32 v7, v7, 4, v6
	ds_add_u32 v7, v3
	s_branch .LBB35_33
.LBB35_36:
	;; [unrolled: 24-line block ×3, first 2 shown]
	v_xor_b32_e32 v1, 0x7f, v4
	v_mov_b32_e32 v3, 1
	s_mov_b32 s2, s16
	s_branch .LBB35_42
.LBB35_41:                              ;   in Loop: Header=BB35_42 Depth=1
	s_or_b64 exec, exec, s[0:1]
	s_add_i32 s2, s2, 8
	s_add_i32 s20, s20, -8
	s_cmp_lt_u32 s2, s17
	v_add_u32_e32 v2, 0x1000, v2
	s_cbranch_scc0 .LBB35_44
.LBB35_42:                              ; =>This Inner Loop Header: Depth=1
	s_and_saveexec_b64 s[0:1], s[8:9]
	s_cbranch_execz .LBB35_41
; %bb.43:                               ;   in Loop: Header=BB35_42 Depth=1
	s_min_u32 s3, s20, 8
	v_lshrrev_b32_sdwa v4, s2, v1 dst_sel:DWORD dst_unused:UNUSED_PAD src0_sel:DWORD src1_sel:BYTE_0
	v_bfe_u32 v4, v4, 0, s3
	v_lshl_add_u32 v4, v4, 4, v2
	ds_add_u32 v4, v3
	s_branch .LBB35_41
.LBB35_44:
	s_and_b64 vcc, exec, s[12:13]
	s_waitcnt lgkmcnt(0)
	s_barrier
	s_cbranch_vccz .LBB35_49
; %bb.45:
	s_movk_i32 s0, 0x100
	v_cmp_gt_u32_e32 vcc, s0, v0
	s_waitcnt vmcnt(0)
	v_lshlrev_b32_e32 v1, 4, v0
	v_mov_b32_e32 v3, 0
	v_mov_b32_e32 v2, v0
	s_mov_b32 s2, s16
	s_branch .LBB35_47
.LBB35_46:                              ;   in Loop: Header=BB35_47 Depth=1
	s_or_b64 exec, exec, s[0:1]
	s_add_i32 s2, s2, 8
	v_add_u32_e32 v2, 0x100, v2
	s_cmp_lt_u32 s2, s17
	v_add_u32_e32 v1, 0x1000, v1
	s_cbranch_scc0 .LBB35_49
.LBB35_47:                              ; =>This Inner Loop Header: Depth=1
	s_and_saveexec_b64 s[0:1], vcc
	s_cbranch_execz .LBB35_46
; %bb.48:                               ;   in Loop: Header=BB35_47 Depth=1
	ds_read2_b32 v[4:5], v1 offset1:1
	ds_read2_b32 v[6:7], v1 offset0:2 offset1:3
	v_lshl_add_u64 v[8:9], v[2:3], 3, s[10:11]
	s_waitcnt lgkmcnt(1)
	v_add_u32_e32 v4, v5, v4
	s_waitcnt lgkmcnt(0)
	v_add3_u32 v4, v4, v6, v7
	v_mov_b32_e32 v5, v3
	global_atomic_add_x2 v[8:9], v[4:5], off
	s_branch .LBB35_46
.LBB35_49:
	s_mov_b64 s[0:1], 0
.LBB35_50:
	s_and_b64 vcc, exec, s[0:1]
	s_cbranch_vccz .LBB35_86
; %bb.51:
	global_load_ubyte v1, v0, s[18:19]
	global_load_ubyte v4, v0, s[18:19] offset:512
	global_load_ubyte v5, v0, s[18:19] offset:1024
	;; [unrolled: 1-line block ×5, first 2 shown]
	s_cmp_eq_u32 s16, 0
	s_cselect_b64 s[2:3], -1, 0
	s_cmp_eq_u32 s17, 8
	s_cselect_b64 s[4:5], -1, 0
	s_mov_b32 s0, 0
	s_and_b64 s[4:5], s[2:3], s[4:5]
	s_mov_b32 s1, 1
	v_mov_b32_e32 v2, 0
	s_mov_b64 s[2:3], -1
	s_and_b64 vcc, exec, s[4:5]
	v_lshlrev_b32_e32 v9, 2, v0
	s_cbranch_vccnz .LBB35_77
; %bb.52:
	v_lshlrev_b32_e32 v3, 2, v0
	s_mov_b64 s[2:3], 0
	s_mov_b32 s4, s0
	s_branch .LBB35_54
.LBB35_53:                              ;   in Loop: Header=BB35_54 Depth=1
	s_or_b64 exec, exec, s[8:9]
	s_add_i32 s4, s4, 2
	v_cmp_eq_u32_e64 s[6:7], 2, s4
	s_or_b64 s[2:3], s[6:7], s[2:3]
	v_add_u32_e32 v3, 0x1000, v3
	s_andn2_b64 exec, exec, s[2:3]
	s_cbranch_execz .LBB35_58
.LBB35_54:                              ; =>This Inner Loop Header: Depth=1
	s_mov_b32 s5, s4
	s_or_b64 s[8:9], s[4:5], s[0:1]
	v_cmp_le_u32_e64 s[6:7], s9, 1
	v_cmp_le_u32_e64 s[12:13], s8, 1
	s_and_saveexec_b64 s[8:9], s[12:13]
; %bb.55:                               ;   in Loop: Header=BB35_54 Depth=1
	ds_write_b32 v3, v2
; %bb.56:                               ;   in Loop: Header=BB35_54 Depth=1
	s_or_b64 exec, exec, s[8:9]
	s_and_saveexec_b64 s[8:9], s[6:7]
	s_cbranch_execz .LBB35_53
; %bb.57:                               ;   in Loop: Header=BB35_54 Depth=1
	ds_write_b32 v3, v2 offset:2048
	s_branch .LBB35_53
.LBB35_58:
	s_or_b64 exec, exec, s[2:3]
	s_cmp_gt_u32 s17, s16
	s_cselect_b64 s[0:1], -1, 0
	s_cmp_le_u32 s17, s16
	s_waitcnt lgkmcnt(0)
	s_barrier
	s_cbranch_scc1 .LBB35_71
; %bb.59:
	v_and_b32_e32 v2, 3, v0
	v_lshlrev_b32_e32 v2, 2, v2
	s_sub_i32 s2, s17, s16
	s_waitcnt vmcnt(5)
	v_xor_b32_e32 v3, 0x7f, v1
	v_mov_b32_e32 v10, 1
	s_mov_b32 s3, s2
	v_mov_b32_e32 v11, v2
	s_mov_b32 s4, s16
.LBB35_60:                              ; =>This Inner Loop Header: Depth=1
	s_min_u32 s5, s3, 8
	v_lshrrev_b32_sdwa v12, s4, v3 dst_sel:DWORD dst_unused:UNUSED_PAD src0_sel:DWORD src1_sel:BYTE_0
	v_bfe_u32 v12, v12, 0, s5
	v_lshl_add_u32 v12, v12, 4, v11
	ds_add_u32 v12, v10
	s_add_i32 s4, s4, 8
	s_add_i32 s3, s3, -8
	s_cmp_ge_u32 s4, s17
	v_add_u32_e32 v11, 0x1000, v11
	s_cbranch_scc0 .LBB35_60
; %bb.61:
	s_waitcnt vmcnt(4)
	v_xor_b32_e32 v3, 0x7f, v4
	v_mov_b32_e32 v10, 1
	s_mov_b32 s3, s2
	v_mov_b32_e32 v11, v2
	s_mov_b32 s4, s16
.LBB35_62:                              ; =>This Inner Loop Header: Depth=1
	s_min_u32 s5, s3, 8
	v_lshrrev_b32_sdwa v12, s4, v3 dst_sel:DWORD dst_unused:UNUSED_PAD src0_sel:DWORD src1_sel:BYTE_0
	v_bfe_u32 v12, v12, 0, s5
	v_lshl_add_u32 v12, v12, 4, v11
	ds_add_u32 v12, v10
	s_add_i32 s4, s4, 8
	s_add_i32 s3, s3, -8
	s_cmp_lt_u32 s4, s17
	v_add_u32_e32 v11, 0x1000, v11
	s_cbranch_scc1 .LBB35_62
; %bb.63:
	s_waitcnt vmcnt(3)
	v_xor_b32_e32 v3, 0x7f, v5
	v_mov_b32_e32 v10, 1
	s_mov_b32 s3, s2
	v_mov_b32_e32 v11, v2
	s_mov_b32 s4, s16
.LBB35_64:                              ; =>This Inner Loop Header: Depth=1
	s_min_u32 s5, s3, 8
	v_lshrrev_b32_sdwa v12, s4, v3 dst_sel:DWORD dst_unused:UNUSED_PAD src0_sel:DWORD src1_sel:BYTE_0
	v_bfe_u32 v12, v12, 0, s5
	v_lshl_add_u32 v12, v12, 4, v11
	ds_add_u32 v12, v10
	s_add_i32 s4, s4, 8
	s_add_i32 s3, s3, -8
	s_cmp_lt_u32 s4, s17
	v_add_u32_e32 v11, 0x1000, v11
	s_cbranch_scc1 .LBB35_64
	;; [unrolled: 18-line block ×4, first 2 shown]
; %bb.69:
	s_waitcnt vmcnt(0)
	v_xor_b32_e32 v3, 0x7f, v8
	v_mov_b32_e32 v10, 1
	s_mov_b32 s3, s16
.LBB35_70:                              ; =>This Inner Loop Header: Depth=1
	s_min_u32 s4, s2, 8
	v_lshrrev_b32_sdwa v11, s3, v3 dst_sel:DWORD dst_unused:UNUSED_PAD src0_sel:DWORD src1_sel:BYTE_0
	v_bfe_u32 v11, v11, 0, s4
	v_lshl_add_u32 v11, v11, 4, v2
	ds_add_u32 v11, v10
	s_add_i32 s3, s3, 8
	s_add_i32 s2, s2, -8
	s_cmp_lt_u32 s3, s17
	v_add_u32_e32 v2, 0x1000, v2
	s_cbranch_scc1 .LBB35_70
.LBB35_71:
	s_and_b64 vcc, exec, s[0:1]
	s_waitcnt lgkmcnt(0)
	s_barrier
	s_cbranch_vccz .LBB35_76
; %bb.72:
	s_movk_i32 s0, 0x100
	v_cmp_gt_u32_e32 vcc, s0, v0
	v_lshlrev_b32_e32 v10, 4, v0
	v_mov_b32_e32 v3, 0
	v_mov_b32_e32 v2, v0
	s_branch .LBB35_74
.LBB35_73:                              ;   in Loop: Header=BB35_74 Depth=1
	s_or_b64 exec, exec, s[0:1]
	s_add_i32 s16, s16, 8
	v_add_u32_e32 v2, 0x100, v2
	s_cmp_ge_u32 s16, s17
	v_add_u32_e32 v10, 0x1000, v10
	s_cbranch_scc1 .LBB35_76
.LBB35_74:                              ; =>This Inner Loop Header: Depth=1
	s_and_saveexec_b64 s[0:1], vcc
	s_cbranch_execz .LBB35_73
; %bb.75:                               ;   in Loop: Header=BB35_74 Depth=1
	ds_read2_b32 v[12:13], v10 offset1:1
	ds_read2_b32 v[14:15], v10 offset0:2 offset1:3
	v_lshl_add_u64 v[16:17], v[2:3], 3, s[10:11]
	s_waitcnt lgkmcnt(1)
	v_add_u32_e32 v11, v13, v12
	s_waitcnt lgkmcnt(0)
	v_add3_u32 v12, v11, v14, v15
	v_mov_b32_e32 v13, v3
	global_atomic_add_x2 v[16:17], v[12:13], off
	s_branch .LBB35_73
.LBB35_76:
	s_mov_b64 s[2:3], 0
.LBB35_77:
	s_and_b64 vcc, exec, s[2:3]
	s_cbranch_vccz .LBB35_86
; %bb.78:
	s_mov_b32 s0, 0
	s_mov_b32 s1, 1
	s_mov_b64 s[2:3], 0
	v_mov_b32_e32 v2, 0
	s_mov_b32 s4, s0
	s_branch .LBB35_80
.LBB35_79:                              ;   in Loop: Header=BB35_80 Depth=1
	s_or_b64 exec, exec, s[8:9]
	s_add_i32 s4, s4, 2
	v_cmp_eq_u32_e64 s[6:7], 2, s4
	s_or_b64 s[2:3], s[6:7], s[2:3]
	v_add_u32_e32 v9, 0x1000, v9
	s_andn2_b64 exec, exec, s[2:3]
	s_cbranch_execz .LBB35_84
.LBB35_80:                              ; =>This Inner Loop Header: Depth=1
	s_mov_b32 s5, s4
	s_or_b64 s[8:9], s[4:5], s[0:1]
	v_cmp_le_u32_e64 s[6:7], s9, 1
	v_cmp_le_u32_e64 s[12:13], s8, 1
	s_and_saveexec_b64 s[8:9], s[12:13]
; %bb.81:                               ;   in Loop: Header=BB35_80 Depth=1
	ds_write_b32 v9, v2
; %bb.82:                               ;   in Loop: Header=BB35_80 Depth=1
	s_or_b64 exec, exec, s[8:9]
	s_and_saveexec_b64 s[8:9], s[6:7]
	s_cbranch_execz .LBB35_79
; %bb.83:                               ;   in Loop: Header=BB35_80 Depth=1
	ds_write_b32 v9, v2 offset:2048
	s_branch .LBB35_79
.LBB35_84:
	s_or_b64 exec, exec, s[2:3]
	s_waitcnt vmcnt(5)
	v_xor_b32_e32 v1, 0x7f, v1
	s_waitcnt vmcnt(3)
	v_xor_b32_e32 v3, 0x7f, v5
	;; [unrolled: 2-line block ×3, first 2 shown]
	v_and_b32_e32 v7, 3, v0
	v_and_b32_e32 v1, 0xff, v1
	v_lshlrev_b32_e32 v7, 2, v7
	v_xor_b32_e32 v2, 0x7f, v4
	v_xor_b32_e32 v4, 0x7f, v6
	s_waitcnt vmcnt(0)
	v_xor_b32_e32 v6, 0x7f, v8
	v_lshl_or_b32 v1, v1, 4, v7
	v_mov_b32_e32 v8, 1
	s_waitcnt lgkmcnt(0)
	s_barrier
	ds_add_u32 v1, v8
	v_and_b32_e32 v1, 0xff, v2
	v_lshl_or_b32 v1, v1, 4, v7
	ds_add_u32 v1, v8
	v_and_b32_e32 v1, 0xff, v3
	v_lshl_or_b32 v1, v1, 4, v7
	;; [unrolled: 3-line block ×5, first 2 shown]
	ds_add_u32 v1, v8
	s_movk_i32 s0, 0x100
	v_cmp_gt_u32_e32 vcc, s0, v0
	s_waitcnt lgkmcnt(0)
	s_barrier
	s_and_saveexec_b64 s[0:1], vcc
	s_cbranch_execz .LBB35_86
; %bb.85:
	v_lshlrev_b32_e32 v1, 4, v0
	ds_read2_b32 v[2:3], v1 offset1:1
	ds_read2_b32 v[4:5], v1 offset0:2 offset1:3
	v_lshlrev_b32_e32 v6, 3, v0
	v_mov_b32_e32 v1, 0
	s_waitcnt lgkmcnt(1)
	v_add_u32_e32 v0, v3, v2
	s_waitcnt lgkmcnt(0)
	v_add3_u32 v0, v0, v4, v5
	global_atomic_add_x2 v6, v[0:1], s[10:11]
.LBB35_86:
	s_endpgm
	.section	.rodata,"a",@progbits
	.p2align	6, 0x0
	.amdhsa_kernel _ZN7rocprim17ROCPRIM_304000_NS6detail26onesweep_histograms_kernelINS1_34wrapped_radix_sort_onesweep_configINS0_14default_configEaN2at4cuda3cub6detail10OpaqueTypeILi8EEEEELb1EPKamNS0_19identity_decomposerEEEvT1_PT2_SG_SG_T3_jj
		.amdhsa_group_segment_fixed_size 4096
		.amdhsa_private_segment_fixed_size 0
		.amdhsa_kernarg_size 44
		.amdhsa_user_sgpr_count 2
		.amdhsa_user_sgpr_dispatch_ptr 0
		.amdhsa_user_sgpr_queue_ptr 0
		.amdhsa_user_sgpr_kernarg_segment_ptr 1
		.amdhsa_user_sgpr_dispatch_id 0
		.amdhsa_user_sgpr_kernarg_preload_length 0
		.amdhsa_user_sgpr_kernarg_preload_offset 0
		.amdhsa_user_sgpr_private_segment_size 0
		.amdhsa_uses_dynamic_stack 0
		.amdhsa_enable_private_segment 0
		.amdhsa_system_sgpr_workgroup_id_x 1
		.amdhsa_system_sgpr_workgroup_id_y 0
		.amdhsa_system_sgpr_workgroup_id_z 0
		.amdhsa_system_sgpr_workgroup_info 0
		.amdhsa_system_vgpr_workitem_id 0
		.amdhsa_next_free_vgpr 18
		.amdhsa_next_free_sgpr 28
		.amdhsa_accum_offset 20
		.amdhsa_reserve_vcc 1
		.amdhsa_float_round_mode_32 0
		.amdhsa_float_round_mode_16_64 0
		.amdhsa_float_denorm_mode_32 3
		.amdhsa_float_denorm_mode_16_64 3
		.amdhsa_dx10_clamp 1
		.amdhsa_ieee_mode 1
		.amdhsa_fp16_overflow 0
		.amdhsa_tg_split 0
		.amdhsa_exception_fp_ieee_invalid_op 0
		.amdhsa_exception_fp_denorm_src 0
		.amdhsa_exception_fp_ieee_div_zero 0
		.amdhsa_exception_fp_ieee_overflow 0
		.amdhsa_exception_fp_ieee_underflow 0
		.amdhsa_exception_fp_ieee_inexact 0
		.amdhsa_exception_int_div_zero 0
	.end_amdhsa_kernel
	.section	.text._ZN7rocprim17ROCPRIM_304000_NS6detail26onesweep_histograms_kernelINS1_34wrapped_radix_sort_onesweep_configINS0_14default_configEaN2at4cuda3cub6detail10OpaqueTypeILi8EEEEELb1EPKamNS0_19identity_decomposerEEEvT1_PT2_SG_SG_T3_jj,"axG",@progbits,_ZN7rocprim17ROCPRIM_304000_NS6detail26onesweep_histograms_kernelINS1_34wrapped_radix_sort_onesweep_configINS0_14default_configEaN2at4cuda3cub6detail10OpaqueTypeILi8EEEEELb1EPKamNS0_19identity_decomposerEEEvT1_PT2_SG_SG_T3_jj,comdat
.Lfunc_end35:
	.size	_ZN7rocprim17ROCPRIM_304000_NS6detail26onesweep_histograms_kernelINS1_34wrapped_radix_sort_onesweep_configINS0_14default_configEaN2at4cuda3cub6detail10OpaqueTypeILi8EEEEELb1EPKamNS0_19identity_decomposerEEEvT1_PT2_SG_SG_T3_jj, .Lfunc_end35-_ZN7rocprim17ROCPRIM_304000_NS6detail26onesweep_histograms_kernelINS1_34wrapped_radix_sort_onesweep_configINS0_14default_configEaN2at4cuda3cub6detail10OpaqueTypeILi8EEEEELb1EPKamNS0_19identity_decomposerEEEvT1_PT2_SG_SG_T3_jj
                                        ; -- End function
	.set _ZN7rocprim17ROCPRIM_304000_NS6detail26onesweep_histograms_kernelINS1_34wrapped_radix_sort_onesweep_configINS0_14default_configEaN2at4cuda3cub6detail10OpaqueTypeILi8EEEEELb1EPKamNS0_19identity_decomposerEEEvT1_PT2_SG_SG_T3_jj.num_vgpr, 18
	.set _ZN7rocprim17ROCPRIM_304000_NS6detail26onesweep_histograms_kernelINS1_34wrapped_radix_sort_onesweep_configINS0_14default_configEaN2at4cuda3cub6detail10OpaqueTypeILi8EEEEELb1EPKamNS0_19identity_decomposerEEEvT1_PT2_SG_SG_T3_jj.num_agpr, 0
	.set _ZN7rocprim17ROCPRIM_304000_NS6detail26onesweep_histograms_kernelINS1_34wrapped_radix_sort_onesweep_configINS0_14default_configEaN2at4cuda3cub6detail10OpaqueTypeILi8EEEEELb1EPKamNS0_19identity_decomposerEEEvT1_PT2_SG_SG_T3_jj.numbered_sgpr, 28
	.set _ZN7rocprim17ROCPRIM_304000_NS6detail26onesweep_histograms_kernelINS1_34wrapped_radix_sort_onesweep_configINS0_14default_configEaN2at4cuda3cub6detail10OpaqueTypeILi8EEEEELb1EPKamNS0_19identity_decomposerEEEvT1_PT2_SG_SG_T3_jj.num_named_barrier, 0
	.set _ZN7rocprim17ROCPRIM_304000_NS6detail26onesweep_histograms_kernelINS1_34wrapped_radix_sort_onesweep_configINS0_14default_configEaN2at4cuda3cub6detail10OpaqueTypeILi8EEEEELb1EPKamNS0_19identity_decomposerEEEvT1_PT2_SG_SG_T3_jj.private_seg_size, 0
	.set _ZN7rocprim17ROCPRIM_304000_NS6detail26onesweep_histograms_kernelINS1_34wrapped_radix_sort_onesweep_configINS0_14default_configEaN2at4cuda3cub6detail10OpaqueTypeILi8EEEEELb1EPKamNS0_19identity_decomposerEEEvT1_PT2_SG_SG_T3_jj.uses_vcc, 1
	.set _ZN7rocprim17ROCPRIM_304000_NS6detail26onesweep_histograms_kernelINS1_34wrapped_radix_sort_onesweep_configINS0_14default_configEaN2at4cuda3cub6detail10OpaqueTypeILi8EEEEELb1EPKamNS0_19identity_decomposerEEEvT1_PT2_SG_SG_T3_jj.uses_flat_scratch, 0
	.set _ZN7rocprim17ROCPRIM_304000_NS6detail26onesweep_histograms_kernelINS1_34wrapped_radix_sort_onesweep_configINS0_14default_configEaN2at4cuda3cub6detail10OpaqueTypeILi8EEEEELb1EPKamNS0_19identity_decomposerEEEvT1_PT2_SG_SG_T3_jj.has_dyn_sized_stack, 0
	.set _ZN7rocprim17ROCPRIM_304000_NS6detail26onesweep_histograms_kernelINS1_34wrapped_radix_sort_onesweep_configINS0_14default_configEaN2at4cuda3cub6detail10OpaqueTypeILi8EEEEELb1EPKamNS0_19identity_decomposerEEEvT1_PT2_SG_SG_T3_jj.has_recursion, 0
	.set _ZN7rocprim17ROCPRIM_304000_NS6detail26onesweep_histograms_kernelINS1_34wrapped_radix_sort_onesweep_configINS0_14default_configEaN2at4cuda3cub6detail10OpaqueTypeILi8EEEEELb1EPKamNS0_19identity_decomposerEEEvT1_PT2_SG_SG_T3_jj.has_indirect_call, 0
	.section	.AMDGPU.csdata,"",@progbits
; Kernel info:
; codeLenInByte = 2620
; TotalNumSgprs: 34
; NumVgprs: 18
; NumAgprs: 0
; TotalNumVgprs: 18
; ScratchSize: 0
; MemoryBound: 0
; FloatMode: 240
; IeeeMode: 1
; LDSByteSize: 4096 bytes/workgroup (compile time only)
; SGPRBlocks: 4
; VGPRBlocks: 2
; NumSGPRsForWavesPerEU: 34
; NumVGPRsForWavesPerEU: 18
; AccumOffset: 20
; Occupancy: 8
; WaveLimiterHint : 1
; COMPUTE_PGM_RSRC2:SCRATCH_EN: 0
; COMPUTE_PGM_RSRC2:USER_SGPR: 2
; COMPUTE_PGM_RSRC2:TRAP_HANDLER: 0
; COMPUTE_PGM_RSRC2:TGID_X_EN: 1
; COMPUTE_PGM_RSRC2:TGID_Y_EN: 0
; COMPUTE_PGM_RSRC2:TGID_Z_EN: 0
; COMPUTE_PGM_RSRC2:TIDIG_COMP_CNT: 0
; COMPUTE_PGM_RSRC3_GFX90A:ACCUM_OFFSET: 4
; COMPUTE_PGM_RSRC3_GFX90A:TG_SPLIT: 0
	.section	.text._ZN7rocprim17ROCPRIM_304000_NS6detail31onesweep_scan_histograms_kernelINS1_34wrapped_radix_sort_onesweep_configINS0_14default_configEaN2at4cuda3cub6detail10OpaqueTypeILi8EEEEEmEEvPT0_,"axG",@progbits,_ZN7rocprim17ROCPRIM_304000_NS6detail31onesweep_scan_histograms_kernelINS1_34wrapped_radix_sort_onesweep_configINS0_14default_configEaN2at4cuda3cub6detail10OpaqueTypeILi8EEEEEmEEvPT0_,comdat
	.protected	_ZN7rocprim17ROCPRIM_304000_NS6detail31onesweep_scan_histograms_kernelINS1_34wrapped_radix_sort_onesweep_configINS0_14default_configEaN2at4cuda3cub6detail10OpaqueTypeILi8EEEEEmEEvPT0_ ; -- Begin function _ZN7rocprim17ROCPRIM_304000_NS6detail31onesweep_scan_histograms_kernelINS1_34wrapped_radix_sort_onesweep_configINS0_14default_configEaN2at4cuda3cub6detail10OpaqueTypeILi8EEEEEmEEvPT0_
	.globl	_ZN7rocprim17ROCPRIM_304000_NS6detail31onesweep_scan_histograms_kernelINS1_34wrapped_radix_sort_onesweep_configINS0_14default_configEaN2at4cuda3cub6detail10OpaqueTypeILi8EEEEEmEEvPT0_
	.p2align	8
	.type	_ZN7rocprim17ROCPRIM_304000_NS6detail31onesweep_scan_histograms_kernelINS1_34wrapped_radix_sort_onesweep_configINS0_14default_configEaN2at4cuda3cub6detail10OpaqueTypeILi8EEEEEmEEvPT0_,@function
_ZN7rocprim17ROCPRIM_304000_NS6detail31onesweep_scan_histograms_kernelINS1_34wrapped_radix_sort_onesweep_configINS0_14default_configEaN2at4cuda3cub6detail10OpaqueTypeILi8EEEEEmEEvPT0_: ; @_ZN7rocprim17ROCPRIM_304000_NS6detail31onesweep_scan_histograms_kernelINS1_34wrapped_radix_sort_onesweep_configINS0_14default_configEaN2at4cuda3cub6detail10OpaqueTypeILi8EEEEEmEEvPT0_
; %bb.0:
	s_load_dwordx2 s[0:1], s[0:1], 0x0
	s_lshl_b32 s2, s2, 8
	s_mov_b32 s3, 0
	s_lshl_b64 s[2:3], s[2:3], 3
	v_lshlrev_b32_e32 v8, 3, v0
	s_waitcnt lgkmcnt(0)
	s_add_u32 s6, s0, s2
	s_movk_i32 s0, 0x100
	s_addc_u32 s7, s1, s3
	v_cmp_gt_u32_e32 vcc, s0, v0
                                        ; implicit-def: $vgpr2_vgpr3
	s_and_saveexec_b64 s[0:1], vcc
	s_cbranch_execz .LBB36_2
; %bb.1:
	global_load_dwordx2 v[2:3], v8, s[6:7]
.LBB36_2:
	s_or_b64 exec, exec, s[0:1]
	v_mbcnt_lo_u32_b32 v1, -1, 0
	v_mov_b32_e32 v6, 0
	v_mbcnt_hi_u32_b32 v9, -1, v1
	s_waitcnt vmcnt(0)
	v_mov_b32_dpp v4, v2 row_shr:1 row_mask:0xf bank_mask:0xf
	v_mov_b32_e32 v5, v6
	v_and_b32_e32 v1, 15, v9
	v_mov_b32_dpp v7, v3 row_shr:1 row_mask:0xf bank_mask:0xf
	v_lshl_add_u64 v[4:5], v[2:3], 0, v[4:5]
	v_lshl_add_u64 v[6:7], v[6:7], 0, v[4:5]
	v_cmp_eq_u32_e64 s[0:1], 0, v1
	v_cmp_ne_u32_e64 s[4:5], 0, v9
	s_nop 0
	v_cndmask_b32_e64 v10, v4, v2, s[0:1]
	v_cndmask_b32_e64 v5, v7, v3, s[0:1]
	v_cndmask_b32_e64 v4, v6, v2, s[0:1]
	v_mov_b32_dpp v6, v10 row_shr:2 row_mask:0xf bank_mask:0xf
	v_mov_b32_dpp v7, v5 row_shr:2 row_mask:0xf bank_mask:0xf
	v_lshl_add_u64 v[6:7], v[6:7], 0, v[4:5]
	v_cmp_lt_u32_e64 s[0:1], 1, v1
	s_nop 1
	v_cndmask_b32_e64 v10, v10, v6, s[0:1]
	v_cndmask_b32_e64 v5, v5, v7, s[0:1]
	v_cndmask_b32_e64 v4, v4, v6, s[0:1]
	v_mov_b32_dpp v6, v10 row_shr:4 row_mask:0xf bank_mask:0xf
	v_mov_b32_dpp v7, v5 row_shr:4 row_mask:0xf bank_mask:0xf
	v_lshl_add_u64 v[6:7], v[6:7], 0, v[4:5]
	v_cmp_lt_u32_e64 s[0:1], 3, v1
	;; [unrolled: 8-line block ×3, first 2 shown]
	s_nop 1
	v_cndmask_b32_e64 v1, v10, v6, s[0:1]
	v_cndmask_b32_e64 v5, v5, v7, s[0:1]
	;; [unrolled: 1-line block ×3, first 2 shown]
	v_mov_b32_dpp v6, v1 row_bcast:15 row_mask:0xf bank_mask:0xf
	v_mov_b32_dpp v7, v5 row_bcast:15 row_mask:0xf bank_mask:0xf
	v_and_b32_e32 v10, 16, v9
	v_lshl_add_u64 v[6:7], v[6:7], 0, v[4:5]
	v_cmp_eq_u32_e64 s[2:3], 0, v10
	v_cmp_eq_u32_e64 s[0:1], 0, v9
	s_nop 0
	v_cndmask_b32_e64 v10, v7, v5, s[2:3]
	v_cndmask_b32_e64 v1, v6, v1, s[2:3]
	s_nop 0
	v_mov_b32_dpp v10, v10 row_bcast:31 row_mask:0xf bank_mask:0xf
	v_mov_b32_dpp v1, v1 row_bcast:31 row_mask:0xf bank_mask:0xf
	s_and_saveexec_b64 s[8:9], s[4:5]
; %bb.3:
	v_cndmask_b32_e64 v3, v7, v5, s[2:3]
	v_cndmask_b32_e64 v2, v6, v4, s[2:3]
	v_cmp_lt_u32_e64 s[2:3], 31, v9
	s_nop 1
	v_cndmask_b32_e64 v5, 0, v10, s[2:3]
	v_cndmask_b32_e64 v4, 0, v1, s[2:3]
	v_lshl_add_u64 v[2:3], v[4:5], 0, v[2:3]
; %bb.4:
	s_or_b64 exec, exec, s[8:9]
	v_or_b32_e32 v1, 63, v0
	v_lshrrev_b32_e32 v4, 6, v0
	v_cmp_eq_u32_e64 s[2:3], v0, v1
	s_and_saveexec_b64 s[4:5], s[2:3]
; %bb.5:
	v_lshlrev_b32_e32 v1, 3, v4
	ds_write_b64 v1, v[2:3]
; %bb.6:
	s_or_b64 exec, exec, s[4:5]
	v_cmp_gt_u32_e64 s[2:3], 8, v0
	s_waitcnt lgkmcnt(0)
	s_barrier
	s_and_saveexec_b64 s[4:5], s[2:3]
	s_cbranch_execz .LBB36_8
; %bb.7:
	ds_read_b64 v[6:7], v8
	v_mov_b32_e32 v10, 0
	v_and_b32_e32 v1, 7, v9
	v_mov_b32_e32 v13, v10
	v_cmp_eq_u32_e64 s[2:3], 0, v1
	s_waitcnt lgkmcnt(0)
	v_mov_b32_dpp v12, v6 row_shr:1 row_mask:0xf bank_mask:0xf
	v_mov_b32_dpp v11, v7 row_shr:1 row_mask:0xf bank_mask:0xf
	v_lshl_add_u64 v[12:13], v[6:7], 0, v[12:13]
	v_lshl_add_u64 v[14:15], v[10:11], 0, v[12:13]
	v_cndmask_b32_e64 v5, v12, v6, s[2:3]
	v_cndmask_b32_e64 v15, v15, v7, s[2:3]
	;; [unrolled: 1-line block ×3, first 2 shown]
	v_mov_b32_dpp v6, v5 row_shr:2 row_mask:0xf bank_mask:0xf
	v_mov_b32_e32 v7, v10
	v_mov_b32_dpp v11, v15 row_shr:2 row_mask:0xf bank_mask:0xf
	v_lshl_add_u64 v[6:7], v[14:15], 0, v[6:7]
	v_lshl_add_u64 v[10:11], v[6:7], 0, v[10:11]
	v_cmp_lt_u32_e64 s[2:3], 1, v1
	s_nop 1
	v_cndmask_b32_e64 v11, v15, v11, s[2:3]
	v_cndmask_b32_e64 v5, v5, v6, s[2:3]
	;; [unrolled: 1-line block ×3, first 2 shown]
	v_mov_b32_dpp v7, v11 row_shr:4 row_mask:0xf bank_mask:0xf
	v_mov_b32_dpp v5, v5 row_shr:4 row_mask:0xf bank_mask:0xf
	v_cmp_lt_u32_e64 s[2:3], 3, v1
	s_nop 1
	v_cndmask_b32_e64 v6, 0, v5, s[2:3]
	v_cndmask_b32_e64 v7, 0, v7, s[2:3]
	v_lshl_add_u64 v[6:7], v[6:7], 0, v[10:11]
	ds_write_b64 v8, v[6:7]
.LBB36_8:
	s_or_b64 exec, exec, s[4:5]
	v_cmp_lt_u32_e64 s[2:3], 63, v0
	v_mov_b64_e32 v[0:1], 0
	s_waitcnt lgkmcnt(0)
	s_barrier
	s_and_saveexec_b64 s[4:5], s[2:3]
; %bb.9:
	v_lshl_add_u32 v0, v4, 3, -8
	ds_read_b64 v[0:1], v0
; %bb.10:
	s_or_b64 exec, exec, s[4:5]
	v_add_u32_e32 v4, -1, v9
	v_and_b32_e32 v5, 64, v9
	v_cmp_lt_i32_e64 s[2:3], v4, v5
	s_waitcnt lgkmcnt(0)
	v_lshl_add_u64 v[2:3], v[0:1], 0, v[2:3]
	v_cndmask_b32_e64 v4, v4, v9, s[2:3]
	v_lshlrev_b32_e32 v4, 2, v4
	ds_bpermute_b32 v2, v4, v2
	ds_bpermute_b32 v3, v4, v3
	s_and_saveexec_b64 s[2:3], vcc
	s_cbranch_execz .LBB36_12
; %bb.11:
	s_waitcnt lgkmcnt(0)
	v_cndmask_b32_e64 v1, v3, v1, s[0:1]
	v_cndmask_b32_e64 v0, v2, v0, s[0:1]
	global_store_dwordx2 v8, v[0:1], s[6:7]
.LBB36_12:
	s_endpgm
	.section	.rodata,"a",@progbits
	.p2align	6, 0x0
	.amdhsa_kernel _ZN7rocprim17ROCPRIM_304000_NS6detail31onesweep_scan_histograms_kernelINS1_34wrapped_radix_sort_onesweep_configINS0_14default_configEaN2at4cuda3cub6detail10OpaqueTypeILi8EEEEEmEEvPT0_
		.amdhsa_group_segment_fixed_size 64
		.amdhsa_private_segment_fixed_size 0
		.amdhsa_kernarg_size 8
		.amdhsa_user_sgpr_count 2
		.amdhsa_user_sgpr_dispatch_ptr 0
		.amdhsa_user_sgpr_queue_ptr 0
		.amdhsa_user_sgpr_kernarg_segment_ptr 1
		.amdhsa_user_sgpr_dispatch_id 0
		.amdhsa_user_sgpr_kernarg_preload_length 0
		.amdhsa_user_sgpr_kernarg_preload_offset 0
		.amdhsa_user_sgpr_private_segment_size 0
		.amdhsa_uses_dynamic_stack 0
		.amdhsa_enable_private_segment 0
		.amdhsa_system_sgpr_workgroup_id_x 1
		.amdhsa_system_sgpr_workgroup_id_y 0
		.amdhsa_system_sgpr_workgroup_id_z 0
		.amdhsa_system_sgpr_workgroup_info 0
		.amdhsa_system_vgpr_workitem_id 0
		.amdhsa_next_free_vgpr 16
		.amdhsa_next_free_sgpr 10
		.amdhsa_accum_offset 16
		.amdhsa_reserve_vcc 1
		.amdhsa_float_round_mode_32 0
		.amdhsa_float_round_mode_16_64 0
		.amdhsa_float_denorm_mode_32 3
		.amdhsa_float_denorm_mode_16_64 3
		.amdhsa_dx10_clamp 1
		.amdhsa_ieee_mode 1
		.amdhsa_fp16_overflow 0
		.amdhsa_tg_split 0
		.amdhsa_exception_fp_ieee_invalid_op 0
		.amdhsa_exception_fp_denorm_src 0
		.amdhsa_exception_fp_ieee_div_zero 0
		.amdhsa_exception_fp_ieee_overflow 0
		.amdhsa_exception_fp_ieee_underflow 0
		.amdhsa_exception_fp_ieee_inexact 0
		.amdhsa_exception_int_div_zero 0
	.end_amdhsa_kernel
	.section	.text._ZN7rocprim17ROCPRIM_304000_NS6detail31onesweep_scan_histograms_kernelINS1_34wrapped_radix_sort_onesweep_configINS0_14default_configEaN2at4cuda3cub6detail10OpaqueTypeILi8EEEEEmEEvPT0_,"axG",@progbits,_ZN7rocprim17ROCPRIM_304000_NS6detail31onesweep_scan_histograms_kernelINS1_34wrapped_radix_sort_onesweep_configINS0_14default_configEaN2at4cuda3cub6detail10OpaqueTypeILi8EEEEEmEEvPT0_,comdat
.Lfunc_end36:
	.size	_ZN7rocprim17ROCPRIM_304000_NS6detail31onesweep_scan_histograms_kernelINS1_34wrapped_radix_sort_onesweep_configINS0_14default_configEaN2at4cuda3cub6detail10OpaqueTypeILi8EEEEEmEEvPT0_, .Lfunc_end36-_ZN7rocprim17ROCPRIM_304000_NS6detail31onesweep_scan_histograms_kernelINS1_34wrapped_radix_sort_onesweep_configINS0_14default_configEaN2at4cuda3cub6detail10OpaqueTypeILi8EEEEEmEEvPT0_
                                        ; -- End function
	.set _ZN7rocprim17ROCPRIM_304000_NS6detail31onesweep_scan_histograms_kernelINS1_34wrapped_radix_sort_onesweep_configINS0_14default_configEaN2at4cuda3cub6detail10OpaqueTypeILi8EEEEEmEEvPT0_.num_vgpr, 16
	.set _ZN7rocprim17ROCPRIM_304000_NS6detail31onesweep_scan_histograms_kernelINS1_34wrapped_radix_sort_onesweep_configINS0_14default_configEaN2at4cuda3cub6detail10OpaqueTypeILi8EEEEEmEEvPT0_.num_agpr, 0
	.set _ZN7rocprim17ROCPRIM_304000_NS6detail31onesweep_scan_histograms_kernelINS1_34wrapped_radix_sort_onesweep_configINS0_14default_configEaN2at4cuda3cub6detail10OpaqueTypeILi8EEEEEmEEvPT0_.numbered_sgpr, 10
	.set _ZN7rocprim17ROCPRIM_304000_NS6detail31onesweep_scan_histograms_kernelINS1_34wrapped_radix_sort_onesweep_configINS0_14default_configEaN2at4cuda3cub6detail10OpaqueTypeILi8EEEEEmEEvPT0_.num_named_barrier, 0
	.set _ZN7rocprim17ROCPRIM_304000_NS6detail31onesweep_scan_histograms_kernelINS1_34wrapped_radix_sort_onesweep_configINS0_14default_configEaN2at4cuda3cub6detail10OpaqueTypeILi8EEEEEmEEvPT0_.private_seg_size, 0
	.set _ZN7rocprim17ROCPRIM_304000_NS6detail31onesweep_scan_histograms_kernelINS1_34wrapped_radix_sort_onesweep_configINS0_14default_configEaN2at4cuda3cub6detail10OpaqueTypeILi8EEEEEmEEvPT0_.uses_vcc, 1
	.set _ZN7rocprim17ROCPRIM_304000_NS6detail31onesweep_scan_histograms_kernelINS1_34wrapped_radix_sort_onesweep_configINS0_14default_configEaN2at4cuda3cub6detail10OpaqueTypeILi8EEEEEmEEvPT0_.uses_flat_scratch, 0
	.set _ZN7rocprim17ROCPRIM_304000_NS6detail31onesweep_scan_histograms_kernelINS1_34wrapped_radix_sort_onesweep_configINS0_14default_configEaN2at4cuda3cub6detail10OpaqueTypeILi8EEEEEmEEvPT0_.has_dyn_sized_stack, 0
	.set _ZN7rocprim17ROCPRIM_304000_NS6detail31onesweep_scan_histograms_kernelINS1_34wrapped_radix_sort_onesweep_configINS0_14default_configEaN2at4cuda3cub6detail10OpaqueTypeILi8EEEEEmEEvPT0_.has_recursion, 0
	.set _ZN7rocprim17ROCPRIM_304000_NS6detail31onesweep_scan_histograms_kernelINS1_34wrapped_radix_sort_onesweep_configINS0_14default_configEaN2at4cuda3cub6detail10OpaqueTypeILi8EEEEEmEEvPT0_.has_indirect_call, 0
	.section	.AMDGPU.csdata,"",@progbits
; Kernel info:
; codeLenInByte = 920
; TotalNumSgprs: 16
; NumVgprs: 16
; NumAgprs: 0
; TotalNumVgprs: 16
; ScratchSize: 0
; MemoryBound: 0
; FloatMode: 240
; IeeeMode: 1
; LDSByteSize: 64 bytes/workgroup (compile time only)
; SGPRBlocks: 1
; VGPRBlocks: 1
; NumSGPRsForWavesPerEU: 16
; NumVGPRsForWavesPerEU: 16
; AccumOffset: 16
; Occupancy: 8
; WaveLimiterHint : 0
; COMPUTE_PGM_RSRC2:SCRATCH_EN: 0
; COMPUTE_PGM_RSRC2:USER_SGPR: 2
; COMPUTE_PGM_RSRC2:TRAP_HANDLER: 0
; COMPUTE_PGM_RSRC2:TGID_X_EN: 1
; COMPUTE_PGM_RSRC2:TGID_Y_EN: 0
; COMPUTE_PGM_RSRC2:TGID_Z_EN: 0
; COMPUTE_PGM_RSRC2:TIDIG_COMP_CNT: 0
; COMPUTE_PGM_RSRC3_GFX90A:ACCUM_OFFSET: 3
; COMPUTE_PGM_RSRC3_GFX90A:TG_SPLIT: 0
	.section	.text._ZN7rocprim17ROCPRIM_304000_NS6detail16transform_kernelINS1_24wrapped_transform_configINS0_14default_configEaEEaPKaPaNS0_8identityIaEEEEvT1_mT2_T3_,"axG",@progbits,_ZN7rocprim17ROCPRIM_304000_NS6detail16transform_kernelINS1_24wrapped_transform_configINS0_14default_configEaEEaPKaPaNS0_8identityIaEEEEvT1_mT2_T3_,comdat
	.protected	_ZN7rocprim17ROCPRIM_304000_NS6detail16transform_kernelINS1_24wrapped_transform_configINS0_14default_configEaEEaPKaPaNS0_8identityIaEEEEvT1_mT2_T3_ ; -- Begin function _ZN7rocprim17ROCPRIM_304000_NS6detail16transform_kernelINS1_24wrapped_transform_configINS0_14default_configEaEEaPKaPaNS0_8identityIaEEEEvT1_mT2_T3_
	.globl	_ZN7rocprim17ROCPRIM_304000_NS6detail16transform_kernelINS1_24wrapped_transform_configINS0_14default_configEaEEaPKaPaNS0_8identityIaEEEEvT1_mT2_T3_
	.p2align	8
	.type	_ZN7rocprim17ROCPRIM_304000_NS6detail16transform_kernelINS1_24wrapped_transform_configINS0_14default_configEaEEaPKaPaNS0_8identityIaEEEEvT1_mT2_T3_,@function
_ZN7rocprim17ROCPRIM_304000_NS6detail16transform_kernelINS1_24wrapped_transform_configINS0_14default_configEaEEaPKaPaNS0_8identityIaEEEEvT1_mT2_T3_: ; @_ZN7rocprim17ROCPRIM_304000_NS6detail16transform_kernelINS1_24wrapped_transform_configINS0_14default_configEaEEaPKaPaNS0_8identityIaEEEEvT1_mT2_T3_
; %bb.0:
	s_load_dword s3, s[0:1], 0x20
	s_load_dwordx4 s[4:7], s[0:1], 0x0
	s_load_dwordx2 s[14:15], s[0:1], 0x10
	s_lshl_b32 s20, s2, 10
	v_mov_b32_e32 v1, 0
	s_waitcnt lgkmcnt(0)
	s_add_i32 s3, s3, -1
	s_add_u32 s0, s4, s20
	s_addc_u32 s1, s5, 0
	s_cmp_lg_u32 s2, s3
	v_lshl_add_u64 v[2:3], s[0:1], 0, v[0:1]
	s_cbranch_scc0 .LBB37_2
; %bb.1:
	global_load_ubyte v5, v[2:3], off
	global_load_ubyte v8, v[2:3], off offset:128
	global_load_ubyte v9, v[2:3], off offset:256
	;; [unrolled: 1-line block ×7, first 2 shown]
	s_add_u32 s2, s14, s20
	s_addc_u32 s3, s15, 0
	v_lshl_add_u64 v[6:7], s[2:3], 0, v[0:1]
	s_mov_b64 s[16:17], -1
	s_waitcnt vmcnt(7)
	global_store_byte v[6:7], v5, off
	s_waitcnt vmcnt(7)
	global_store_byte v[6:7], v8, off offset:128
	s_waitcnt vmcnt(7)
	global_store_byte v[6:7], v9, off offset:256
	;; [unrolled: 2-line block ×6, first 2 shown]
	s_cbranch_execz .LBB37_3
	s_branch .LBB37_34
.LBB37_2:
	s_mov_b64 s[16:17], 0
                                        ; implicit-def: $vgpr4
.LBB37_3:
	s_sub_i32 s18, s6, s20
	v_cmp_gt_u32_e32 vcc, s18, v0
	v_mov_b32_e32 v12, 0
	v_mov_b32_e32 v13, 0
	;; [unrolled: 1-line block ×7, first 2 shown]
	s_and_saveexec_b64 s[0:1], vcc
	s_cbranch_execz .LBB37_5
; %bb.4:
	global_load_ubyte v13, v[2:3], off
	v_mov_b32_e32 v14, 0
	v_mov_b32_e32 v8, 0
	;; [unrolled: 1-line block ×5, first 2 shown]
.LBB37_5:
	s_or_b64 exec, exec, s[0:1]
	s_waitcnt vmcnt(7)
	v_or_b32_e32 v4, 0x80, v0
	v_cmp_gt_u32_e64 s[0:1], s18, v4
	v_mov_b32_e32 v15, v12
	s_and_saveexec_b64 s[2:3], s[0:1]
	s_cbranch_execz .LBB37_7
; %bb.6:
	global_load_ubyte v15, v[2:3], off offset:128
.LBB37_7:
	s_or_b64 exec, exec, s[2:3]
	v_or_b32_e32 v4, 0x100, v0
	v_cmp_gt_u32_e64 s[2:3], s18, v4
	s_and_saveexec_b64 s[4:5], s[2:3]
	s_cbranch_execz .LBB37_9
; %bb.8:
	global_load_ubyte v12, v[2:3], off offset:256
.LBB37_9:
	s_or_b64 exec, exec, s[4:5]
	v_or_b32_e32 v4, 0x180, v0
	v_cmp_gt_u32_e64 s[4:5], s18, v4
	;; [unrolled: 8-line block ×6, first 2 shown]
	s_and_saveexec_b64 s[18:19], s[12:13]
	s_cbranch_execz .LBB37_19
; %bb.18:
	global_load_ubyte v11, v[2:3], off offset:896
.LBB37_19:
	s_or_b64 exec, exec, s[18:19]
	s_mov_b32 s18, 0xffff
	s_waitcnt vmcnt(0)
	v_and_b32_sdwa v2, s18, v13 dst_sel:DWORD dst_unused:UNUSED_PAD src0_sel:DWORD src1_sel:BYTE_0
	s_add_u32 s18, s14, s20
	s_addc_u32 s19, s15, 0
	v_mov_b32_e32 v5, 0
	v_cndmask_b32_e32 v4, 0, v2, vcc
	v_lshl_add_u64 v[2:3], s[18:19], 0, v[0:1]
	s_and_saveexec_b64 s[18:19], vcc
	s_cbranch_execz .LBB37_21
; %bb.20:
	global_store_byte v[2:3], v4, off
.LBB37_21:
	s_or_b64 exec, exec, s[18:19]
	s_mov_b32 s18, 0xc0c0004
	v_perm_b32 v6, v13, v15, s18
	v_perm_b32 v7, v12, v14, s18
	v_lshl_or_b32 v16, v7, 16, v6
	v_cndmask_b32_e64 v17, v4, v16, s[0:1]
	s_and_saveexec_b64 s[18:19], s[0:1]
	s_cbranch_execz .LBB37_23
; %bb.22:
	v_lshrrev_b32_e32 v6, 8, v17
	global_store_byte v[2:3], v6, off offset:128
.LBB37_23:
	s_or_b64 exec, exec, s[18:19]
	s_movk_i32 s0, 0xff00
	s_mov_b64 vcc, s[2:3]
	v_bitop3_b16 v18, v4, v17, s0 bitop3:0xf8
	v_lshrrev_b64 v[6:7], 24, v[4:5]
	v_mov_b32_e32 v5, 8
	v_lshrrev_b32_sdwa v5, v5, v17 dst_sel:BYTE_1 dst_unused:UNUSED_PAD src0_sel:DWORD src1_sel:DWORD
	v_cndmask_b32_sdwa v7, v18, v16, vcc dst_sel:DWORD dst_unused:UNUSED_PAD src0_sel:WORD_0 src1_sel:DWORD
	s_and_saveexec_b64 s[0:1], s[2:3]
	s_cbranch_execz .LBB37_25
; %bb.24:
	global_store_byte_d16_hi v[2:3], v7, off offset:256
.LBB37_25:
	s_or_b64 exec, exec, s[0:1]
	s_mov_b32 s0, 0xc0c0006
	v_or_b32_e32 v4, v4, v5
	v_perm_b32 v6, v7, v6, s0
	v_and_b32_e32 v4, 0xffff, v4
	s_mov_b32 s0, 0xc0c0004
	v_lshl_or_b32 v4, v6, 16, v4
	v_perm_b32 v5, v13, v15, s0
	v_perm_b32 v6, v12, v14, s0
	v_lshl_or_b32 v5, v6, 16, v5
	v_cndmask_b32_e64 v4, v4, v5, s[4:5]
	v_perm_b32 v5, v8, v9, s0
	v_perm_b32 v6, v10, v11, s0
	v_lshl_or_b32 v5, v6, 16, v5
	s_and_saveexec_b64 s[0:1], s[4:5]
	s_cbranch_execz .LBB37_27
; %bb.26:
	v_lshrrev_b32_e32 v4, 24, v4
	global_store_byte v[2:3], v4, off offset:384
.LBB37_27:
	s_or_b64 exec, exec, s[0:1]
	v_cndmask_b32_e64 v5, 0, v5, s[6:7]
	s_and_saveexec_b64 s[0:1], s[6:7]
	s_cbranch_execz .LBB37_29
; %bb.28:
	global_store_byte v[2:3], v5, off offset:512
.LBB37_29:
	s_or_b64 exec, exec, s[0:1]
	s_mov_b32 s0, 0xc0c0004
	v_perm_b32 v4, v8, v9, s0
	v_perm_b32 v6, v10, v11, s0
	v_lshl_or_b32 v4, v6, 16, v4
	s_mov_b64 vcc, s[8:9]
	v_cndmask_b32_sdwa v4, v5, v4, vcc dst_sel:DWORD dst_unused:UNUSED_PAD src0_sel:BYTE_0 src1_sel:DWORD
	v_lshrrev_b32_e32 v6, 8, v4
	s_and_saveexec_b64 s[0:1], s[8:9]
	s_cbranch_execnz .LBB37_37
; %bb.30:
	s_or_b64 exec, exec, s[0:1]
	s_and_saveexec_b64 s[0:1], s[10:11]
	s_cbranch_execnz .LBB37_38
.LBB37_31:
	s_or_b64 exec, exec, s[0:1]
                                        ; implicit-def: $vgpr4
	s_and_saveexec_b64 s[0:1], s[12:13]
.LBB37_32:
	s_mov_b32 s2, 0xc0c0004
	v_perm_b32 v2, v8, v9, s2
	v_perm_b32 v3, v10, v11, s2
	v_lshl_or_b32 v2, v3, 16, v2
	v_perm_b32 v3, v5, v6, s2
	v_cndmask_b32_e64 v2, v3, v2, s[12:13]
	v_lshrrev_b32_e32 v4, 24, v2
	s_or_b64 s[16:17], s[16:17], exec
.LBB37_33:
	s_or_b64 exec, exec, s[0:1]
.LBB37_34:
	s_and_saveexec_b64 s[0:1], s[16:17]
	s_cbranch_execnz .LBB37_36
; %bb.35:
	s_endpgm
.LBB37_36:
	s_add_u32 s0, s14, s20
	s_addc_u32 s1, s15, 0
	v_lshl_add_u64 v[0:1], s[0:1], 0, v[0:1]
	s_waitcnt vmcnt(7)
	global_store_byte v[0:1], v4, off offset:896
	s_endpgm
.LBB37_37:
	global_store_byte v[2:3], v6, off offset:640
	s_or_b64 exec, exec, s[0:1]
	s_and_saveexec_b64 s[0:1], s[10:11]
	s_cbranch_execz .LBB37_31
.LBB37_38:
	s_mov_b32 s2, 0xc0c0004
	v_perm_b32 v4, v8, v9, s2
	v_perm_b32 v7, v10, v11, s2
	v_lshl_or_b32 v4, v7, 16, v4
	v_perm_b32 v7, v5, v6, s2
	v_cndmask_b32_e64 v4, v7, v4, s[10:11]
	global_store_byte_d16_hi v[2:3], v4, off offset:768
	s_or_b64 exec, exec, s[0:1]
                                        ; implicit-def: $vgpr4
	s_and_saveexec_b64 s[0:1], s[12:13]
	s_cbranch_execnz .LBB37_32
	s_branch .LBB37_33
	.section	.rodata,"a",@progbits
	.p2align	6, 0x0
	.amdhsa_kernel _ZN7rocprim17ROCPRIM_304000_NS6detail16transform_kernelINS1_24wrapped_transform_configINS0_14default_configEaEEaPKaPaNS0_8identityIaEEEEvT1_mT2_T3_
		.amdhsa_group_segment_fixed_size 0
		.amdhsa_private_segment_fixed_size 0
		.amdhsa_kernarg_size 288
		.amdhsa_user_sgpr_count 2
		.amdhsa_user_sgpr_dispatch_ptr 0
		.amdhsa_user_sgpr_queue_ptr 0
		.amdhsa_user_sgpr_kernarg_segment_ptr 1
		.amdhsa_user_sgpr_dispatch_id 0
		.amdhsa_user_sgpr_kernarg_preload_length 0
		.amdhsa_user_sgpr_kernarg_preload_offset 0
		.amdhsa_user_sgpr_private_segment_size 0
		.amdhsa_uses_dynamic_stack 0
		.amdhsa_enable_private_segment 0
		.amdhsa_system_sgpr_workgroup_id_x 1
		.amdhsa_system_sgpr_workgroup_id_y 0
		.amdhsa_system_sgpr_workgroup_id_z 0
		.amdhsa_system_sgpr_workgroup_info 0
		.amdhsa_system_vgpr_workitem_id 0
		.amdhsa_next_free_vgpr 19
		.amdhsa_next_free_sgpr 21
		.amdhsa_accum_offset 20
		.amdhsa_reserve_vcc 1
		.amdhsa_float_round_mode_32 0
		.amdhsa_float_round_mode_16_64 0
		.amdhsa_float_denorm_mode_32 3
		.amdhsa_float_denorm_mode_16_64 3
		.amdhsa_dx10_clamp 1
		.amdhsa_ieee_mode 1
		.amdhsa_fp16_overflow 0
		.amdhsa_tg_split 0
		.amdhsa_exception_fp_ieee_invalid_op 0
		.amdhsa_exception_fp_denorm_src 0
		.amdhsa_exception_fp_ieee_div_zero 0
		.amdhsa_exception_fp_ieee_overflow 0
		.amdhsa_exception_fp_ieee_underflow 0
		.amdhsa_exception_fp_ieee_inexact 0
		.amdhsa_exception_int_div_zero 0
	.end_amdhsa_kernel
	.section	.text._ZN7rocprim17ROCPRIM_304000_NS6detail16transform_kernelINS1_24wrapped_transform_configINS0_14default_configEaEEaPKaPaNS0_8identityIaEEEEvT1_mT2_T3_,"axG",@progbits,_ZN7rocprim17ROCPRIM_304000_NS6detail16transform_kernelINS1_24wrapped_transform_configINS0_14default_configEaEEaPKaPaNS0_8identityIaEEEEvT1_mT2_T3_,comdat
.Lfunc_end37:
	.size	_ZN7rocprim17ROCPRIM_304000_NS6detail16transform_kernelINS1_24wrapped_transform_configINS0_14default_configEaEEaPKaPaNS0_8identityIaEEEEvT1_mT2_T3_, .Lfunc_end37-_ZN7rocprim17ROCPRIM_304000_NS6detail16transform_kernelINS1_24wrapped_transform_configINS0_14default_configEaEEaPKaPaNS0_8identityIaEEEEvT1_mT2_T3_
                                        ; -- End function
	.set _ZN7rocprim17ROCPRIM_304000_NS6detail16transform_kernelINS1_24wrapped_transform_configINS0_14default_configEaEEaPKaPaNS0_8identityIaEEEEvT1_mT2_T3_.num_vgpr, 19
	.set _ZN7rocprim17ROCPRIM_304000_NS6detail16transform_kernelINS1_24wrapped_transform_configINS0_14default_configEaEEaPKaPaNS0_8identityIaEEEEvT1_mT2_T3_.num_agpr, 0
	.set _ZN7rocprim17ROCPRIM_304000_NS6detail16transform_kernelINS1_24wrapped_transform_configINS0_14default_configEaEEaPKaPaNS0_8identityIaEEEEvT1_mT2_T3_.numbered_sgpr, 21
	.set _ZN7rocprim17ROCPRIM_304000_NS6detail16transform_kernelINS1_24wrapped_transform_configINS0_14default_configEaEEaPKaPaNS0_8identityIaEEEEvT1_mT2_T3_.num_named_barrier, 0
	.set _ZN7rocprim17ROCPRIM_304000_NS6detail16transform_kernelINS1_24wrapped_transform_configINS0_14default_configEaEEaPKaPaNS0_8identityIaEEEEvT1_mT2_T3_.private_seg_size, 0
	.set _ZN7rocprim17ROCPRIM_304000_NS6detail16transform_kernelINS1_24wrapped_transform_configINS0_14default_configEaEEaPKaPaNS0_8identityIaEEEEvT1_mT2_T3_.uses_vcc, 1
	.set _ZN7rocprim17ROCPRIM_304000_NS6detail16transform_kernelINS1_24wrapped_transform_configINS0_14default_configEaEEaPKaPaNS0_8identityIaEEEEvT1_mT2_T3_.uses_flat_scratch, 0
	.set _ZN7rocprim17ROCPRIM_304000_NS6detail16transform_kernelINS1_24wrapped_transform_configINS0_14default_configEaEEaPKaPaNS0_8identityIaEEEEvT1_mT2_T3_.has_dyn_sized_stack, 0
	.set _ZN7rocprim17ROCPRIM_304000_NS6detail16transform_kernelINS1_24wrapped_transform_configINS0_14default_configEaEEaPKaPaNS0_8identityIaEEEEvT1_mT2_T3_.has_recursion, 0
	.set _ZN7rocprim17ROCPRIM_304000_NS6detail16transform_kernelINS1_24wrapped_transform_configINS0_14default_configEaEEaPKaPaNS0_8identityIaEEEEvT1_mT2_T3_.has_indirect_call, 0
	.section	.AMDGPU.csdata,"",@progbits
; Kernel info:
; codeLenInByte = 1196
; TotalNumSgprs: 27
; NumVgprs: 19
; NumAgprs: 0
; TotalNumVgprs: 19
; ScratchSize: 0
; MemoryBound: 0
; FloatMode: 240
; IeeeMode: 1
; LDSByteSize: 0 bytes/workgroup (compile time only)
; SGPRBlocks: 3
; VGPRBlocks: 2
; NumSGPRsForWavesPerEU: 27
; NumVGPRsForWavesPerEU: 19
; AccumOffset: 20
; Occupancy: 8
; WaveLimiterHint : 1
; COMPUTE_PGM_RSRC2:SCRATCH_EN: 0
; COMPUTE_PGM_RSRC2:USER_SGPR: 2
; COMPUTE_PGM_RSRC2:TRAP_HANDLER: 0
; COMPUTE_PGM_RSRC2:TGID_X_EN: 1
; COMPUTE_PGM_RSRC2:TGID_Y_EN: 0
; COMPUTE_PGM_RSRC2:TGID_Z_EN: 0
; COMPUTE_PGM_RSRC2:TIDIG_COMP_CNT: 0
; COMPUTE_PGM_RSRC3_GFX90A:ACCUM_OFFSET: 4
; COMPUTE_PGM_RSRC3_GFX90A:TG_SPLIT: 0
	.section	.text._ZN7rocprim17ROCPRIM_304000_NS6detail25onesweep_iteration_kernelINS1_34wrapped_radix_sort_onesweep_configINS0_14default_configEaN2at4cuda3cub6detail10OpaqueTypeILi8EEEEELb1EPKaPaPKSA_PSA_mNS0_19identity_decomposerEEEvT1_T2_T3_T4_jPT5_SO_PNS1_23onesweep_lookback_stateET6_jjj,"axG",@progbits,_ZN7rocprim17ROCPRIM_304000_NS6detail25onesweep_iteration_kernelINS1_34wrapped_radix_sort_onesweep_configINS0_14default_configEaN2at4cuda3cub6detail10OpaqueTypeILi8EEEEELb1EPKaPaPKSA_PSA_mNS0_19identity_decomposerEEEvT1_T2_T3_T4_jPT5_SO_PNS1_23onesweep_lookback_stateET6_jjj,comdat
	.protected	_ZN7rocprim17ROCPRIM_304000_NS6detail25onesweep_iteration_kernelINS1_34wrapped_radix_sort_onesweep_configINS0_14default_configEaN2at4cuda3cub6detail10OpaqueTypeILi8EEEEELb1EPKaPaPKSA_PSA_mNS0_19identity_decomposerEEEvT1_T2_T3_T4_jPT5_SO_PNS1_23onesweep_lookback_stateET6_jjj ; -- Begin function _ZN7rocprim17ROCPRIM_304000_NS6detail25onesweep_iteration_kernelINS1_34wrapped_radix_sort_onesweep_configINS0_14default_configEaN2at4cuda3cub6detail10OpaqueTypeILi8EEEEELb1EPKaPaPKSA_PSA_mNS0_19identity_decomposerEEEvT1_T2_T3_T4_jPT5_SO_PNS1_23onesweep_lookback_stateET6_jjj
	.globl	_ZN7rocprim17ROCPRIM_304000_NS6detail25onesweep_iteration_kernelINS1_34wrapped_radix_sort_onesweep_configINS0_14default_configEaN2at4cuda3cub6detail10OpaqueTypeILi8EEEEELb1EPKaPaPKSA_PSA_mNS0_19identity_decomposerEEEvT1_T2_T3_T4_jPT5_SO_PNS1_23onesweep_lookback_stateET6_jjj
	.p2align	8
	.type	_ZN7rocprim17ROCPRIM_304000_NS6detail25onesweep_iteration_kernelINS1_34wrapped_radix_sort_onesweep_configINS0_14default_configEaN2at4cuda3cub6detail10OpaqueTypeILi8EEEEELb1EPKaPaPKSA_PSA_mNS0_19identity_decomposerEEEvT1_T2_T3_T4_jPT5_SO_PNS1_23onesweep_lookback_stateET6_jjj,@function
_ZN7rocprim17ROCPRIM_304000_NS6detail25onesweep_iteration_kernelINS1_34wrapped_radix_sort_onesweep_configINS0_14default_configEaN2at4cuda3cub6detail10OpaqueTypeILi8EEEEELb1EPKaPaPKSA_PSA_mNS0_19identity_decomposerEEEvT1_T2_T3_T4_jPT5_SO_PNS1_23onesweep_lookback_stateET6_jjj: ; @_ZN7rocprim17ROCPRIM_304000_NS6detail25onesweep_iteration_kernelINS1_34wrapped_radix_sort_onesweep_configINS0_14default_configEaN2at4cuda3cub6detail10OpaqueTypeILi8EEEEELb1EPKaPaPKSA_PSA_mNS0_19identity_decomposerEEEvT1_T2_T3_T4_jPT5_SO_PNS1_23onesweep_lookback_stateET6_jjj
; %bb.0:
	s_load_dwordx4 s[44:47], s[0:1], 0x44
	s_load_dwordx8 s[36:43], s[0:1], 0x0
	s_load_dwordx4 s[28:31], s[0:1], 0x28
	s_load_dwordx2 s[48:49], s[0:1], 0x38
	s_mov_b64 s[4:5], -1
	s_waitcnt lgkmcnt(0)
	s_cmp_ge_u32 s2, s46
	s_mul_i32 s34, s2, 0xc00
	v_mbcnt_lo_u32_b32 v1, -1, 0
	s_cbranch_scc0 .LBB38_96
; %bb.1:
	s_load_dword s3, s[0:1], 0x20
	s_mul_i32 s33, s46, 0xfffff400
	v_and_b32_e32 v3, 0x1c0, v0
	v_mbcnt_hi_u32_b32 v6, -1, v1
	v_mul_u32_u24_e32 v4, 6, v3
	s_waitcnt lgkmcnt(0)
	s_add_i32 s33, s33, s3
	s_add_u32 s4, s36, s34
	s_addc_u32 s5, s37, 0
	v_mov_b32_e32 v7, 0
	v_lshl_add_u64 v[8:9], s[4:5], 0, v[6:7]
	v_mov_b32_e32 v5, v7
	v_or_b32_e32 v10, v6, v4
	s_mov_b32 s35, 0
	v_lshl_add_u64 v[8:9], v[8:9], 0, v[4:5]
	v_cmp_gt_u32_e32 vcc, s33, v10
	v_mov_b32_e32 v7, 0x80
	v_mov_b32_e32 v5, 0x80
	;; [unrolled: 1-line block ×6, first 2 shown]
	s_and_saveexec_b64 s[4:5], vcc
	s_cbranch_execz .LBB38_3
; %bb.2:
	global_load_ubyte v5, v[8:9], off
	v_mov_b32_e32 v7, 0x80
	v_mov_b32_e32 v14, 0x80
	v_mov_b32_e32 v19, 0x80
	v_mov_b32_e32 v20, 0x80
	v_mov_b32_e32 v15, 0x80
.LBB38_3:
	s_or_b64 exec, exec, s[4:5]
	v_add_u32_e32 v2, 64, v10
	v_cmp_gt_u32_e64 s[26:27], s33, v2
	s_and_saveexec_b64 s[4:5], s[26:27]
	s_cbranch_execz .LBB38_5
; %bb.4:
	global_load_ubyte v14, v[8:9], off offset:64
.LBB38_5:
	s_or_b64 exec, exec, s[4:5]
	v_add_u32_e32 v2, 0x80, v10
	v_cmp_gt_u32_e64 s[4:5], s33, v2
	s_and_saveexec_b64 s[6:7], s[4:5]
	s_cbranch_execz .LBB38_7
; %bb.6:
	global_load_ubyte v19, v[8:9], off offset:128
.LBB38_7:
	;; [unrolled: 8-line block ×4, first 2 shown]
	s_or_b64 exec, exec, s[10:11]
	v_add_u32_e32 v10, 0x140, v10
	v_and_b32_e32 v2, 0x3ff, v0
	v_cmp_gt_u32_e64 s[10:11], s33, v10
	s_and_saveexec_b64 s[12:13], s[10:11]
	s_cbranch_execz .LBB38_13
; %bb.12:
	global_load_ubyte v7, v[8:9], off offset:320
.LBB38_13:
	s_or_b64 exec, exec, s[12:13]
	s_load_dword s12, s[0:1], 0x5c
	s_load_dword s3, s[0:1], 0x50
	s_add_u32 s13, s0, 0x50
	s_addc_u32 s14, s1, 0
	v_mov_b32_e32 v9, 0
	s_waitcnt lgkmcnt(0)
	s_lshr_b32 s15, s12, 16
	s_cmp_lt_u32 s2, s3
	s_cselect_b32 s12, 12, 18
	s_add_u32 s12, s13, s12
	s_addc_u32 s13, s14, 0
	global_load_ushort v13, v9, s[12:13]
	s_waitcnt vmcnt(1)
	v_xor_b32_e32 v5, 0x7f, v5
	v_lshrrev_b32_sdwa v17, s44, v5 dst_sel:DWORD dst_unused:UNUSED_PAD src0_sel:DWORD src1_sel:BYTE_0
	s_lshl_b32 s12, -1, s45
	v_bfe_u32 v8, v0, 10, 10
	v_bfe_u32 v11, v0, 20, 10
	v_bitop3_b32 v21, v17, s12, v17 bitop3:0x30
	v_mad_u32_u24 v18, v11, s15, v8
	v_and_b32_e32 v8, 1, v21
	v_lshlrev_b32_e32 v11, 30, v21
	v_mov_b32_e32 v10, v9
	v_mov_b32_e32 v22, v9
	s_not_b32 s50, s12
	v_lshlrev_b32_e32 v17, 29, v21
	v_lshlrev_b32_e32 v23, 28, v21
	v_lshl_add_u64 v[32:33], v[8:9], 0, -1
	v_cmp_ne_u32_e64 s[12:13], 0, v8
	v_not_b32_e32 v8, v11
	v_mov_b32_e32 v16, v9
	v_mov_b32_e32 v24, v9
	v_lshlrev_b32_e32 v25, 27, v21
	v_cmp_gt_i64_e64 s[14:15], 0, v[10:11]
	v_not_b32_e32 v10, v17
	v_cmp_gt_i64_e64 s[18:19], 0, v[22:23]
	v_xor_b32_e32 v22, s13, v33
	v_ashrrev_i32_e32 v8, 31, v8
	v_cmp_gt_i64_e64 s[16:17], 0, v[16:17]
	v_not_b32_e32 v11, v23
	v_cmp_gt_i64_e64 s[20:21], 0, v[24:25]
	v_xor_b32_e32 v23, s12, v32
	v_ashrrev_i32_e32 v10, 31, v10
	v_and_b32_e32 v22, exec_hi, v22
	v_xor_b32_e32 v24, s15, v8
	v_mov_b32_e32 v26, v9
	v_lshlrev_b32_e32 v27, 26, v21
	v_not_b32_e32 v16, v25
	v_ashrrev_i32_e32 v11, 31, v11
	v_and_b32_e32 v23, exec_lo, v23
	v_xor_b32_e32 v8, s14, v8
	v_xor_b32_e32 v25, s17, v10
	v_and_b32_e32 v22, v22, v24
	v_lshlrev_b32_e32 v29, 25, v21
	v_cmp_gt_i64_e64 s[22:23], 0, v[26:27]
	v_not_b32_e32 v17, v27
	v_ashrrev_i32_e32 v16, 31, v16
	v_xor_b32_e32 v10, s16, v10
	v_xor_b32_e32 v26, s19, v11
	v_and_b32_e32 v8, v23, v8
	v_and_b32_e32 v22, v22, v25
	v_mov_b32_e32 v28, v9
	v_mul_u32_u24_e32 v34, 36, v21
	v_lshlrev_b32_e32 v31, 24, v21
	v_not_b32_e32 v21, v29
	v_ashrrev_i32_e32 v17, 31, v17
	v_xor_b32_e32 v27, s21, v16
	v_and_b32_e32 v8, v8, v10
	v_and_b32_e32 v10, v22, v26
	v_cmp_gt_i64_e64 s[24:25], 0, v[28:29]
	v_ashrrev_i32_e32 v21, 31, v21
	v_xor_b32_e32 v11, s18, v11
	v_xor_b32_e32 v28, s23, v17
	v_and_b32_e32 v10, v10, v27
	v_xor_b32_e32 v16, s20, v16
	v_xor_b32_e32 v29, s25, v21
	v_and_b32_e32 v8, v8, v11
	v_and_b32_e32 v10, v10, v28
	;; [unrolled: 1-line block ×4, first 2 shown]
	v_xor_b32_e32 v17, s22, v17
	v_mov_b32_e32 v30, v9
	v_xor_b32_e32 v21, s24, v21
	v_and_b32_e32 v8, v8, v17
	v_and_b32_e32 v8, v8, v21
	v_mul_u32_u24_e32 v12, 20, v2
	ds_write2_b32 v12, v9, v9 offset0:8 offset1:9
	ds_write2_b32 v12, v9, v9 offset0:10 offset1:11
	ds_write_b32 v12, v9 offset:48
	s_waitcnt lgkmcnt(0)
	s_barrier
	s_waitcnt vmcnt(0)
	; wave barrier
	v_mad_u64_u32 v[10:11], s[12:13], v18, v13, v[2:3]
	v_lshrrev_b32_e32 v10, 4, v10
	v_and_b32_e32 v22, 0xffffffc, v10
	v_not_b32_e32 v10, v31
	v_cmp_gt_i64_e64 s[12:13], 0, v[30:31]
	v_ashrrev_i32_e32 v10, 31, v10
	v_add_u32_e32 v17, v22, v34
	v_xor_b32_e32 v11, s13, v10
	v_xor_b32_e32 v10, s12, v10
	v_and_b32_e32 v10, v8, v10
	v_and_b32_e32 v11, v16, v11
	v_mbcnt_lo_u32_b32 v8, v10, 0
	v_mbcnt_hi_u32_b32 v13, v11, v8
	v_cmp_eq_u32_e64 s[12:13], 0, v13
	v_cmp_ne_u64_e64 s[14:15], 0, v[10:11]
	s_and_b64 s[14:15], s[14:15], s[12:13]
	s_and_saveexec_b64 s[12:13], s[14:15]
; %bb.14:
	v_bcnt_u32_b32 v8, v10, 0
	v_bcnt_u32_b32 v8, v11, v8
	ds_write_b32 v17, v8 offset:32
; %bb.15:
	s_or_b64 exec, exec, s[12:13]
	v_xor_b32_e32 v14, 0x7f, v14
	v_lshrrev_b32_sdwa v8, s44, v14 dst_sel:DWORD dst_unused:UNUSED_PAD src0_sel:DWORD src1_sel:BYTE_0
	v_and_b32_e32 v18, s50, v8
	v_mad_u32_u24 v8, v18, 36, v22
	; wave barrier
	ds_read_b32 v16, v8 offset:32
	v_and_b32_e32 v8, 1, v18
	v_lshl_add_u64 v[10:11], v[8:9], 0, -1
	v_cmp_ne_u32_e64 s[12:13], 0, v8
	v_mul_u32_u24_e32 v21, 36, v18
	s_nop 0
	v_xor_b32_e32 v10, s12, v10
	v_xor_b32_e32 v8, s13, v11
	v_and_b32_e32 v23, exec_lo, v10
	v_lshlrev_b32_e32 v11, 30, v18
	v_mov_b32_e32 v10, v9
	v_cmp_gt_i64_e64 s[12:13], 0, v[10:11]
	v_not_b32_e32 v10, v11
	v_ashrrev_i32_e32 v10, 31, v10
	v_and_b32_e32 v8, exec_hi, v8
	v_xor_b32_e32 v11, s13, v10
	v_xor_b32_e32 v10, s12, v10
	v_and_b32_e32 v8, v8, v11
	v_and_b32_e32 v23, v23, v10
	v_lshlrev_b32_e32 v11, 29, v18
	v_mov_b32_e32 v10, v9
	v_cmp_gt_i64_e64 s[12:13], 0, v[10:11]
	v_not_b32_e32 v10, v11
	v_ashrrev_i32_e32 v10, 31, v10
	v_xor_b32_e32 v11, s13, v10
	v_xor_b32_e32 v10, s12, v10
	v_and_b32_e32 v8, v8, v11
	v_and_b32_e32 v23, v23, v10
	v_lshlrev_b32_e32 v11, 28, v18
	v_mov_b32_e32 v10, v9
	v_cmp_gt_i64_e64 s[12:13], 0, v[10:11]
	v_not_b32_e32 v10, v11
	v_ashrrev_i32_e32 v10, 31, v10
	;; [unrolled: 9-line block ×5, first 2 shown]
	v_xor_b32_e32 v11, s13, v10
	v_xor_b32_e32 v10, s12, v10
	v_and_b32_e32 v8, v8, v11
	v_lshlrev_b32_e32 v11, 24, v18
	v_and_b32_e32 v23, v23, v10
	v_mov_b32_e32 v10, v9
	v_not_b32_e32 v9, v11
	v_cmp_gt_i64_e64 s[12:13], 0, v[10:11]
	v_ashrrev_i32_e32 v9, 31, v9
	; wave barrier
	s_nop 0
	v_xor_b32_e32 v10, s13, v9
	v_xor_b32_e32 v11, s12, v9
	v_and_b32_e32 v9, v8, v10
	v_and_b32_e32 v8, v23, v11
	v_mbcnt_lo_u32_b32 v10, v8, 0
	v_mbcnt_hi_u32_b32 v18, v9, v10
	v_cmp_eq_u32_e64 s[12:13], 0, v18
	v_cmp_ne_u64_e64 s[14:15], 0, v[8:9]
	s_and_b64 s[14:15], s[14:15], s[12:13]
	v_add_u32_e32 v23, v22, v21
	s_and_saveexec_b64 s[12:13], s[14:15]
	s_cbranch_execz .LBB38_17
; %bb.16:
	v_bcnt_u32_b32 v8, v8, 0
	v_bcnt_u32_b32 v8, v9, v8
	s_waitcnt lgkmcnt(0)
	v_add_u32_e32 v8, v16, v8
	ds_write_b32 v23, v8 offset:32
.LBB38_17:
	s_or_b64 exec, exec, s[12:13]
	v_xor_b32_e32 v19, 0x7f, v19
	v_lshrrev_b32_sdwa v8, s44, v19 dst_sel:DWORD dst_unused:UNUSED_PAD src0_sel:DWORD src1_sel:BYTE_0
	v_and_b32_e32 v24, s50, v8
	v_mad_u32_u24 v8, v24, 36, v22
	; wave barrier
	ds_read_b32 v21, v8 offset:32
	v_and_b32_e32 v8, 1, v24
	v_mov_b32_e32 v9, 0
	v_lshl_add_u64 v[10:11], v[8:9], 0, -1
	v_cmp_ne_u32_e64 s[12:13], 0, v8
	v_mul_u32_u24_e32 v25, 36, v24
	s_nop 0
	v_xor_b32_e32 v10, s12, v10
	v_xor_b32_e32 v8, s13, v11
	v_and_b32_e32 v26, exec_lo, v10
	v_lshlrev_b32_e32 v11, 30, v24
	v_mov_b32_e32 v10, v9
	v_cmp_gt_i64_e64 s[12:13], 0, v[10:11]
	v_not_b32_e32 v10, v11
	v_ashrrev_i32_e32 v10, 31, v10
	v_and_b32_e32 v8, exec_hi, v8
	v_xor_b32_e32 v11, s13, v10
	v_xor_b32_e32 v10, s12, v10
	v_and_b32_e32 v8, v8, v11
	v_and_b32_e32 v26, v26, v10
	v_lshlrev_b32_e32 v11, 29, v24
	v_mov_b32_e32 v10, v9
	v_cmp_gt_i64_e64 s[12:13], 0, v[10:11]
	v_not_b32_e32 v10, v11
	v_ashrrev_i32_e32 v10, 31, v10
	v_xor_b32_e32 v11, s13, v10
	v_xor_b32_e32 v10, s12, v10
	v_and_b32_e32 v8, v8, v11
	v_and_b32_e32 v26, v26, v10
	v_lshlrev_b32_e32 v11, 28, v24
	v_mov_b32_e32 v10, v9
	v_cmp_gt_i64_e64 s[12:13], 0, v[10:11]
	v_not_b32_e32 v10, v11
	v_ashrrev_i32_e32 v10, 31, v10
	;; [unrolled: 9-line block ×6, first 2 shown]
	v_xor_b32_e32 v11, s13, v10
	v_xor_b32_e32 v10, s12, v10
	v_and_b32_e32 v10, v26, v10
	v_and_b32_e32 v11, v8, v11
	v_mbcnt_lo_u32_b32 v8, v10, 0
	v_mbcnt_hi_u32_b32 v24, v11, v8
	v_cmp_eq_u32_e64 s[12:13], 0, v24
	v_cmp_ne_u64_e64 s[14:15], 0, v[10:11]
	s_and_b64 s[14:15], s[14:15], s[12:13]
	v_add_u32_e32 v26, v22, v25
	; wave barrier
	s_and_saveexec_b64 s[12:13], s[14:15]
	s_cbranch_execz .LBB38_19
; %bb.18:
	v_bcnt_u32_b32 v8, v10, 0
	v_bcnt_u32_b32 v8, v11, v8
	s_waitcnt lgkmcnt(0)
	v_add_u32_e32 v8, v21, v8
	ds_write_b32 v26, v8 offset:32
.LBB38_19:
	s_or_b64 exec, exec, s[12:13]
	v_xor_b32_e32 v20, 0x7f, v20
	v_lshrrev_b32_sdwa v8, s44, v20 dst_sel:DWORD dst_unused:UNUSED_PAD src0_sel:DWORD src1_sel:BYTE_0
	v_and_b32_e32 v27, s50, v8
	v_mad_u32_u24 v8, v27, 36, v22
	; wave barrier
	ds_read_b32 v25, v8 offset:32
	v_and_b32_e32 v8, 1, v27
	v_lshl_add_u64 v[10:11], v[8:9], 0, -1
	v_cmp_ne_u32_e64 s[12:13], 0, v8
	v_mul_u32_u24_e32 v28, 36, v27
	s_nop 0
	v_xor_b32_e32 v10, s12, v10
	v_xor_b32_e32 v8, s13, v11
	v_and_b32_e32 v29, exec_lo, v10
	v_lshlrev_b32_e32 v11, 30, v27
	v_mov_b32_e32 v10, v9
	v_cmp_gt_i64_e64 s[12:13], 0, v[10:11]
	v_not_b32_e32 v10, v11
	v_ashrrev_i32_e32 v10, 31, v10
	v_and_b32_e32 v8, exec_hi, v8
	v_xor_b32_e32 v11, s13, v10
	v_xor_b32_e32 v10, s12, v10
	v_and_b32_e32 v8, v8, v11
	v_and_b32_e32 v29, v29, v10
	v_lshlrev_b32_e32 v11, 29, v27
	v_mov_b32_e32 v10, v9
	v_cmp_gt_i64_e64 s[12:13], 0, v[10:11]
	v_not_b32_e32 v10, v11
	v_ashrrev_i32_e32 v10, 31, v10
	v_xor_b32_e32 v11, s13, v10
	v_xor_b32_e32 v10, s12, v10
	v_and_b32_e32 v8, v8, v11
	v_and_b32_e32 v29, v29, v10
	v_lshlrev_b32_e32 v11, 28, v27
	v_mov_b32_e32 v10, v9
	v_cmp_gt_i64_e64 s[12:13], 0, v[10:11]
	v_not_b32_e32 v10, v11
	v_ashrrev_i32_e32 v10, 31, v10
	v_xor_b32_e32 v11, s13, v10
	v_xor_b32_e32 v10, s12, v10
	v_and_b32_e32 v8, v8, v11
	v_and_b32_e32 v29, v29, v10
	v_lshlrev_b32_e32 v11, 27, v27
	v_mov_b32_e32 v10, v9
	v_cmp_gt_i64_e64 s[12:13], 0, v[10:11]
	v_not_b32_e32 v10, v11
	v_ashrrev_i32_e32 v10, 31, v10
	v_xor_b32_e32 v11, s13, v10
	v_xor_b32_e32 v10, s12, v10
	v_and_b32_e32 v8, v8, v11
	v_and_b32_e32 v29, v29, v10
	v_lshlrev_b32_e32 v11, 26, v27
	v_mov_b32_e32 v10, v9
	v_cmp_gt_i64_e64 s[12:13], 0, v[10:11]
	v_not_b32_e32 v10, v11
	v_ashrrev_i32_e32 v10, 31, v10
	v_xor_b32_e32 v11, s13, v10
	v_xor_b32_e32 v10, s12, v10
	v_and_b32_e32 v8, v8, v11
	v_and_b32_e32 v29, v29, v10
	v_lshlrev_b32_e32 v11, 25, v27
	v_mov_b32_e32 v10, v9
	v_cmp_gt_i64_e64 s[12:13], 0, v[10:11]
	v_not_b32_e32 v10, v11
	v_ashrrev_i32_e32 v10, 31, v10
	v_xor_b32_e32 v11, s13, v10
	v_xor_b32_e32 v10, s12, v10
	v_and_b32_e32 v8, v8, v11
	v_lshlrev_b32_e32 v11, 24, v27
	v_and_b32_e32 v29, v29, v10
	v_mov_b32_e32 v10, v9
	v_not_b32_e32 v9, v11
	v_cmp_gt_i64_e64 s[12:13], 0, v[10:11]
	v_ashrrev_i32_e32 v9, 31, v9
	v_add_u32_e32 v27, v22, v28
	v_xor_b32_e32 v10, s13, v9
	v_xor_b32_e32 v11, s12, v9
	v_and_b32_e32 v9, v8, v10
	v_and_b32_e32 v8, v29, v11
	v_mbcnt_lo_u32_b32 v10, v8, 0
	v_mbcnt_hi_u32_b32 v29, v9, v10
	v_cmp_eq_u32_e64 s[12:13], 0, v29
	v_cmp_ne_u64_e64 s[14:15], 0, v[8:9]
	s_and_b64 s[14:15], s[14:15], s[12:13]
	; wave barrier
	s_and_saveexec_b64 s[12:13], s[14:15]
	s_cbranch_execz .LBB38_21
; %bb.20:
	v_bcnt_u32_b32 v8, v8, 0
	v_bcnt_u32_b32 v8, v9, v8
	s_waitcnt lgkmcnt(0)
	v_add_u32_e32 v8, v25, v8
	ds_write_b32 v27, v8 offset:32
.LBB38_21:
	s_or_b64 exec, exec, s[12:13]
	v_xor_b32_e32 v15, 0x7f, v15
	v_lshrrev_b32_sdwa v8, s44, v15 dst_sel:DWORD dst_unused:UNUSED_PAD src0_sel:DWORD src1_sel:BYTE_0
	v_and_b32_e32 v28, s50, v8
	v_mad_u32_u24 v8, v28, 36, v22
	; wave barrier
	ds_read_b32 v30, v8 offset:32
	v_and_b32_e32 v8, 1, v28
	v_mov_b32_e32 v9, 0
	v_lshl_add_u64 v[10:11], v[8:9], 0, -1
	v_cmp_ne_u32_e64 s[12:13], 0, v8
	v_mul_u32_u24_e32 v32, 36, v28
	s_nop 0
	v_xor_b32_e32 v10, s12, v10
	v_xor_b32_e32 v8, s13, v11
	v_and_b32_e32 v31, exec_lo, v10
	v_lshlrev_b32_e32 v11, 30, v28
	v_mov_b32_e32 v10, v9
	v_cmp_gt_i64_e64 s[12:13], 0, v[10:11]
	v_not_b32_e32 v10, v11
	v_ashrrev_i32_e32 v10, 31, v10
	v_and_b32_e32 v8, exec_hi, v8
	v_xor_b32_e32 v11, s13, v10
	v_xor_b32_e32 v10, s12, v10
	v_and_b32_e32 v8, v8, v11
	v_and_b32_e32 v31, v31, v10
	v_lshlrev_b32_e32 v11, 29, v28
	v_mov_b32_e32 v10, v9
	v_cmp_gt_i64_e64 s[12:13], 0, v[10:11]
	v_not_b32_e32 v10, v11
	v_ashrrev_i32_e32 v10, 31, v10
	v_xor_b32_e32 v11, s13, v10
	v_xor_b32_e32 v10, s12, v10
	v_and_b32_e32 v8, v8, v11
	v_and_b32_e32 v31, v31, v10
	v_lshlrev_b32_e32 v11, 28, v28
	v_mov_b32_e32 v10, v9
	v_cmp_gt_i64_e64 s[12:13], 0, v[10:11]
	v_not_b32_e32 v10, v11
	v_ashrrev_i32_e32 v10, 31, v10
	;; [unrolled: 9-line block ×6, first 2 shown]
	v_xor_b32_e32 v11, s13, v10
	v_xor_b32_e32 v10, s12, v10
	v_and_b32_e32 v10, v31, v10
	v_and_b32_e32 v11, v8, v11
	v_mbcnt_lo_u32_b32 v8, v10, 0
	v_mbcnt_hi_u32_b32 v31, v11, v8
	v_cmp_eq_u32_e64 s[12:13], 0, v31
	v_cmp_ne_u64_e64 s[14:15], 0, v[10:11]
	s_and_b64 s[14:15], s[14:15], s[12:13]
	v_add_u32_e32 v28, v22, v32
	; wave barrier
	s_and_saveexec_b64 s[12:13], s[14:15]
	s_cbranch_execz .LBB38_23
; %bb.22:
	v_bcnt_u32_b32 v8, v10, 0
	v_bcnt_u32_b32 v8, v11, v8
	s_waitcnt lgkmcnt(0)
	v_add_u32_e32 v8, v30, v8
	ds_write_b32 v28, v8 offset:32
.LBB38_23:
	s_or_b64 exec, exec, s[12:13]
	v_xor_b32_e32 v7, 0x7f, v7
	v_lshrrev_b32_sdwa v8, s44, v7 dst_sel:DWORD dst_unused:UNUSED_PAD src0_sel:DWORD src1_sel:BYTE_0
	v_and_b32_e32 v33, s50, v8
	v_mad_u32_u24 v8, v33, 36, v22
	; wave barrier
	ds_read_b32 v32, v8 offset:32
	v_and_b32_e32 v8, 1, v33
	v_lshl_add_u64 v[10:11], v[8:9], 0, -1
	v_cmp_ne_u32_e64 s[12:13], 0, v8
	v_mul_u32_u24_e32 v34, 36, v33
	v_add_u32_e32 v22, v22, v34
	v_xor_b32_e32 v10, s12, v10
	v_xor_b32_e32 v8, s13, v11
	v_and_b32_e32 v35, exec_lo, v10
	v_lshlrev_b32_e32 v11, 30, v33
	v_mov_b32_e32 v10, v9
	v_cmp_gt_i64_e64 s[12:13], 0, v[10:11]
	v_not_b32_e32 v10, v11
	v_ashrrev_i32_e32 v10, 31, v10
	v_and_b32_e32 v8, exec_hi, v8
	v_xor_b32_e32 v11, s13, v10
	v_xor_b32_e32 v10, s12, v10
	v_and_b32_e32 v8, v8, v11
	v_and_b32_e32 v35, v35, v10
	v_lshlrev_b32_e32 v11, 29, v33
	v_mov_b32_e32 v10, v9
	v_cmp_gt_i64_e64 s[12:13], 0, v[10:11]
	v_not_b32_e32 v10, v11
	v_ashrrev_i32_e32 v10, 31, v10
	v_xor_b32_e32 v11, s13, v10
	v_xor_b32_e32 v10, s12, v10
	v_and_b32_e32 v8, v8, v11
	v_and_b32_e32 v35, v35, v10
	v_lshlrev_b32_e32 v11, 28, v33
	v_mov_b32_e32 v10, v9
	v_cmp_gt_i64_e64 s[12:13], 0, v[10:11]
	v_not_b32_e32 v10, v11
	v_ashrrev_i32_e32 v10, 31, v10
	;; [unrolled: 9-line block ×5, first 2 shown]
	v_xor_b32_e32 v11, s13, v10
	v_xor_b32_e32 v10, s12, v10
	v_and_b32_e32 v8, v8, v11
	v_lshlrev_b32_e32 v11, 24, v33
	v_and_b32_e32 v35, v35, v10
	v_mov_b32_e32 v10, v9
	v_not_b32_e32 v9, v11
	v_cmp_gt_i64_e64 s[12:13], 0, v[10:11]
	v_ashrrev_i32_e32 v9, 31, v9
	s_nop 0
	v_xor_b32_e32 v10, s13, v9
	v_xor_b32_e32 v11, s12, v9
	v_and_b32_e32 v9, v8, v10
	v_and_b32_e32 v8, v35, v11
	v_mbcnt_lo_u32_b32 v10, v8, 0
	v_mbcnt_hi_u32_b32 v33, v9, v10
	v_cmp_eq_u32_e64 s[12:13], 0, v33
	v_cmp_ne_u64_e64 s[14:15], 0, v[8:9]
	s_and_b64 s[14:15], s[14:15], s[12:13]
	; wave barrier
	s_and_saveexec_b64 s[12:13], s[14:15]
	s_cbranch_execz .LBB38_25
; %bb.24:
	v_bcnt_u32_b32 v8, v8, 0
	v_bcnt_u32_b32 v8, v9, v8
	s_waitcnt lgkmcnt(0)
	v_add_u32_e32 v8, v32, v8
	ds_write_b32 v22, v8 offset:32
.LBB38_25:
	s_or_b64 exec, exec, s[12:13]
	; wave barrier
	s_waitcnt lgkmcnt(0)
	s_barrier
	ds_read2_b32 v[10:11], v12 offset0:8 offset1:9
	ds_read2_b32 v[8:9], v12 offset0:10 offset1:11
	ds_read_b32 v34, v12 offset:48
	v_min_u32_e32 v3, 0x1c0, v3
	v_or_b32_e32 v3, 63, v3
	s_waitcnt lgkmcnt(1)
	v_add3_u32 v35, v11, v10, v8
	s_waitcnt lgkmcnt(0)
	v_add3_u32 v34, v35, v9, v34
	v_and_b32_e32 v35, 15, v6
	v_cmp_ne_u32_e64 s[12:13], 0, v35
	v_mov_b32_dpp v36, v34 row_shr:1 row_mask:0xf bank_mask:0xf
	s_nop 0
	v_cndmask_b32_e64 v36, 0, v36, s[12:13]
	v_add_u32_e32 v34, v36, v34
	v_cmp_lt_u32_e64 s[12:13], 1, v35
	s_nop 0
	v_mov_b32_dpp v36, v34 row_shr:2 row_mask:0xf bank_mask:0xf
	v_cndmask_b32_e64 v36, 0, v36, s[12:13]
	v_add_u32_e32 v34, v34, v36
	v_cmp_lt_u32_e64 s[12:13], 3, v35
	s_nop 0
	v_mov_b32_dpp v36, v34 row_shr:4 row_mask:0xf bank_mask:0xf
	;; [unrolled: 5-line block ×3, first 2 shown]
	v_cndmask_b32_e64 v35, 0, v36, s[12:13]
	v_add_u32_e32 v34, v34, v35
	v_bfe_i32 v36, v6, 4, 1
	v_cmp_lt_u32_e64 s[12:13], 31, v6
	v_mov_b32_dpp v35, v34 row_bcast:15 row_mask:0xf bank_mask:0xf
	v_and_b32_e32 v35, v36, v35
	v_add_u32_e32 v34, v34, v35
	s_nop 1
	v_mov_b32_dpp v35, v34 row_bcast:31 row_mask:0xf bank_mask:0xf
	v_cndmask_b32_e64 v35, 0, v35, s[12:13]
	v_add_u32_e32 v34, v34, v35
	v_lshrrev_b32_e32 v35, 6, v2
	v_cmp_eq_u32_e64 s[12:13], v2, v3
	s_and_saveexec_b64 s[14:15], s[12:13]
; %bb.26:
	v_lshlrev_b32_e32 v3, 2, v35
	ds_write_b32 v3, v34
; %bb.27:
	s_or_b64 exec, exec, s[14:15]
	v_cmp_gt_u32_e64 s[12:13], 8, v2
	s_waitcnt lgkmcnt(0)
	s_barrier
	s_and_saveexec_b64 s[14:15], s[12:13]
	s_cbranch_execz .LBB38_29
; %bb.28:
	v_lshlrev_b32_e32 v3, 2, v2
	ds_read_b32 v36, v3
	v_and_b32_e32 v37, 7, v6
	v_cmp_ne_u32_e64 s[12:13], 0, v37
	s_waitcnt lgkmcnt(0)
	v_mov_b32_dpp v38, v36 row_shr:1 row_mask:0xf bank_mask:0xf
	v_cndmask_b32_e64 v38, 0, v38, s[12:13]
	v_add_u32_e32 v36, v38, v36
	v_cmp_lt_u32_e64 s[12:13], 1, v37
	s_nop 0
	v_mov_b32_dpp v38, v36 row_shr:2 row_mask:0xf bank_mask:0xf
	v_cndmask_b32_e64 v38, 0, v38, s[12:13]
	v_add_u32_e32 v36, v36, v38
	v_cmp_lt_u32_e64 s[12:13], 3, v37
	s_nop 0
	v_mov_b32_dpp v38, v36 row_shr:4 row_mask:0xf bank_mask:0xf
	v_cndmask_b32_e64 v37, 0, v38, s[12:13]
	v_add_u32_e32 v36, v36, v37
	ds_write_b32 v3, v36
.LBB38_29:
	s_or_b64 exec, exec, s[14:15]
	v_cmp_lt_u32_e64 s[12:13], 63, v2
	v_mov_b32_e32 v3, 0
	s_waitcnt lgkmcnt(0)
	s_barrier
	s_and_saveexec_b64 s[14:15], s[12:13]
; %bb.30:
	v_lshl_add_u32 v3, v35, 2, -4
	ds_read_b32 v3, v3
; %bb.31:
	s_or_b64 exec, exec, s[14:15]
	v_add_u32_e32 v35, -1, v6
	v_and_b32_e32 v36, 64, v6
	v_cmp_lt_i32_e64 s[12:13], v35, v36
	s_waitcnt lgkmcnt(0)
	v_add_u32_e32 v34, v3, v34
	s_movk_i32 s16, 0x100
	v_cndmask_b32_e64 v35, v35, v6, s[12:13]
	v_lshlrev_b32_e32 v35, 2, v35
	ds_bpermute_b32 v34, v35, v34
	v_cmp_eq_u32_e64 s[12:13], 0, v6
	v_cmp_gt_u32_e64 s[14:15], s16, v2
	s_waitcnt lgkmcnt(0)
	v_cndmask_b32_e64 v3, v34, v3, s[12:13]
	v_cmp_ne_u32_e64 s[12:13], 0, v2
	s_nop 1
	v_cndmask_b32_e64 v3, 0, v3, s[12:13]
	v_add_u32_e32 v10, v3, v10
	v_add_u32_e32 v11, v10, v11
	;; [unrolled: 1-line block ×4, first 2 shown]
	ds_write2_b32 v12, v3, v10 offset0:8 offset1:9
	ds_write2_b32 v12, v11, v8 offset0:10 offset1:11
	ds_write_b32 v12, v9 offset:48
	s_waitcnt lgkmcnt(0)
	s_barrier
	ds_read_b32 v3, v17 offset:32
	ds_read_b32 v11, v23 offset:32
	;; [unrolled: 1-line block ×6, first 2 shown]
	s_movk_i32 s12, 0xff
	v_cmp_lt_u32_e64 s[12:13], s12, v2
	v_mov_b64_e32 v[8:9], 0
                                        ; implicit-def: $vgpr10
	s_and_saveexec_b64 s[18:19], s[14:15]
	s_cbranch_execz .LBB38_35
; %bb.32:
	v_mul_u32_u24_e32 v8, 36, v2
	ds_read_b32 v8, v8 offset:32
	v_add_u32_e32 v10, 1, v2
	v_cmp_ne_u32_e64 s[16:17], s16, v10
	v_mov_b32_e32 v9, 0xc00
	s_and_saveexec_b64 s[20:21], s[16:17]
; %bb.33:
	v_mul_u32_u24_e32 v9, 36, v10
	ds_read_b32 v9, v9 offset:32
; %bb.34:
	s_or_b64 exec, exec, s[20:21]
	s_waitcnt lgkmcnt(0)
	v_sub_u32_e32 v10, v9, v8
	v_mov_b32_e32 v9, 0
.LBB38_35:
	s_or_b64 exec, exec, s[18:19]
	s_waitcnt lgkmcnt(5)
	v_add_u32_e32 v28, v3, v13
	v_mov_b32_e32 v13, 0
	s_waitcnt lgkmcnt(4)
	v_add3_u32 v27, v18, v16, v11
	s_waitcnt lgkmcnt(3)
	v_add3_u32 v26, v24, v21, v12
	s_waitcnt lgkmcnt(2)
	v_add3_u32 v24, v29, v25, v17
	s_waitcnt lgkmcnt(1)
	v_add3_u32 v23, v31, v30, v23
	s_waitcnt lgkmcnt(0)
	v_add3_u32 v22, v33, v32, v22
	v_mov_b32_e32 v3, v13
	v_lshlrev_b32_e32 v11, 3, v2
	s_barrier
	ds_write_b8 v28, v5 offset:2048
	ds_write_b8 v27, v14 offset:2048
	;; [unrolled: 1-line block ×6, first 2 shown]
	s_waitcnt lgkmcnt(0)
	s_barrier
	s_and_saveexec_b64 s[16:17], s[14:15]
	s_cbranch_execz .LBB38_45
; %bb.36:
	v_lshl_add_u32 v12, s2, 8, v2
	v_lshl_add_u64 v[14:15], v[12:13], 2, s[48:49]
	v_or_b32_e32 v5, 2.0, v10
	global_store_dword v[14:15], v5, off sc1
	s_mov_b64 s[18:19], 0
	s_brev_b32 s24, -4
	s_mov_b32 s25, s2
	v_mov_b32_e32 v5, 0
                                        ; implicit-def: $sgpr14_sgpr15
	s_branch .LBB38_39
.LBB38_37:                              ;   in Loop: Header=BB38_39 Depth=1
	s_or_b64 exec, exec, s[22:23]
.LBB38_38:                              ;   in Loop: Header=BB38_39 Depth=1
	s_or_b64 exec, exec, s[20:21]
	v_and_b32_e32 v12, 0x3fffffff, v7
	v_add_u32_e32 v5, v12, v5
	v_cmp_gt_i32_e64 s[14:15], -2.0, v7
	s_and_b64 s[20:21], exec, s[14:15]
	s_or_b64 s[18:19], s[20:21], s[18:19]
	s_andn2_b64 exec, exec, s[18:19]
	s_cbranch_execz .LBB38_44
.LBB38_39:                              ; =>This Loop Header: Depth=1
                                        ;     Child Loop BB38_42 Depth 2
	s_or_b64 s[14:15], s[14:15], exec
	s_cmp_eq_u32 s25, 0
	s_cbranch_scc1 .LBB38_43
; %bb.40:                               ;   in Loop: Header=BB38_39 Depth=1
	s_add_i32 s25, s25, -1
	v_lshl_or_b32 v12, s25, 8, v2
	v_lshl_add_u64 v[16:17], v[12:13], 2, s[48:49]
	global_load_dword v7, v[16:17], off sc1
	s_waitcnt vmcnt(0)
	v_cmp_gt_u32_e64 s[14:15], 2.0, v7
	s_and_saveexec_b64 s[20:21], s[14:15]
	s_cbranch_execz .LBB38_38
; %bb.41:                               ;   in Loop: Header=BB38_39 Depth=1
	s_mov_b64 s[22:23], 0
.LBB38_42:                              ;   Parent Loop BB38_39 Depth=1
                                        ; =>  This Inner Loop Header: Depth=2
	global_load_dword v7, v[16:17], off sc1
	s_waitcnt vmcnt(0)
	v_cmp_lt_u32_e64 s[14:15], s24, v7
	s_or_b64 s[22:23], s[14:15], s[22:23]
	s_andn2_b64 exec, exec, s[22:23]
	s_cbranch_execnz .LBB38_42
	s_branch .LBB38_37
.LBB38_43:                              ;   in Loop: Header=BB38_39 Depth=1
                                        ; implicit-def: $sgpr25
	s_and_b64 s[20:21], exec, s[14:15]
	s_or_b64 s[18:19], s[20:21], s[18:19]
	s_andn2_b64 exec, exec, s[18:19]
	s_cbranch_execnz .LBB38_39
.LBB38_44:
	s_or_b64 exec, exec, s[18:19]
	v_add_u32_e32 v12, v5, v10
	v_or_b32_e32 v12, 0x80000000, v12
	v_lshlrev_b32_e32 v7, 3, v2
	global_store_dword v[14:15], v12, off sc1
	global_load_dwordx2 v[12:13], v7, s[28:29]
	v_sub_co_u32_e64 v14, s[14:15], v5, v8
	s_nop 1
	v_subb_co_u32_e64 v15, s[14:15], 0, v9, s[14:15]
	s_waitcnt vmcnt(0)
	v_lshl_add_u64 v[12:13], v[14:15], 0, v[12:13]
	ds_write_b64 v11, v[12:13]
.LBB38_45:
	s_or_b64 exec, exec, s[16:17]
	v_cmp_gt_u32_e64 s[14:15], s33, v2
	s_waitcnt lgkmcnt(0)
	s_barrier
	s_and_saveexec_b64 s[16:17], s[14:15]
	s_cbranch_execz .LBB38_47
; %bb.46:
	ds_read_u8 v5, v2 offset:2048
	s_waitcnt lgkmcnt(0)
	v_lshrrev_b32_sdwa v7, s44, v5 dst_sel:DWORD dst_unused:UNUSED_PAD src0_sel:DWORD src1_sel:BYTE_0
	v_and_b32_e32 v7, s50, v7
	v_lshlrev_b32_e32 v7, 3, v7
	ds_read_b64 v[12:13], v7
	v_xor_b32_e32 v5, 0x7f, v5
	s_waitcnt lgkmcnt(0)
	v_lshl_add_u64 v[12:13], s[38:39], 0, v[12:13]
	v_lshl_add_u64 v[12:13], v[12:13], 0, v[2:3]
	global_store_byte v[12:13], v5, off
.LBB38_47:
	s_or_b64 exec, exec, s[16:17]
	v_add_u32_e32 v25, 0x200, v2
	v_cmp_gt_u32_e64 s[16:17], s33, v25
	s_and_saveexec_b64 s[18:19], s[16:17]
	s_cbranch_execz .LBB38_49
; %bb.48:
	ds_read_u8 v5, v2 offset:2560
	s_waitcnt lgkmcnt(0)
	v_lshrrev_b32_sdwa v7, s44, v5 dst_sel:DWORD dst_unused:UNUSED_PAD src0_sel:DWORD src1_sel:BYTE_0
	v_and_b32_e32 v7, s50, v7
	v_lshlrev_b32_e32 v7, 3, v7
	ds_read_b64 v[12:13], v7
	v_xor_b32_e32 v5, 0x7f, v5
	s_waitcnt lgkmcnt(0)
	v_lshl_add_u64 v[12:13], s[38:39], 0, v[12:13]
	v_lshl_add_u64 v[12:13], v[12:13], 0, v[2:3]
	global_store_byte v[12:13], v5, off offset:512
.LBB38_49:
	s_or_b64 exec, exec, s[18:19]
	v_or_b32_e32 v29, 0x400, v2
	v_cmp_gt_u32_e64 s[18:19], s33, v29
	s_and_saveexec_b64 s[20:21], s[18:19]
	s_cbranch_execz .LBB38_51
; %bb.50:
	ds_read_u8 v5, v2 offset:3072
	s_waitcnt lgkmcnt(0)
	v_lshrrev_b32_sdwa v7, s44, v5 dst_sel:DWORD dst_unused:UNUSED_PAD src0_sel:DWORD src1_sel:BYTE_0
	v_and_b32_e32 v7, s50, v7
	v_lshlrev_b32_e32 v7, 3, v7
	ds_read_b64 v[12:13], v7
	v_xor_b32_e32 v5, 0x7f, v5
	s_waitcnt lgkmcnt(0)
	v_lshl_add_u64 v[12:13], s[38:39], 0, v[12:13]
	v_lshl_add_u64 v[12:13], v[12:13], 0, v[2:3]
	global_store_byte v[12:13], v5, off offset:1024
.LBB38_51:
	s_or_b64 exec, exec, s[20:21]
	v_add_u32_e32 v30, 0x600, v2
	v_cmp_gt_u32_e64 s[20:21], s33, v30
	s_and_saveexec_b64 s[22:23], s[20:21]
	s_cbranch_execz .LBB38_53
; %bb.52:
	ds_read_u8 v5, v2 offset:3584
	s_waitcnt lgkmcnt(0)
	v_lshrrev_b32_sdwa v7, s44, v5 dst_sel:DWORD dst_unused:UNUSED_PAD src0_sel:DWORD src1_sel:BYTE_0
	v_and_b32_e32 v7, s50, v7
	v_lshlrev_b32_e32 v7, 3, v7
	ds_read_b64 v[12:13], v7
	v_xor_b32_e32 v5, 0x7f, v5
	s_waitcnt lgkmcnt(0)
	v_lshl_add_u64 v[12:13], s[38:39], 0, v[12:13]
	v_lshl_add_u64 v[12:13], v[12:13], 0, v[2:3]
	global_store_byte v[12:13], v5, off offset:1536
.LBB38_53:
	s_or_b64 exec, exec, s[22:23]
	v_or_b32_e32 v31, 0x800, v2
	v_cmp_gt_u32_e64 s[22:23], s33, v31
	s_and_saveexec_b64 s[24:25], s[22:23]
	s_cbranch_execz .LBB38_55
; %bb.54:
	ds_read_u8 v5, v2 offset:4096
	s_waitcnt lgkmcnt(0)
	v_lshrrev_b32_sdwa v7, s44, v5 dst_sel:DWORD dst_unused:UNUSED_PAD src0_sel:DWORD src1_sel:BYTE_0
	v_and_b32_e32 v7, s50, v7
	v_lshlrev_b32_e32 v7, 3, v7
	ds_read_b64 v[12:13], v7
	v_xor_b32_e32 v5, 0x7f, v5
	s_waitcnt lgkmcnt(0)
	v_lshl_add_u64 v[12:13], s[38:39], 0, v[12:13]
	v_lshl_add_u64 v[12:13], v[12:13], 0, v[2:3]
	global_store_byte v[12:13], v5, off offset:2048
.LBB38_55:
	s_or_b64 exec, exec, s[24:25]
	v_add_u32_e32 v32, 0xa00, v2
	v_cmp_gt_u32_e64 s[24:25], s33, v32
	s_and_saveexec_b64 s[46:47], s[24:25]
	s_cbranch_execz .LBB38_57
; %bb.56:
	ds_read_u8 v5, v2 offset:4608
	s_waitcnt lgkmcnt(0)
	v_lshrrev_b32_sdwa v7, s44, v5 dst_sel:DWORD dst_unused:UNUSED_PAD src0_sel:DWORD src1_sel:BYTE_0
	v_and_b32_e32 v7, s50, v7
	v_lshlrev_b32_e32 v7, 3, v7
	ds_read_b64 v[12:13], v7
	v_xor_b32_e32 v5, 0x7f, v5
	s_waitcnt lgkmcnt(0)
	v_lshl_add_u64 v[12:13], s[38:39], 0, v[12:13]
	v_lshl_add_u64 v[12:13], v[12:13], 0, v[2:3]
	global_store_byte v[12:13], v5, off offset:2560
.LBB38_57:
	s_or_b64 exec, exec, s[46:47]
	s_lshl_b64 s[46:47], s[34:35], 3
	s_add_u32 s46, s40, s46
	s_addc_u32 s47, s41, s47
	v_lshlrev_b32_e32 v6, 3, v6
	v_mov_b32_e32 v7, 0
	v_lshl_add_u64 v[12:13], s[46:47], 0, v[6:7]
	v_lshlrev_b32_e32 v6, 3, v4
	v_lshl_add_u64 v[20:21], v[12:13], 0, v[6:7]
                                        ; implicit-def: $vgpr4_vgpr5
	s_and_saveexec_b64 s[46:47], vcc
	s_xor_b64 s[46:47], exec, s[46:47]
	s_cbranch_execz .LBB38_63
; %bb.58:
	global_load_dwordx2 v[4:5], v[20:21], off
	s_or_b64 exec, exec, s[46:47]
                                        ; implicit-def: $vgpr6_vgpr7
	s_and_saveexec_b64 s[46:47], s[26:27]
	s_cbranch_execnz .LBB38_64
.LBB38_59:
	s_or_b64 exec, exec, s[46:47]
                                        ; implicit-def: $vgpr12_vgpr13
	s_and_saveexec_b64 s[26:27], s[4:5]
	s_cbranch_execz .LBB38_65
.LBB38_60:
	global_load_dwordx2 v[12:13], v[20:21], off offset:1024
	s_or_b64 exec, exec, s[26:27]
                                        ; implicit-def: $vgpr14_vgpr15
	s_and_saveexec_b64 s[4:5], s[6:7]
	s_cbranch_execnz .LBB38_66
.LBB38_61:
	s_or_b64 exec, exec, s[4:5]
                                        ; implicit-def: $vgpr16_vgpr17
	s_and_saveexec_b64 s[4:5], s[8:9]
	s_cbranch_execz .LBB38_67
.LBB38_62:
	global_load_dwordx2 v[16:17], v[20:21], off offset:2048
	s_or_b64 exec, exec, s[4:5]
                                        ; implicit-def: $vgpr18_vgpr19
	s_and_saveexec_b64 s[4:5], s[10:11]
	s_cbranch_execnz .LBB38_68
	s_branch .LBB38_69
.LBB38_63:
	s_or_b64 exec, exec, s[46:47]
                                        ; implicit-def: $vgpr6_vgpr7
	s_and_saveexec_b64 s[46:47], s[26:27]
	s_cbranch_execz .LBB38_59
.LBB38_64:
	global_load_dwordx2 v[6:7], v[20:21], off offset:512
	s_or_b64 exec, exec, s[46:47]
                                        ; implicit-def: $vgpr12_vgpr13
	s_and_saveexec_b64 s[26:27], s[4:5]
	s_cbranch_execnz .LBB38_60
.LBB38_65:
	s_or_b64 exec, exec, s[26:27]
                                        ; implicit-def: $vgpr14_vgpr15
	s_and_saveexec_b64 s[4:5], s[6:7]
	s_cbranch_execz .LBB38_61
.LBB38_66:
	global_load_dwordx2 v[14:15], v[20:21], off offset:1536
	s_or_b64 exec, exec, s[4:5]
                                        ; implicit-def: $vgpr16_vgpr17
	s_and_saveexec_b64 s[4:5], s[8:9]
	s_cbranch_execnz .LBB38_62
.LBB38_67:
	s_or_b64 exec, exec, s[4:5]
                                        ; implicit-def: $vgpr18_vgpr19
	s_and_saveexec_b64 s[4:5], s[10:11]
	s_cbranch_execz .LBB38_69
.LBB38_68:
	global_load_dwordx2 v[18:19], v[20:21], off offset:2560
.LBB38_69:
	s_or_b64 exec, exec, s[4:5]
	v_mov_b32_e32 v34, 0
	v_mov_b32_e32 v3, 0
	s_and_saveexec_b64 s[4:5], s[14:15]
	s_cbranch_execz .LBB38_71
; %bb.70:
	ds_read_u8 v3, v2 offset:2048
	s_waitcnt lgkmcnt(0)
	v_lshrrev_b32_e32 v3, s44, v3
	v_and_b32_e32 v3, s50, v3
.LBB38_71:
	s_or_b64 exec, exec, s[4:5]
	s_and_saveexec_b64 s[4:5], s[16:17]
	s_cbranch_execz .LBB38_73
; %bb.72:
	ds_read_u8 v20, v2 offset:2560
	s_waitcnt lgkmcnt(0)
	v_lshrrev_b32_e32 v20, s44, v20
	v_and_b32_e32 v34, s50, v20
.LBB38_73:
	s_or_b64 exec, exec, s[4:5]
	v_mov_b32_e32 v21, 0
	v_mov_b32_e32 v35, 0
	s_and_saveexec_b64 s[4:5], s[18:19]
	s_cbranch_execz .LBB38_75
; %bb.74:
	ds_read_u8 v20, v2 offset:3072
	s_waitcnt lgkmcnt(0)
	v_lshrrev_b32_e32 v20, s44, v20
	v_and_b32_e32 v35, s50, v20
.LBB38_75:
	s_or_b64 exec, exec, s[4:5]
	s_and_saveexec_b64 s[4:5], s[20:21]
	s_cbranch_execz .LBB38_77
; %bb.76:
	ds_read_u8 v20, v2 offset:3584
	s_waitcnt lgkmcnt(0)
	v_lshrrev_b32_e32 v20, s44, v20
	v_and_b32_e32 v21, s50, v20
.LBB38_77:
	;; [unrolled: 20-line block ×3, first 2 shown]
	s_or_b64 exec, exec, s[4:5]
	v_lshlrev_b32_e32 v28, 3, v28
	s_barrier
	s_waitcnt vmcnt(0)
	ds_write_b64 v28, v[4:5] offset:2048
	v_lshlrev_b32_e32 v4, 3, v27
	ds_write_b64 v4, v[6:7] offset:2048
	v_lshlrev_b32_e32 v4, 3, v26
	;; [unrolled: 2-line block ×5, first 2 shown]
	v_lshlrev_b32_e32 v2, 3, v2
	ds_write_b64 v4, v[18:19] offset:2048
	s_waitcnt lgkmcnt(0)
	s_barrier
	s_and_saveexec_b64 s[4:5], s[14:15]
	s_cbranch_execz .LBB38_87
; %bb.82:
	v_lshlrev_b32_e32 v3, 3, v3
	ds_read_b64 v[4:5], v3
	ds_read_b64 v[6:7], v11 offset:2048
	v_mov_b32_e32 v3, 0
	s_waitcnt lgkmcnt(1)
	v_lshl_add_u64 v[4:5], v[4:5], 3, s[42:43]
	v_lshl_add_u64 v[4:5], v[4:5], 0, v[2:3]
	s_waitcnt lgkmcnt(0)
	global_store_dwordx2 v[4:5], v[6:7], off
	s_or_b64 exec, exec, s[4:5]
	s_and_saveexec_b64 s[4:5], s[16:17]
	s_cbranch_execnz .LBB38_88
.LBB38_83:
	s_or_b64 exec, exec, s[4:5]
	s_and_saveexec_b64 s[4:5], s[18:19]
	s_cbranch_execz .LBB38_89
.LBB38_84:
	v_lshlrev_b32_e32 v3, 3, v35
	ds_read_b64 v[4:5], v3
	ds_read_b64 v[6:7], v11 offset:10240
	v_lshlrev_b32_e32 v12, 3, v29
	v_mov_b32_e32 v13, 0
	s_waitcnt lgkmcnt(1)
	v_lshl_add_u64 v[4:5], v[4:5], 3, s[42:43]
	v_lshl_add_u64 v[4:5], v[4:5], 0, v[12:13]
	s_waitcnt lgkmcnt(0)
	global_store_dwordx2 v[4:5], v[6:7], off
	s_or_b64 exec, exec, s[4:5]
	s_and_saveexec_b64 s[4:5], s[20:21]
	s_cbranch_execnz .LBB38_90
.LBB38_85:
	s_or_b64 exec, exec, s[4:5]
	s_and_saveexec_b64 s[4:5], s[22:23]
	s_cbranch_execz .LBB38_91
.LBB38_86:
	v_lshlrev_b32_e32 v3, 3, v33
	ds_read_b64 v[4:5], v3
	ds_read_b64 v[6:7], v11 offset:18432
	v_lshlrev_b32_e32 v12, 3, v31
	v_mov_b32_e32 v13, 0
	s_waitcnt lgkmcnt(1)
	v_lshl_add_u64 v[4:5], v[4:5], 3, s[42:43]
	v_lshl_add_u64 v[4:5], v[4:5], 0, v[12:13]
	s_waitcnt lgkmcnt(0)
	global_store_dwordx2 v[4:5], v[6:7], off
	s_or_b64 exec, exec, s[4:5]
	s_and_saveexec_b64 s[4:5], s[24:25]
	s_cbranch_execnz .LBB38_92
	s_branch .LBB38_93
.LBB38_87:
	s_or_b64 exec, exec, s[4:5]
	s_and_saveexec_b64 s[4:5], s[16:17]
	s_cbranch_execz .LBB38_83
.LBB38_88:
	v_lshlrev_b32_e32 v3, 3, v34
	ds_read_b64 v[4:5], v3
	ds_read_b64 v[6:7], v11 offset:6144
	v_lshlrev_b32_e32 v12, 3, v25
	v_mov_b32_e32 v13, 0
	s_waitcnt lgkmcnt(1)
	v_lshl_add_u64 v[4:5], v[4:5], 3, s[42:43]
	v_lshl_add_u64 v[4:5], v[4:5], 0, v[12:13]
	s_waitcnt lgkmcnt(0)
	global_store_dwordx2 v[4:5], v[6:7], off
	s_or_b64 exec, exec, s[4:5]
	s_and_saveexec_b64 s[4:5], s[18:19]
	s_cbranch_execnz .LBB38_84
.LBB38_89:
	s_or_b64 exec, exec, s[4:5]
	s_and_saveexec_b64 s[4:5], s[20:21]
	s_cbranch_execz .LBB38_85
.LBB38_90:
	v_lshlrev_b32_e32 v3, 3, v21
	ds_read_b64 v[4:5], v3
	ds_read_b64 v[6:7], v11 offset:14336
	v_lshlrev_b32_e32 v12, 3, v30
	v_mov_b32_e32 v13, 0
	s_waitcnt lgkmcnt(1)
	v_lshl_add_u64 v[4:5], v[4:5], 3, s[42:43]
	v_lshl_add_u64 v[4:5], v[4:5], 0, v[12:13]
	s_waitcnt lgkmcnt(0)
	global_store_dwordx2 v[4:5], v[6:7], off
	s_or_b64 exec, exec, s[4:5]
	s_and_saveexec_b64 s[4:5], s[22:23]
	s_cbranch_execnz .LBB38_86
.LBB38_91:
	s_or_b64 exec, exec, s[4:5]
	s_and_saveexec_b64 s[4:5], s[24:25]
	s_cbranch_execz .LBB38_93
.LBB38_92:
	v_lshlrev_b32_e32 v3, 3, v20
	ds_read_b64 v[4:5], v3
	ds_read_b64 v[6:7], v11 offset:22528
	v_lshlrev_b32_e32 v12, 3, v32
	v_mov_b32_e32 v13, 0
	s_waitcnt lgkmcnt(1)
	v_lshl_add_u64 v[4:5], v[4:5], 3, s[42:43]
	v_lshl_add_u64 v[4:5], v[4:5], 0, v[12:13]
	s_waitcnt lgkmcnt(0)
	global_store_dwordx2 v[4:5], v[6:7], off
.LBB38_93:
	s_or_b64 exec, exec, s[4:5]
	s_add_i32 s3, s3, -1
	s_cmp_eq_u32 s2, s3
	s_cselect_b64 s[4:5], -1, 0
	s_xor_b64 s[6:7], s[12:13], -1
	s_and_b64 s[6:7], s[6:7], s[4:5]
	s_and_saveexec_b64 s[4:5], s[6:7]
	s_cbranch_execz .LBB38_95
; %bb.94:
	ds_read_b64 v[4:5], v11
	v_mov_b32_e32 v11, 0
	v_lshl_add_u64 v[6:7], v[8:9], 0, v[10:11]
	s_waitcnt lgkmcnt(0)
	v_lshl_add_u64 v[4:5], v[6:7], 0, v[4:5]
	global_store_dwordx2 v2, v[4:5], s[30:31]
.LBB38_95:
	s_or_b64 exec, exec, s[4:5]
	s_mov_b64 s[4:5], 0
.LBB38_96:
	s_and_b64 vcc, exec, s[4:5]
	s_cbranch_vccz .LBB38_131
; %bb.97:
	s_add_u32 s4, s36, s34
	s_addc_u32 s5, s37, 0
	v_mbcnt_hi_u32_b32 v6, -1, v1
	v_and_b32_e32 v10, 0x1c0, v0
	v_mov_b32_e32 v7, 0
	v_mul_u32_u24_e32 v4, 6, v10
	v_lshl_add_u64 v[2:3], s[4:5], 0, v[6:7]
	v_mov_b32_e32 v5, v7
	v_lshl_add_u64 v[12:13], v[2:3], 0, v[4:5]
	global_load_ubyte v5, v[12:13], off
	s_load_dword s4, s[0:1], 0x5c
	s_load_dword s3, s[0:1], 0x50
	s_add_u32 s0, s0, 0x50
	s_addc_u32 s1, s1, 0
	v_and_b32_e32 v2, 0x3ff, v0
	s_waitcnt lgkmcnt(0)
	s_lshr_b32 s4, s4, 16
	s_cmp_lt_u32 s2, s3
	s_cselect_b32 s5, 12, 18
	s_add_u32 s0, s0, s5
	s_addc_u32 s1, s1, 0
	global_load_ushort v11, v7, s[0:1]
	v_mul_u32_u24_e32 v3, 20, v2
	ds_write2_b32 v3, v7, v7 offset0:8 offset1:9
	ds_write2_b32 v3, v7, v7 offset0:10 offset1:11
	ds_write_b32 v3, v7 offset:48
	global_load_ubyte v9, v[12:13], off offset:64
	global_load_ubyte v8, v[12:13], off offset:128
	;; [unrolled: 1-line block ×5, first 2 shown]
	v_bfe_u32 v15, v0, 10, 10
	v_bfe_u32 v0, v0, 20, 10
	v_mad_u32_u24 v18, v0, s4, v15
	s_lshl_b32 s0, -1, s45
	v_mov_b32_e32 v1, v7
	v_mov_b32_e32 v14, v7
	;; [unrolled: 1-line block ×4, first 2 shown]
	s_not_b32 s12, s0
	v_mov_b32_e32 v26, v7
	v_mov_b32_e32 v28, v7
	s_mov_b32 s35, 0
	s_waitcnt lgkmcnt(0)
	s_barrier
	s_waitcnt vmcnt(6)
	; wave barrier
	v_xor_b32_e32 v5, 0x7f, v5
	v_lshrrev_b32_e32 v0, s44, v5
	v_bitop3_b32 v20, v0, s0, v0 bitop3:0x30
	v_and_b32_e32 v0, 1, v20
	v_lshlrev_b32_e32 v15, 30, v20
	v_lshlrev_b32_e32 v17, 29, v20
	;; [unrolled: 1-line block ×3, first 2 shown]
	v_lshl_add_u64 v[12:13], v[0:1], 0, -1
	v_cmp_ne_u32_e32 vcc, 0, v0
	v_not_b32_e32 v0, v15
	v_not_b32_e32 v1, v17
	v_cmp_gt_i64_e64 s[0:1], 0, v[14:15]
	v_cmp_gt_i64_e64 s[4:5], 0, v[16:17]
	;; [unrolled: 1-line block ×3, first 2 shown]
	v_xor_b32_e32 v13, vcc_hi, v13
	v_xor_b32_e32 v12, vcc_lo, v12
	v_ashrrev_i32_e32 v17, 31, v0
	v_ashrrev_i32_e32 v22, 31, v1
	s_waitcnt vmcnt(5)
	v_mad_u64_u32 v[0:1], s[14:15], v18, v11, v[2:3]
	v_lshlrev_b32_e32 v27, 27, v20
	v_not_b32_e32 v14, v23
	v_and_b32_e32 v1, exec_hi, v13
	v_and_b32_e32 v11, exec_lo, v12
	v_xor_b32_e32 v12, s1, v17
	v_xor_b32_e32 v13, s0, v17
	v_lshlrev_b32_e32 v29, 26, v20
	v_not_b32_e32 v15, v27
	v_ashrrev_i32_e32 v14, 31, v14
	v_xor_b32_e32 v18, s5, v22
	v_xor_b32_e32 v22, s4, v22
	v_lshrrev_b32_e32 v0, 4, v0
	v_and_b32_e32 v1, v1, v12
	v_and_b32_e32 v11, v11, v13
	v_cmp_gt_i64_e64 s[8:9], 0, v[26:27]
	v_not_b32_e32 v16, v29
	v_ashrrev_i32_e32 v15, 31, v15
	v_xor_b32_e32 v23, s7, v14
	v_xor_b32_e32 v14, s6, v14
	v_and_b32_e32 v17, 0xffffffc, v0
	v_and_b32_e32 v0, v1, v18
	;; [unrolled: 1-line block ×3, first 2 shown]
	v_cmp_gt_i64_e64 s[10:11], 0, v[28:29]
	v_xor_b32_e32 v26, s9, v15
	v_xor_b32_e32 v15, s8, v15
	v_and_b32_e32 v0, v0, v23
	v_and_b32_e32 v1, v1, v14
	v_ashrrev_i32_e32 v11, 31, v16
	v_and_b32_e32 v0, v0, v26
	v_and_b32_e32 v1, v1, v15
	v_xor_b32_e32 v12, s11, v11
	v_xor_b32_e32 v11, s10, v11
	v_and_b32_e32 v12, v0, v12
	v_and_b32_e32 v11, v1, v11
	v_lshlrev_b32_e32 v1, 25, v20
	v_mov_b32_e32 v0, v7
	v_cmp_gt_i64_e32 vcc, 0, v[0:1]
	v_not_b32_e32 v0, v1
	v_ashrrev_i32_e32 v0, 31, v0
	v_xor_b32_e32 v1, vcc_hi, v0
	v_xor_b32_e32 v0, vcc_lo, v0
	v_and_b32_e32 v12, v12, v1
	v_and_b32_e32 v11, v11, v0
	v_lshlrev_b32_e32 v1, 24, v20
	v_mov_b32_e32 v0, v7
	v_cmp_gt_i64_e32 vcc, 0, v[0:1]
	v_not_b32_e32 v0, v1
	v_ashrrev_i32_e32 v0, 31, v0
	v_xor_b32_e32 v1, vcc_hi, v0
	v_xor_b32_e32 v0, vcc_lo, v0
	v_and_b32_e32 v0, v11, v0
	v_and_b32_e32 v1, v12, v1
	v_mbcnt_lo_u32_b32 v11, v0, 0
	v_mbcnt_hi_u32_b32 v11, v1, v11
	v_mul_u32_u24_e32 v25, 36, v20
	v_cmp_eq_u32_e32 vcc, 0, v11
	v_cmp_ne_u64_e64 s[0:1], 0, v[0:1]
	s_and_b64 s[4:5], s[0:1], vcc
	v_add_u32_e32 v14, v17, v25
	s_and_saveexec_b64 s[0:1], s[4:5]
; %bb.98:
	v_bcnt_u32_b32 v0, v0, 0
	v_bcnt_u32_b32 v0, v1, v0
	ds_write_b32 v14, v0 offset:32
; %bb.99:
	s_or_b64 exec, exec, s[0:1]
	s_waitcnt vmcnt(4)
	v_xor_b32_e32 v12, 0x7f, v9
	v_lshrrev_b32_sdwa v0, s44, v12 dst_sel:DWORD dst_unused:UNUSED_PAD src0_sel:DWORD src1_sel:BYTE_0
	v_and_b32_e32 v9, s12, v0
	v_mad_u32_u24 v0, v9, 36, v17
	; wave barrier
	ds_read_b32 v13, v0 offset:32
	v_and_b32_e32 v0, 1, v9
	v_mov_b32_e32 v1, v7
	v_lshl_add_u64 v[22:23], v[0:1], 0, -1
	v_cmp_ne_u32_e32 vcc, 0, v0
	v_mul_u32_u24_e32 v15, 36, v9
	s_nop 0
	v_xor_b32_e32 v0, vcc_hi, v23
	v_xor_b32_e32 v1, vcc_lo, v22
	v_and_b32_e32 v16, exec_hi, v0
	v_and_b32_e32 v18, exec_lo, v1
	v_lshlrev_b32_e32 v1, 30, v9
	v_mov_b32_e32 v0, v7
	v_cmp_gt_i64_e32 vcc, 0, v[0:1]
	v_not_b32_e32 v0, v1
	v_ashrrev_i32_e32 v0, 31, v0
	v_xor_b32_e32 v1, vcc_hi, v0
	v_xor_b32_e32 v0, vcc_lo, v0
	v_and_b32_e32 v16, v16, v1
	v_and_b32_e32 v18, v18, v0
	v_lshlrev_b32_e32 v1, 29, v9
	v_mov_b32_e32 v0, v7
	v_cmp_gt_i64_e32 vcc, 0, v[0:1]
	v_not_b32_e32 v0, v1
	v_ashrrev_i32_e32 v0, 31, v0
	v_xor_b32_e32 v1, vcc_hi, v0
	v_xor_b32_e32 v0, vcc_lo, v0
	v_and_b32_e32 v16, v16, v1
	v_and_b32_e32 v18, v18, v0
	;; [unrolled: 9-line block ×7, first 2 shown]
	v_mbcnt_lo_u32_b32 v7, v0, 0
	v_mbcnt_hi_u32_b32 v7, v1, v7
	v_cmp_eq_u32_e32 vcc, 0, v7
	v_cmp_ne_u64_e64 s[0:1], 0, v[0:1]
	s_and_b64 s[4:5], s[0:1], vcc
	v_add_u32_e32 v18, v17, v15
	; wave barrier
	s_and_saveexec_b64 s[0:1], s[4:5]
	s_cbranch_execz .LBB38_101
; %bb.100:
	v_bcnt_u32_b32 v0, v0, 0
	v_bcnt_u32_b32 v0, v1, v0
	s_waitcnt lgkmcnt(0)
	v_add_u32_e32 v0, v13, v0
	ds_write_b32 v18, v0 offset:32
.LBB38_101:
	s_or_b64 exec, exec, s[0:1]
	s_waitcnt vmcnt(3)
	v_xor_b32_e32 v15, 0x7f, v8
	v_lshrrev_b32_sdwa v0, s44, v15 dst_sel:DWORD dst_unused:UNUSED_PAD src0_sel:DWORD src1_sel:BYTE_0
	v_and_b32_e32 v20, s12, v0
	v_mad_u32_u24 v0, v20, 36, v17
	; wave barrier
	ds_read_b32 v16, v0 offset:32
	v_and_b32_e32 v0, 1, v20
	v_mov_b32_e32 v1, 0
	v_lshl_add_u64 v[8:9], v[0:1], 0, -1
	v_cmp_ne_u32_e32 vcc, 0, v0
	v_mul_u32_u24_e32 v22, 36, v20
	s_nop 0
	v_xor_b32_e32 v8, vcc_lo, v8
	v_xor_b32_e32 v0, vcc_hi, v9
	v_and_b32_e32 v23, exec_lo, v8
	v_lshlrev_b32_e32 v9, 30, v20
	v_mov_b32_e32 v8, v1
	v_cmp_gt_i64_e32 vcc, 0, v[8:9]
	v_not_b32_e32 v8, v9
	v_ashrrev_i32_e32 v8, 31, v8
	v_and_b32_e32 v0, exec_hi, v0
	v_xor_b32_e32 v9, vcc_hi, v8
	v_xor_b32_e32 v8, vcc_lo, v8
	v_and_b32_e32 v0, v0, v9
	v_and_b32_e32 v23, v23, v8
	v_lshlrev_b32_e32 v9, 29, v20
	v_mov_b32_e32 v8, v1
	v_cmp_gt_i64_e32 vcc, 0, v[8:9]
	v_not_b32_e32 v8, v9
	v_ashrrev_i32_e32 v8, 31, v8
	v_xor_b32_e32 v9, vcc_hi, v8
	v_xor_b32_e32 v8, vcc_lo, v8
	v_and_b32_e32 v0, v0, v9
	v_and_b32_e32 v23, v23, v8
	v_lshlrev_b32_e32 v9, 28, v20
	v_mov_b32_e32 v8, v1
	v_cmp_gt_i64_e32 vcc, 0, v[8:9]
	v_not_b32_e32 v8, v9
	v_ashrrev_i32_e32 v8, 31, v8
	;; [unrolled: 9-line block ×6, first 2 shown]
	v_xor_b32_e32 v9, vcc_hi, v8
	v_xor_b32_e32 v8, vcc_lo, v8
	v_and_b32_e32 v8, v23, v8
	v_and_b32_e32 v9, v0, v9
	v_mbcnt_lo_u32_b32 v0, v8, 0
	v_mbcnt_hi_u32_b32 v20, v9, v0
	v_cmp_eq_u32_e32 vcc, 0, v20
	v_cmp_ne_u64_e64 s[0:1], 0, v[8:9]
	s_and_b64 s[4:5], s[0:1], vcc
	v_add_u32_e32 v23, v17, v22
	; wave barrier
	s_and_saveexec_b64 s[0:1], s[4:5]
	s_cbranch_execz .LBB38_103
; %bb.102:
	v_bcnt_u32_b32 v0, v8, 0
	v_bcnt_u32_b32 v0, v9, v0
	s_waitcnt lgkmcnt(0)
	v_add_u32_e32 v0, v16, v0
	ds_write_b32 v23, v0 offset:32
.LBB38_103:
	s_or_b64 exec, exec, s[0:1]
	s_waitcnt vmcnt(2)
	v_xor_b32_e32 v21, 0x7f, v21
	v_lshrrev_b32_sdwa v0, s44, v21 dst_sel:DWORD dst_unused:UNUSED_PAD src0_sel:DWORD src1_sel:BYTE_0
	v_and_b32_e32 v25, s12, v0
	v_mad_u32_u24 v0, v25, 36, v17
	; wave barrier
	ds_read_b32 v22, v0 offset:32
	v_and_b32_e32 v0, 1, v25
	v_lshl_add_u64 v[8:9], v[0:1], 0, -1
	v_cmp_ne_u32_e32 vcc, 0, v0
	v_mul_u32_u24_e32 v26, 36, v25
	s_nop 0
	v_xor_b32_e32 v8, vcc_lo, v8
	v_xor_b32_e32 v0, vcc_hi, v9
	v_and_b32_e32 v27, exec_lo, v8
	v_lshlrev_b32_e32 v9, 30, v25
	v_mov_b32_e32 v8, v1
	v_cmp_gt_i64_e32 vcc, 0, v[8:9]
	v_not_b32_e32 v8, v9
	v_ashrrev_i32_e32 v8, 31, v8
	v_and_b32_e32 v0, exec_hi, v0
	v_xor_b32_e32 v9, vcc_hi, v8
	v_xor_b32_e32 v8, vcc_lo, v8
	v_and_b32_e32 v0, v0, v9
	v_and_b32_e32 v27, v27, v8
	v_lshlrev_b32_e32 v9, 29, v25
	v_mov_b32_e32 v8, v1
	v_cmp_gt_i64_e32 vcc, 0, v[8:9]
	v_not_b32_e32 v8, v9
	v_ashrrev_i32_e32 v8, 31, v8
	v_xor_b32_e32 v9, vcc_hi, v8
	v_xor_b32_e32 v8, vcc_lo, v8
	v_and_b32_e32 v0, v0, v9
	v_and_b32_e32 v27, v27, v8
	v_lshlrev_b32_e32 v9, 28, v25
	v_mov_b32_e32 v8, v1
	v_cmp_gt_i64_e32 vcc, 0, v[8:9]
	v_not_b32_e32 v8, v9
	v_ashrrev_i32_e32 v8, 31, v8
	;; [unrolled: 9-line block ×5, first 2 shown]
	v_xor_b32_e32 v9, vcc_hi, v8
	v_xor_b32_e32 v8, vcc_lo, v8
	v_and_b32_e32 v0, v0, v9
	v_lshlrev_b32_e32 v9, 24, v25
	v_and_b32_e32 v27, v27, v8
	v_mov_b32_e32 v8, v1
	v_not_b32_e32 v1, v9
	v_cmp_gt_i64_e32 vcc, 0, v[8:9]
	v_ashrrev_i32_e32 v1, 31, v1
	; wave barrier
	s_nop 0
	v_xor_b32_e32 v8, vcc_hi, v1
	v_xor_b32_e32 v9, vcc_lo, v1
	v_and_b32_e32 v1, v0, v8
	v_and_b32_e32 v0, v27, v9
	v_mbcnt_lo_u32_b32 v8, v0, 0
	v_mbcnt_hi_u32_b32 v25, v1, v8
	v_cmp_eq_u32_e32 vcc, 0, v25
	v_cmp_ne_u64_e64 s[0:1], 0, v[0:1]
	s_and_b64 s[4:5], s[0:1], vcc
	v_add_u32_e32 v27, v17, v26
	s_and_saveexec_b64 s[0:1], s[4:5]
	s_cbranch_execz .LBB38_105
; %bb.104:
	v_bcnt_u32_b32 v0, v0, 0
	v_bcnt_u32_b32 v0, v1, v0
	s_waitcnt lgkmcnt(0)
	v_add_u32_e32 v0, v22, v0
	ds_write_b32 v27, v0 offset:32
.LBB38_105:
	s_or_b64 exec, exec, s[0:1]
	s_waitcnt vmcnt(1)
	v_xor_b32_e32 v24, 0x7f, v24
	v_lshrrev_b32_sdwa v0, s44, v24 dst_sel:DWORD dst_unused:UNUSED_PAD src0_sel:DWORD src1_sel:BYTE_0
	v_and_b32_e32 v28, s12, v0
	v_mad_u32_u24 v0, v28, 36, v17
	; wave barrier
	ds_read_b32 v26, v0 offset:32
	v_and_b32_e32 v0, 1, v28
	v_mov_b32_e32 v1, 0
	v_lshl_add_u64 v[8:9], v[0:1], 0, -1
	v_cmp_ne_u32_e32 vcc, 0, v0
	v_mul_u32_u24_e32 v29, 36, v28
	s_nop 0
	v_xor_b32_e32 v8, vcc_lo, v8
	v_xor_b32_e32 v0, vcc_hi, v9
	v_and_b32_e32 v30, exec_lo, v8
	v_lshlrev_b32_e32 v9, 30, v28
	v_mov_b32_e32 v8, v1
	v_cmp_gt_i64_e32 vcc, 0, v[8:9]
	v_not_b32_e32 v8, v9
	v_ashrrev_i32_e32 v8, 31, v8
	v_and_b32_e32 v0, exec_hi, v0
	v_xor_b32_e32 v9, vcc_hi, v8
	v_xor_b32_e32 v8, vcc_lo, v8
	v_and_b32_e32 v0, v0, v9
	v_and_b32_e32 v30, v30, v8
	v_lshlrev_b32_e32 v9, 29, v28
	v_mov_b32_e32 v8, v1
	v_cmp_gt_i64_e32 vcc, 0, v[8:9]
	v_not_b32_e32 v8, v9
	v_ashrrev_i32_e32 v8, 31, v8
	v_xor_b32_e32 v9, vcc_hi, v8
	v_xor_b32_e32 v8, vcc_lo, v8
	v_and_b32_e32 v0, v0, v9
	v_and_b32_e32 v30, v30, v8
	v_lshlrev_b32_e32 v9, 28, v28
	v_mov_b32_e32 v8, v1
	v_cmp_gt_i64_e32 vcc, 0, v[8:9]
	v_not_b32_e32 v8, v9
	v_ashrrev_i32_e32 v8, 31, v8
	;; [unrolled: 9-line block ×6, first 2 shown]
	v_xor_b32_e32 v9, vcc_hi, v8
	v_xor_b32_e32 v8, vcc_lo, v8
	v_and_b32_e32 v8, v30, v8
	v_and_b32_e32 v9, v0, v9
	v_mbcnt_lo_u32_b32 v0, v8, 0
	v_mbcnt_hi_u32_b32 v28, v9, v0
	v_cmp_eq_u32_e32 vcc, 0, v28
	v_cmp_ne_u64_e64 s[0:1], 0, v[8:9]
	s_and_b64 s[4:5], s[0:1], vcc
	v_add_u32_e32 v30, v17, v29
	; wave barrier
	s_and_saveexec_b64 s[0:1], s[4:5]
	s_cbranch_execz .LBB38_107
; %bb.106:
	v_bcnt_u32_b32 v0, v8, 0
	v_bcnt_u32_b32 v0, v9, v0
	s_waitcnt lgkmcnt(0)
	v_add_u32_e32 v0, v26, v0
	ds_write_b32 v30, v0 offset:32
.LBB38_107:
	s_or_b64 exec, exec, s[0:1]
	s_waitcnt vmcnt(0)
	v_xor_b32_e32 v19, 0x7f, v19
	v_lshrrev_b32_sdwa v0, s44, v19 dst_sel:DWORD dst_unused:UNUSED_PAD src0_sel:DWORD src1_sel:BYTE_0
	v_and_b32_e32 v31, s12, v0
	v_mad_u32_u24 v0, v31, 36, v17
	; wave barrier
	ds_read_b32 v29, v0 offset:32
	v_and_b32_e32 v0, 1, v31
	v_lshl_add_u64 v[8:9], v[0:1], 0, -1
	v_cmp_ne_u32_e32 vcc, 0, v0
	v_mul_u32_u24_e32 v32, 36, v31
	v_add_u32_e32 v17, v17, v32
	v_xor_b32_e32 v8, vcc_lo, v8
	v_xor_b32_e32 v0, vcc_hi, v9
	v_and_b32_e32 v33, exec_lo, v8
	v_lshlrev_b32_e32 v9, 30, v31
	v_mov_b32_e32 v8, v1
	v_cmp_gt_i64_e32 vcc, 0, v[8:9]
	v_not_b32_e32 v8, v9
	v_ashrrev_i32_e32 v8, 31, v8
	v_and_b32_e32 v0, exec_hi, v0
	v_xor_b32_e32 v9, vcc_hi, v8
	v_xor_b32_e32 v8, vcc_lo, v8
	v_and_b32_e32 v0, v0, v9
	v_and_b32_e32 v33, v33, v8
	v_lshlrev_b32_e32 v9, 29, v31
	v_mov_b32_e32 v8, v1
	v_cmp_gt_i64_e32 vcc, 0, v[8:9]
	v_not_b32_e32 v8, v9
	v_ashrrev_i32_e32 v8, 31, v8
	v_xor_b32_e32 v9, vcc_hi, v8
	v_xor_b32_e32 v8, vcc_lo, v8
	v_and_b32_e32 v0, v0, v9
	v_and_b32_e32 v33, v33, v8
	v_lshlrev_b32_e32 v9, 28, v31
	v_mov_b32_e32 v8, v1
	v_cmp_gt_i64_e32 vcc, 0, v[8:9]
	v_not_b32_e32 v8, v9
	v_ashrrev_i32_e32 v8, 31, v8
	;; [unrolled: 9-line block ×5, first 2 shown]
	v_xor_b32_e32 v9, vcc_hi, v8
	v_xor_b32_e32 v8, vcc_lo, v8
	v_and_b32_e32 v0, v0, v9
	v_lshlrev_b32_e32 v9, 24, v31
	v_and_b32_e32 v33, v33, v8
	v_mov_b32_e32 v8, v1
	v_not_b32_e32 v1, v9
	v_cmp_gt_i64_e32 vcc, 0, v[8:9]
	v_ashrrev_i32_e32 v1, 31, v1
	s_nop 0
	v_xor_b32_e32 v8, vcc_hi, v1
	v_xor_b32_e32 v9, vcc_lo, v1
	v_and_b32_e32 v1, v0, v8
	v_and_b32_e32 v0, v33, v9
	v_mbcnt_lo_u32_b32 v8, v0, 0
	v_mbcnt_hi_u32_b32 v31, v1, v8
	v_cmp_eq_u32_e32 vcc, 0, v31
	v_cmp_ne_u64_e64 s[0:1], 0, v[0:1]
	s_and_b64 s[4:5], s[0:1], vcc
	; wave barrier
	s_and_saveexec_b64 s[0:1], s[4:5]
	s_cbranch_execz .LBB38_109
; %bb.108:
	v_bcnt_u32_b32 v0, v0, 0
	v_bcnt_u32_b32 v0, v1, v0
	s_waitcnt lgkmcnt(0)
	v_add_u32_e32 v0, v29, v0
	ds_write_b32 v17, v0 offset:32
.LBB38_109:
	s_or_b64 exec, exec, s[0:1]
	; wave barrier
	s_waitcnt lgkmcnt(0)
	s_barrier
	ds_read2_b32 v[8:9], v3 offset0:8 offset1:9
	ds_read2_b32 v[0:1], v3 offset0:10 offset1:11
	ds_read_b32 v32, v3 offset:48
	v_min_u32_e32 v10, 0x1c0, v10
	v_or_b32_e32 v10, 63, v10
	s_waitcnt lgkmcnt(1)
	v_add3_u32 v33, v9, v8, v0
	s_waitcnt lgkmcnt(0)
	v_add3_u32 v32, v33, v1, v32
	v_and_b32_e32 v33, 15, v6
	v_cmp_ne_u32_e32 vcc, 0, v33
	v_mov_b32_dpp v34, v32 row_shr:1 row_mask:0xf bank_mask:0xf
	s_nop 0
	v_cndmask_b32_e32 v34, 0, v34, vcc
	v_add_u32_e32 v32, v34, v32
	v_cmp_lt_u32_e32 vcc, 1, v33
	s_nop 0
	v_mov_b32_dpp v34, v32 row_shr:2 row_mask:0xf bank_mask:0xf
	v_cndmask_b32_e32 v34, 0, v34, vcc
	v_add_u32_e32 v32, v32, v34
	v_cmp_lt_u32_e32 vcc, 3, v33
	s_nop 0
	v_mov_b32_dpp v34, v32 row_shr:4 row_mask:0xf bank_mask:0xf
	;; [unrolled: 5-line block ×3, first 2 shown]
	v_cndmask_b32_e32 v33, 0, v34, vcc
	v_add_u32_e32 v32, v32, v33
	v_bfe_i32 v34, v6, 4, 1
	v_cmp_lt_u32_e32 vcc, 31, v6
	v_mov_b32_dpp v33, v32 row_bcast:15 row_mask:0xf bank_mask:0xf
	v_and_b32_e32 v33, v34, v33
	v_add_u32_e32 v32, v32, v33
	s_nop 1
	v_mov_b32_dpp v33, v32 row_bcast:31 row_mask:0xf bank_mask:0xf
	v_cndmask_b32_e32 v33, 0, v33, vcc
	v_add_u32_e32 v32, v32, v33
	v_lshrrev_b32_e32 v33, 6, v2
	v_cmp_eq_u32_e32 vcc, v2, v10
	s_and_saveexec_b64 s[0:1], vcc
; %bb.110:
	v_lshlrev_b32_e32 v10, 2, v33
	ds_write_b32 v10, v32
; %bb.111:
	s_or_b64 exec, exec, s[0:1]
	v_cmp_gt_u32_e32 vcc, 8, v2
	s_waitcnt lgkmcnt(0)
	s_barrier
	s_and_saveexec_b64 s[0:1], vcc
	s_cbranch_execz .LBB38_113
; %bb.112:
	v_lshlrev_b32_e32 v10, 2, v2
	ds_read_b32 v34, v10
	v_and_b32_e32 v35, 7, v6
	v_cmp_ne_u32_e32 vcc, 0, v35
	s_waitcnt lgkmcnt(0)
	v_mov_b32_dpp v36, v34 row_shr:1 row_mask:0xf bank_mask:0xf
	v_cndmask_b32_e32 v36, 0, v36, vcc
	v_add_u32_e32 v34, v36, v34
	v_cmp_lt_u32_e32 vcc, 1, v35
	s_nop 0
	v_mov_b32_dpp v36, v34 row_shr:2 row_mask:0xf bank_mask:0xf
	v_cndmask_b32_e32 v36, 0, v36, vcc
	v_add_u32_e32 v34, v34, v36
	v_cmp_lt_u32_e32 vcc, 3, v35
	s_nop 0
	v_mov_b32_dpp v36, v34 row_shr:4 row_mask:0xf bank_mask:0xf
	v_cndmask_b32_e32 v35, 0, v36, vcc
	v_add_u32_e32 v34, v34, v35
	ds_write_b32 v10, v34
.LBB38_113:
	s_or_b64 exec, exec, s[0:1]
	v_cmp_lt_u32_e32 vcc, 63, v2
	v_mov_b32_e32 v10, 0
	s_waitcnt lgkmcnt(0)
	s_barrier
	s_and_saveexec_b64 s[0:1], vcc
; %bb.114:
	v_lshl_add_u32 v10, v33, 2, -4
	ds_read_b32 v10, v10
; %bb.115:
	s_or_b64 exec, exec, s[0:1]
	v_add_u32_e32 v33, -1, v6
	v_and_b32_e32 v34, 64, v6
	v_cmp_lt_i32_e32 vcc, v33, v34
	s_waitcnt lgkmcnt(0)
	v_add_u32_e32 v32, v10, v32
	s_movk_i32 s0, 0xff
	v_cndmask_b32_e32 v33, v33, v6, vcc
	v_lshlrev_b32_e32 v33, 2, v33
	ds_bpermute_b32 v32, v33, v32
	v_cmp_eq_u32_e32 vcc, 0, v6
	s_movk_i32 s4, 0x100
	s_waitcnt lgkmcnt(0)
	v_cndmask_b32_e32 v10, v32, v10, vcc
	v_cmp_ne_u32_e32 vcc, 0, v2
	s_nop 1
	v_cndmask_b32_e32 v10, 0, v10, vcc
	v_add_u32_e32 v8, v10, v8
	v_add_u32_e32 v9, v8, v9
	v_add_u32_e32 v0, v9, v0
	v_add_u32_e32 v1, v0, v1
	ds_write2_b32 v3, v10, v8 offset0:8 offset1:9
	ds_write2_b32 v3, v9, v0 offset0:10 offset1:11
	ds_write_b32 v3, v1 offset:48
	s_waitcnt lgkmcnt(0)
	s_barrier
	ds_read_b32 v3, v14 offset:32
	ds_read_b32 v9, v18 offset:32
	;; [unrolled: 1-line block ×6, first 2 shown]
	v_cmp_lt_u32_e32 vcc, s0, v2
	v_cmp_gt_u32_e64 s[0:1], s4, v2
	v_mov_b64_e32 v[0:1], 0
                                        ; implicit-def: $vgpr8
	s_and_saveexec_b64 s[6:7], s[0:1]
	s_cbranch_execz .LBB38_119
; %bb.116:
	v_mul_u32_u24_e32 v0, 36, v2
	ds_read_b32 v0, v0 offset:32
	v_add_u32_e32 v8, 1, v2
	v_cmp_ne_u32_e64 s[4:5], s4, v8
	v_mov_b32_e32 v1, 0xc00
	s_and_saveexec_b64 s[8:9], s[4:5]
; %bb.117:
	v_mul_u32_u24_e32 v1, 36, v8
	ds_read_b32 v1, v1 offset:32
; %bb.118:
	s_or_b64 exec, exec, s[8:9]
	s_waitcnt lgkmcnt(0)
	v_sub_u32_e32 v8, v1, v0
	v_mov_b32_e32 v1, 0
.LBB38_119:
	s_or_b64 exec, exec, s[6:7]
	s_waitcnt lgkmcnt(5)
	v_add_u32_e32 v27, v3, v11
	v_mov_b32_e32 v11, 0
	s_waitcnt lgkmcnt(4)
	v_add3_u32 v23, v7, v13, v9
	s_waitcnt lgkmcnt(3)
	v_add3_u32 v18, v20, v16, v10
	;; [unrolled: 2-line block ×5, first 2 shown]
	s_barrier
	ds_write_b8 v27, v5 offset:2048
	ds_write_b8 v23, v12 offset:2048
	;; [unrolled: 1-line block ×6, first 2 shown]
	v_mov_b32_e32 v3, v11
	v_lshlrev_b32_e32 v5, 3, v2
	s_waitcnt lgkmcnt(0)
	s_barrier
	s_and_saveexec_b64 s[4:5], s[0:1]
	s_cbranch_execz .LBB38_129
; %bb.120:
	v_lshl_add_u32 v10, s2, 8, v2
	v_lshl_add_u64 v[12:13], v[10:11], 2, s[48:49]
	v_or_b32_e32 v7, 2.0, v8
	global_store_dword v[12:13], v7, off sc1
	s_mov_b64 s[6:7], 0
	s_brev_b32 s13, -4
	s_mov_b32 s14, s2
	v_mov_b32_e32 v7, 0
                                        ; implicit-def: $sgpr0_sgpr1
	s_branch .LBB38_123
.LBB38_121:                             ;   in Loop: Header=BB38_123 Depth=1
	s_or_b64 exec, exec, s[10:11]
.LBB38_122:                             ;   in Loop: Header=BB38_123 Depth=1
	s_or_b64 exec, exec, s[8:9]
	v_and_b32_e32 v14, 0x3fffffff, v10
	v_add_u32_e32 v7, v14, v7
	v_cmp_gt_i32_e64 s[0:1], -2.0, v10
	s_and_b64 s[8:9], exec, s[0:1]
	s_or_b64 s[6:7], s[8:9], s[6:7]
	s_andn2_b64 exec, exec, s[6:7]
	s_cbranch_execz .LBB38_128
.LBB38_123:                             ; =>This Loop Header: Depth=1
                                        ;     Child Loop BB38_126 Depth 2
	s_or_b64 s[0:1], s[0:1], exec
	s_cmp_eq_u32 s14, 0
	s_cbranch_scc1 .LBB38_127
; %bb.124:                              ;   in Loop: Header=BB38_123 Depth=1
	s_add_i32 s14, s14, -1
	v_lshl_or_b32 v10, s14, 8, v2
	v_lshl_add_u64 v[14:15], v[10:11], 2, s[48:49]
	global_load_dword v10, v[14:15], off sc1
	s_waitcnt vmcnt(0)
	v_cmp_gt_u32_e64 s[0:1], 2.0, v10
	s_and_saveexec_b64 s[8:9], s[0:1]
	s_cbranch_execz .LBB38_122
; %bb.125:                              ;   in Loop: Header=BB38_123 Depth=1
	s_mov_b64 s[10:11], 0
.LBB38_126:                             ;   Parent Loop BB38_123 Depth=1
                                        ; =>  This Inner Loop Header: Depth=2
	global_load_dword v10, v[14:15], off sc1
	s_waitcnt vmcnt(0)
	v_cmp_lt_u32_e64 s[0:1], s13, v10
	s_or_b64 s[10:11], s[0:1], s[10:11]
	s_andn2_b64 exec, exec, s[10:11]
	s_cbranch_execnz .LBB38_126
	s_branch .LBB38_121
.LBB38_127:                             ;   in Loop: Header=BB38_123 Depth=1
                                        ; implicit-def: $sgpr14
	s_and_b64 s[8:9], exec, s[0:1]
	s_or_b64 s[6:7], s[8:9], s[6:7]
	s_andn2_b64 exec, exec, s[6:7]
	s_cbranch_execnz .LBB38_123
.LBB38_128:
	s_or_b64 exec, exec, s[6:7]
	v_add_u32_e32 v11, v7, v8
	v_or_b32_e32 v11, 0x80000000, v11
	v_lshlrev_b32_e32 v10, 3, v2
	global_store_dword v[12:13], v11, off sc1
	global_load_dwordx2 v[10:11], v10, s[28:29]
	v_sub_co_u32_e64 v12, s[0:1], v7, v0
	s_nop 1
	v_subb_co_u32_e64 v13, s[0:1], 0, v1, s[0:1]
	s_waitcnt vmcnt(0)
	v_lshl_add_u64 v[10:11], v[12:13], 0, v[10:11]
	ds_write_b64 v5, v[10:11]
.LBB38_129:
	s_or_b64 exec, exec, s[4:5]
	s_waitcnt lgkmcnt(0)
	s_barrier
	ds_read_u8 v7, v2 offset:4096
	ds_read_u8 v19, v2 offset:3072
	;; [unrolled: 1-line block ×5, first 2 shown]
	s_waitcnt lgkmcnt(4)
	v_lshrrev_b32_sdwa v10, s44, v7 dst_sel:DWORD dst_unused:UNUSED_PAD src0_sel:DWORD src1_sel:BYTE_0
	v_and_b32_e32 v10, s12, v10
	v_lshlrev_b32_e32 v32, 3, v10
	s_waitcnt lgkmcnt(1)
	v_lshrrev_b32_sdwa v10, s44, v26 dst_sel:DWORD dst_unused:UNUSED_PAD src0_sel:DWORD src1_sel:BYTE_0
	v_and_b32_e32 v10, s12, v10
	v_lshlrev_b32_e32 v33, 3, v10
	ds_read_u8 v30, v2 offset:2560
	ds_read_b64 v[10:11], v32
	ds_read_b64 v[12:13], v33
	s_waitcnt lgkmcnt(3)
	v_lshrrev_b32_sdwa v15, s44, v14 dst_sel:DWORD dst_unused:UNUSED_PAD src0_sel:DWORD src1_sel:BYTE_0
	v_and_b32_e32 v15, s12, v15
	s_waitcnt lgkmcnt(2)
	v_lshrrev_b32_sdwa v20, s44, v30 dst_sel:DWORD dst_unused:UNUSED_PAD src0_sel:DWORD src1_sel:BYTE_0
	v_lshlrev_b32_e32 v34, 3, v15
	v_and_b32_e32 v20, s12, v20
	v_xor_b32_e32 v31, 0x7f, v14
	ds_read_b64 v[14:15], v34
	v_lshlrev_b32_e32 v35, 3, v20
	v_lshrrev_b32_sdwa v20, s44, v19 dst_sel:DWORD dst_unused:UNUSED_PAD src0_sel:DWORD src1_sel:BYTE_0
	v_and_b32_e32 v20, s12, v20
	v_lshlrev_b32_e32 v36, 3, v20
	v_lshrrev_b32_sdwa v20, s44, v22 dst_sel:DWORD dst_unused:UNUSED_PAD src0_sel:DWORD src1_sel:BYTE_0
	v_and_b32_e32 v20, s12, v20
	v_lshlrev_b32_e32 v37, 3, v20
	ds_read_b64 v[20:21], v35
	ds_read_b64 v[24:25], v36
	;; [unrolled: 1-line block ×3, first 2 shown]
	s_waitcnt lgkmcnt(3)
	v_lshl_add_u64 v[14:15], s[38:39], 0, v[14:15]
	v_lshl_add_u64 v[14:15], v[14:15], 0, v[2:3]
	global_store_byte v[14:15], v31, off
	s_waitcnt lgkmcnt(2)
	v_lshl_add_u64 v[14:15], s[38:39], 0, v[20:21]
	v_xor_b32_e32 v30, 0x7f, v30
	v_lshl_add_u64 v[14:15], v[14:15], 0, v[2:3]
	global_store_byte v[14:15], v30, off offset:512
	s_waitcnt lgkmcnt(1)
	v_lshl_add_u64 v[14:15], s[38:39], 0, v[24:25]
	v_xor_b32_e32 v19, 0x7f, v19
	v_lshl_add_u64 v[14:15], v[14:15], 0, v[2:3]
	global_store_byte v[14:15], v19, off offset:1024
	s_waitcnt lgkmcnt(0)
	v_lshl_add_u64 v[14:15], s[38:39], 0, v[28:29]
	v_lshl_add_u64 v[10:11], s[38:39], 0, v[10:11]
	v_xor_b32_e32 v19, 0x7f, v22
	v_lshl_add_u64 v[14:15], v[14:15], 0, v[2:3]
	v_xor_b32_e32 v7, 0x7f, v7
	v_lshl_add_u64 v[10:11], v[10:11], 0, v[2:3]
	global_store_byte v[14:15], v19, off offset:1536
	global_store_byte v[10:11], v7, off offset:2048
	v_lshl_add_u64 v[10:11], s[38:39], 0, v[12:13]
	s_lshl_b64 s[0:1], s[34:35], 3
	v_xor_b32_e32 v7, 0x7f, v26
	v_lshl_add_u64 v[10:11], v[10:11], 0, v[2:3]
	s_add_u32 s0, s40, s0
	global_store_byte v[10:11], v7, off offset:2560
	s_addc_u32 s1, s41, s1
	v_lshlrev_b32_e32 v6, 3, v6
	v_mov_b32_e32 v7, 0
	v_lshl_add_u64 v[10:11], s[0:1], 0, v[6:7]
	v_lshlrev_b32_e32 v6, 3, v4
	v_lshl_add_u64 v[10:11], v[10:11], 0, v[6:7]
	global_load_dwordx2 v[12:13], v[10:11], off
	global_load_dwordx2 v[14:15], v[10:11], off offset:512
	global_load_dwordx2 v[20:21], v[10:11], off offset:1024
	;; [unrolled: 1-line block ×5, first 2 shown]
	v_lshlrev_b32_e32 v3, 3, v27
	v_lshlrev_b32_e32 v10, 3, v18
	;; [unrolled: 1-line block ×4, first 2 shown]
	v_mad_u32_u24 v38, v2, 7, v2
	v_lshlrev_b32_e32 v4, 3, v23
	v_lshlrev_b32_e32 v9, 3, v9
	;; [unrolled: 1-line block ×3, first 2 shown]
	s_barrier
	v_add_u32_e32 v18, 0x1000, v5
	v_or_b32_e32 v22, 0x2000, v5
	v_mov_b32_e32 v19, v7
	v_mov_b32_e32 v23, v7
	s_add_i32 s3, s3, -1
	s_cmp_eq_u32 s2, s3
	s_cselect_b64 s[0:1], -1, 0
	s_xor_b64 s[2:3], vcc, -1
	s_and_b64 s[0:1], s[2:3], s[0:1]
	s_waitcnt vmcnt(5)
	ds_write_b64 v3, v[12:13] offset:2048
	s_waitcnt vmcnt(4)
	ds_write_b64 v4, v[14:15] offset:2048
	;; [unrolled: 2-line block ×6, first 2 shown]
	s_waitcnt lgkmcnt(0)
	s_barrier
	ds_read2st64_b64 v[10:13], v38 offset0:4 offset1:12
	ds_read_b64 v[2:3], v34
	ds_read_b64 v[20:21], v35
	;; [unrolled: 1-line block ×3, first 2 shown]
	ds_read2st64_b64 v[14:17], v38 offset0:20 offset1:28
	ds_read_b64 v[26:27], v37
	s_waitcnt lgkmcnt(4)
	v_lshl_add_u64 v[2:3], v[2:3], 3, s[42:43]
	s_waitcnt lgkmcnt(3)
	v_lshl_add_u64 v[20:21], v[20:21], 3, s[42:43]
	;; [unrolled: 2-line block ×3, first 2 shown]
	v_lshl_add_u64 v[2:3], v[2:3], 0, v[6:7]
	v_lshl_add_u64 v[18:19], v[20:21], 0, v[18:19]
	global_store_dwordx2 v[2:3], v[10:11], off
	global_store_dwordx2 v[18:19], v[12:13], off
	v_lshl_add_u64 v[2:3], v[24:25], 0, v[22:23]
	s_waitcnt lgkmcnt(1)
	global_store_dwordx2 v[2:3], v[14:15], off
	s_waitcnt lgkmcnt(0)
	v_lshl_add_u64 v[2:3], v[26:27], 3, s[42:43]
	v_add_u32_e32 v10, 0x3000, v5
	v_mov_b32_e32 v11, v7
	ds_read_b64 v[14:15], v32
	v_lshl_add_u64 v[2:3], v[2:3], 0, v[10:11]
	global_store_dwordx2 v[2:3], v[16:17], off
	ds_read2st64_b64 v[10:13], v38 offset0:36 offset1:44
	ds_read_b64 v[2:3], v33
	v_or_b32_e32 v16, 0x4000, v5
	s_waitcnt lgkmcnt(2)
	v_lshl_add_u64 v[14:15], v[14:15], 3, s[42:43]
	v_mov_b32_e32 v17, v7
	v_lshl_add_u64 v[14:15], v[14:15], 0, v[16:17]
	s_waitcnt lgkmcnt(1)
	global_store_dwordx2 v[14:15], v[10:11], off
	s_waitcnt lgkmcnt(0)
	v_lshl_add_u64 v[2:3], v[2:3], 3, s[42:43]
	v_add_u32_e32 v10, 0x5000, v5
	v_mov_b32_e32 v11, v7
	v_lshl_add_u64 v[2:3], v[2:3], 0, v[10:11]
	global_store_dwordx2 v[2:3], v[12:13], off
	s_and_saveexec_b64 s[2:3], s[0:1]
	s_cbranch_execz .LBB38_131
; %bb.130:
	ds_read_b64 v[2:3], v5
	v_mov_b32_e32 v9, v7
	v_lshl_add_u64 v[0:1], v[0:1], 0, v[8:9]
	s_waitcnt lgkmcnt(0)
	v_lshl_add_u64 v[0:1], v[0:1], 0, v[2:3]
	global_store_dwordx2 v6, v[0:1], s[30:31]
.LBB38_131:
	s_endpgm
	.section	.rodata,"a",@progbits
	.p2align	6, 0x0
	.amdhsa_kernel _ZN7rocprim17ROCPRIM_304000_NS6detail25onesweep_iteration_kernelINS1_34wrapped_radix_sort_onesweep_configINS0_14default_configEaN2at4cuda3cub6detail10OpaqueTypeILi8EEEEELb1EPKaPaPKSA_PSA_mNS0_19identity_decomposerEEEvT1_T2_T3_T4_jPT5_SO_PNS1_23onesweep_lookback_stateET6_jjj
		.amdhsa_group_segment_fixed_size 26624
		.amdhsa_private_segment_fixed_size 0
		.amdhsa_kernarg_size 336
		.amdhsa_user_sgpr_count 2
		.amdhsa_user_sgpr_dispatch_ptr 0
		.amdhsa_user_sgpr_queue_ptr 0
		.amdhsa_user_sgpr_kernarg_segment_ptr 1
		.amdhsa_user_sgpr_dispatch_id 0
		.amdhsa_user_sgpr_kernarg_preload_length 0
		.amdhsa_user_sgpr_kernarg_preload_offset 0
		.amdhsa_user_sgpr_private_segment_size 0
		.amdhsa_uses_dynamic_stack 0
		.amdhsa_enable_private_segment 0
		.amdhsa_system_sgpr_workgroup_id_x 1
		.amdhsa_system_sgpr_workgroup_id_y 0
		.amdhsa_system_sgpr_workgroup_id_z 0
		.amdhsa_system_sgpr_workgroup_info 0
		.amdhsa_system_vgpr_workitem_id 2
		.amdhsa_next_free_vgpr 39
		.amdhsa_next_free_sgpr 51
		.amdhsa_accum_offset 40
		.amdhsa_reserve_vcc 1
		.amdhsa_float_round_mode_32 0
		.amdhsa_float_round_mode_16_64 0
		.amdhsa_float_denorm_mode_32 3
		.amdhsa_float_denorm_mode_16_64 3
		.amdhsa_dx10_clamp 1
		.amdhsa_ieee_mode 1
		.amdhsa_fp16_overflow 0
		.amdhsa_tg_split 0
		.amdhsa_exception_fp_ieee_invalid_op 0
		.amdhsa_exception_fp_denorm_src 0
		.amdhsa_exception_fp_ieee_div_zero 0
		.amdhsa_exception_fp_ieee_overflow 0
		.amdhsa_exception_fp_ieee_underflow 0
		.amdhsa_exception_fp_ieee_inexact 0
		.amdhsa_exception_int_div_zero 0
	.end_amdhsa_kernel
	.section	.text._ZN7rocprim17ROCPRIM_304000_NS6detail25onesweep_iteration_kernelINS1_34wrapped_radix_sort_onesweep_configINS0_14default_configEaN2at4cuda3cub6detail10OpaqueTypeILi8EEEEELb1EPKaPaPKSA_PSA_mNS0_19identity_decomposerEEEvT1_T2_T3_T4_jPT5_SO_PNS1_23onesweep_lookback_stateET6_jjj,"axG",@progbits,_ZN7rocprim17ROCPRIM_304000_NS6detail25onesweep_iteration_kernelINS1_34wrapped_radix_sort_onesweep_configINS0_14default_configEaN2at4cuda3cub6detail10OpaqueTypeILi8EEEEELb1EPKaPaPKSA_PSA_mNS0_19identity_decomposerEEEvT1_T2_T3_T4_jPT5_SO_PNS1_23onesweep_lookback_stateET6_jjj,comdat
.Lfunc_end38:
	.size	_ZN7rocprim17ROCPRIM_304000_NS6detail25onesweep_iteration_kernelINS1_34wrapped_radix_sort_onesweep_configINS0_14default_configEaN2at4cuda3cub6detail10OpaqueTypeILi8EEEEELb1EPKaPaPKSA_PSA_mNS0_19identity_decomposerEEEvT1_T2_T3_T4_jPT5_SO_PNS1_23onesweep_lookback_stateET6_jjj, .Lfunc_end38-_ZN7rocprim17ROCPRIM_304000_NS6detail25onesweep_iteration_kernelINS1_34wrapped_radix_sort_onesweep_configINS0_14default_configEaN2at4cuda3cub6detail10OpaqueTypeILi8EEEEELb1EPKaPaPKSA_PSA_mNS0_19identity_decomposerEEEvT1_T2_T3_T4_jPT5_SO_PNS1_23onesweep_lookback_stateET6_jjj
                                        ; -- End function
	.set _ZN7rocprim17ROCPRIM_304000_NS6detail25onesweep_iteration_kernelINS1_34wrapped_radix_sort_onesweep_configINS0_14default_configEaN2at4cuda3cub6detail10OpaqueTypeILi8EEEEELb1EPKaPaPKSA_PSA_mNS0_19identity_decomposerEEEvT1_T2_T3_T4_jPT5_SO_PNS1_23onesweep_lookback_stateET6_jjj.num_vgpr, 39
	.set _ZN7rocprim17ROCPRIM_304000_NS6detail25onesweep_iteration_kernelINS1_34wrapped_radix_sort_onesweep_configINS0_14default_configEaN2at4cuda3cub6detail10OpaqueTypeILi8EEEEELb1EPKaPaPKSA_PSA_mNS0_19identity_decomposerEEEvT1_T2_T3_T4_jPT5_SO_PNS1_23onesweep_lookback_stateET6_jjj.num_agpr, 0
	.set _ZN7rocprim17ROCPRIM_304000_NS6detail25onesweep_iteration_kernelINS1_34wrapped_radix_sort_onesweep_configINS0_14default_configEaN2at4cuda3cub6detail10OpaqueTypeILi8EEEEELb1EPKaPaPKSA_PSA_mNS0_19identity_decomposerEEEvT1_T2_T3_T4_jPT5_SO_PNS1_23onesweep_lookback_stateET6_jjj.numbered_sgpr, 51
	.set _ZN7rocprim17ROCPRIM_304000_NS6detail25onesweep_iteration_kernelINS1_34wrapped_radix_sort_onesweep_configINS0_14default_configEaN2at4cuda3cub6detail10OpaqueTypeILi8EEEEELb1EPKaPaPKSA_PSA_mNS0_19identity_decomposerEEEvT1_T2_T3_T4_jPT5_SO_PNS1_23onesweep_lookback_stateET6_jjj.num_named_barrier, 0
	.set _ZN7rocprim17ROCPRIM_304000_NS6detail25onesweep_iteration_kernelINS1_34wrapped_radix_sort_onesweep_configINS0_14default_configEaN2at4cuda3cub6detail10OpaqueTypeILi8EEEEELb1EPKaPaPKSA_PSA_mNS0_19identity_decomposerEEEvT1_T2_T3_T4_jPT5_SO_PNS1_23onesweep_lookback_stateET6_jjj.private_seg_size, 0
	.set _ZN7rocprim17ROCPRIM_304000_NS6detail25onesweep_iteration_kernelINS1_34wrapped_radix_sort_onesweep_configINS0_14default_configEaN2at4cuda3cub6detail10OpaqueTypeILi8EEEEELb1EPKaPaPKSA_PSA_mNS0_19identity_decomposerEEEvT1_T2_T3_T4_jPT5_SO_PNS1_23onesweep_lookback_stateET6_jjj.uses_vcc, 1
	.set _ZN7rocprim17ROCPRIM_304000_NS6detail25onesweep_iteration_kernelINS1_34wrapped_radix_sort_onesweep_configINS0_14default_configEaN2at4cuda3cub6detail10OpaqueTypeILi8EEEEELb1EPKaPaPKSA_PSA_mNS0_19identity_decomposerEEEvT1_T2_T3_T4_jPT5_SO_PNS1_23onesweep_lookback_stateET6_jjj.uses_flat_scratch, 0
	.set _ZN7rocprim17ROCPRIM_304000_NS6detail25onesweep_iteration_kernelINS1_34wrapped_radix_sort_onesweep_configINS0_14default_configEaN2at4cuda3cub6detail10OpaqueTypeILi8EEEEELb1EPKaPaPKSA_PSA_mNS0_19identity_decomposerEEEvT1_T2_T3_T4_jPT5_SO_PNS1_23onesweep_lookback_stateET6_jjj.has_dyn_sized_stack, 0
	.set _ZN7rocprim17ROCPRIM_304000_NS6detail25onesweep_iteration_kernelINS1_34wrapped_radix_sort_onesweep_configINS0_14default_configEaN2at4cuda3cub6detail10OpaqueTypeILi8EEEEELb1EPKaPaPKSA_PSA_mNS0_19identity_decomposerEEEvT1_T2_T3_T4_jPT5_SO_PNS1_23onesweep_lookback_stateET6_jjj.has_recursion, 0
	.set _ZN7rocprim17ROCPRIM_304000_NS6detail25onesweep_iteration_kernelINS1_34wrapped_radix_sort_onesweep_configINS0_14default_configEaN2at4cuda3cub6detail10OpaqueTypeILi8EEEEELb1EPKaPaPKSA_PSA_mNS0_19identity_decomposerEEEvT1_T2_T3_T4_jPT5_SO_PNS1_23onesweep_lookback_stateET6_jjj.has_indirect_call, 0
	.section	.AMDGPU.csdata,"",@progbits
; Kernel info:
; codeLenInByte = 11016
; TotalNumSgprs: 57
; NumVgprs: 39
; NumAgprs: 0
; TotalNumVgprs: 39
; ScratchSize: 0
; MemoryBound: 0
; FloatMode: 240
; IeeeMode: 1
; LDSByteSize: 26624 bytes/workgroup (compile time only)
; SGPRBlocks: 7
; VGPRBlocks: 4
; NumSGPRsForWavesPerEU: 57
; NumVGPRsForWavesPerEU: 39
; AccumOffset: 40
; Occupancy: 8
; WaveLimiterHint : 1
; COMPUTE_PGM_RSRC2:SCRATCH_EN: 0
; COMPUTE_PGM_RSRC2:USER_SGPR: 2
; COMPUTE_PGM_RSRC2:TRAP_HANDLER: 0
; COMPUTE_PGM_RSRC2:TGID_X_EN: 1
; COMPUTE_PGM_RSRC2:TGID_Y_EN: 0
; COMPUTE_PGM_RSRC2:TGID_Z_EN: 0
; COMPUTE_PGM_RSRC2:TIDIG_COMP_CNT: 2
; COMPUTE_PGM_RSRC3_GFX90A:ACCUM_OFFSET: 9
; COMPUTE_PGM_RSRC3_GFX90A:TG_SPLIT: 0
	.section	.text._ZN7rocprim17ROCPRIM_304000_NS6detail25onesweep_iteration_kernelINS1_34wrapped_radix_sort_onesweep_configINS0_14default_configEaN2at4cuda3cub6detail10OpaqueTypeILi8EEEEELb1EPaSC_PSA_SD_mNS0_19identity_decomposerEEEvT1_T2_T3_T4_jPT5_SK_PNS1_23onesweep_lookback_stateET6_jjj,"axG",@progbits,_ZN7rocprim17ROCPRIM_304000_NS6detail25onesweep_iteration_kernelINS1_34wrapped_radix_sort_onesweep_configINS0_14default_configEaN2at4cuda3cub6detail10OpaqueTypeILi8EEEEELb1EPaSC_PSA_SD_mNS0_19identity_decomposerEEEvT1_T2_T3_T4_jPT5_SK_PNS1_23onesweep_lookback_stateET6_jjj,comdat
	.protected	_ZN7rocprim17ROCPRIM_304000_NS6detail25onesweep_iteration_kernelINS1_34wrapped_radix_sort_onesweep_configINS0_14default_configEaN2at4cuda3cub6detail10OpaqueTypeILi8EEEEELb1EPaSC_PSA_SD_mNS0_19identity_decomposerEEEvT1_T2_T3_T4_jPT5_SK_PNS1_23onesweep_lookback_stateET6_jjj ; -- Begin function _ZN7rocprim17ROCPRIM_304000_NS6detail25onesweep_iteration_kernelINS1_34wrapped_radix_sort_onesweep_configINS0_14default_configEaN2at4cuda3cub6detail10OpaqueTypeILi8EEEEELb1EPaSC_PSA_SD_mNS0_19identity_decomposerEEEvT1_T2_T3_T4_jPT5_SK_PNS1_23onesweep_lookback_stateET6_jjj
	.globl	_ZN7rocprim17ROCPRIM_304000_NS6detail25onesweep_iteration_kernelINS1_34wrapped_radix_sort_onesweep_configINS0_14default_configEaN2at4cuda3cub6detail10OpaqueTypeILi8EEEEELb1EPaSC_PSA_SD_mNS0_19identity_decomposerEEEvT1_T2_T3_T4_jPT5_SK_PNS1_23onesweep_lookback_stateET6_jjj
	.p2align	8
	.type	_ZN7rocprim17ROCPRIM_304000_NS6detail25onesweep_iteration_kernelINS1_34wrapped_radix_sort_onesweep_configINS0_14default_configEaN2at4cuda3cub6detail10OpaqueTypeILi8EEEEELb1EPaSC_PSA_SD_mNS0_19identity_decomposerEEEvT1_T2_T3_T4_jPT5_SK_PNS1_23onesweep_lookback_stateET6_jjj,@function
_ZN7rocprim17ROCPRIM_304000_NS6detail25onesweep_iteration_kernelINS1_34wrapped_radix_sort_onesweep_configINS0_14default_configEaN2at4cuda3cub6detail10OpaqueTypeILi8EEEEELb1EPaSC_PSA_SD_mNS0_19identity_decomposerEEEvT1_T2_T3_T4_jPT5_SK_PNS1_23onesweep_lookback_stateET6_jjj: ; @_ZN7rocprim17ROCPRIM_304000_NS6detail25onesweep_iteration_kernelINS1_34wrapped_radix_sort_onesweep_configINS0_14default_configEaN2at4cuda3cub6detail10OpaqueTypeILi8EEEEELb1EPaSC_PSA_SD_mNS0_19identity_decomposerEEEvT1_T2_T3_T4_jPT5_SK_PNS1_23onesweep_lookback_stateET6_jjj
; %bb.0:
	s_load_dwordx4 s[44:47], s[0:1], 0x44
	s_load_dwordx8 s[36:43], s[0:1], 0x0
	s_load_dwordx4 s[28:31], s[0:1], 0x28
	s_load_dwordx2 s[48:49], s[0:1], 0x38
	s_mov_b64 s[4:5], -1
	s_waitcnt lgkmcnt(0)
	s_cmp_ge_u32 s2, s46
	s_mul_i32 s34, s2, 0xc00
	v_mbcnt_lo_u32_b32 v1, -1, 0
	s_cbranch_scc0 .LBB39_96
; %bb.1:
	s_load_dword s3, s[0:1], 0x20
	s_mul_i32 s33, s46, 0xfffff400
	v_and_b32_e32 v3, 0x1c0, v0
	v_mbcnt_hi_u32_b32 v6, -1, v1
	v_mul_u32_u24_e32 v4, 6, v3
	s_waitcnt lgkmcnt(0)
	s_add_i32 s33, s33, s3
	s_add_u32 s4, s36, s34
	s_addc_u32 s5, s37, 0
	v_mov_b32_e32 v7, 0
	v_lshl_add_u64 v[8:9], s[4:5], 0, v[6:7]
	v_mov_b32_e32 v5, v7
	v_or_b32_e32 v10, v6, v4
	s_mov_b32 s35, 0
	v_lshl_add_u64 v[8:9], v[8:9], 0, v[4:5]
	v_cmp_gt_u32_e32 vcc, s33, v10
	v_mov_b32_e32 v7, 0x80
	v_mov_b32_e32 v5, 0x80
	;; [unrolled: 1-line block ×6, first 2 shown]
	s_and_saveexec_b64 s[4:5], vcc
	s_cbranch_execz .LBB39_3
; %bb.2:
	global_load_ubyte v5, v[8:9], off
	v_mov_b32_e32 v7, 0x80
	v_mov_b32_e32 v14, 0x80
	v_mov_b32_e32 v19, 0x80
	v_mov_b32_e32 v20, 0x80
	v_mov_b32_e32 v15, 0x80
.LBB39_3:
	s_or_b64 exec, exec, s[4:5]
	v_add_u32_e32 v2, 64, v10
	v_cmp_gt_u32_e64 s[26:27], s33, v2
	s_and_saveexec_b64 s[4:5], s[26:27]
	s_cbranch_execz .LBB39_5
; %bb.4:
	global_load_ubyte v14, v[8:9], off offset:64
.LBB39_5:
	s_or_b64 exec, exec, s[4:5]
	v_add_u32_e32 v2, 0x80, v10
	v_cmp_gt_u32_e64 s[4:5], s33, v2
	s_and_saveexec_b64 s[6:7], s[4:5]
	s_cbranch_execz .LBB39_7
; %bb.6:
	global_load_ubyte v19, v[8:9], off offset:128
.LBB39_7:
	;; [unrolled: 8-line block ×4, first 2 shown]
	s_or_b64 exec, exec, s[10:11]
	v_add_u32_e32 v10, 0x140, v10
	v_and_b32_e32 v2, 0x3ff, v0
	v_cmp_gt_u32_e64 s[10:11], s33, v10
	s_and_saveexec_b64 s[12:13], s[10:11]
	s_cbranch_execz .LBB39_13
; %bb.12:
	global_load_ubyte v7, v[8:9], off offset:320
.LBB39_13:
	s_or_b64 exec, exec, s[12:13]
	s_load_dword s12, s[0:1], 0x5c
	s_load_dword s3, s[0:1], 0x50
	s_add_u32 s13, s0, 0x50
	s_addc_u32 s14, s1, 0
	v_mov_b32_e32 v9, 0
	s_waitcnt lgkmcnt(0)
	s_lshr_b32 s15, s12, 16
	s_cmp_lt_u32 s2, s3
	s_cselect_b32 s12, 12, 18
	s_add_u32 s12, s13, s12
	s_addc_u32 s13, s14, 0
	global_load_ushort v13, v9, s[12:13]
	s_waitcnt vmcnt(1)
	v_xor_b32_e32 v5, 0x7f, v5
	v_lshrrev_b32_sdwa v17, s44, v5 dst_sel:DWORD dst_unused:UNUSED_PAD src0_sel:DWORD src1_sel:BYTE_0
	s_lshl_b32 s12, -1, s45
	v_bfe_u32 v8, v0, 10, 10
	v_bfe_u32 v11, v0, 20, 10
	v_bitop3_b32 v21, v17, s12, v17 bitop3:0x30
	v_mad_u32_u24 v18, v11, s15, v8
	v_and_b32_e32 v8, 1, v21
	v_lshlrev_b32_e32 v11, 30, v21
	v_mov_b32_e32 v10, v9
	v_mov_b32_e32 v22, v9
	s_not_b32 s50, s12
	v_lshlrev_b32_e32 v17, 29, v21
	v_lshlrev_b32_e32 v23, 28, v21
	v_lshl_add_u64 v[32:33], v[8:9], 0, -1
	v_cmp_ne_u32_e64 s[12:13], 0, v8
	v_not_b32_e32 v8, v11
	v_mov_b32_e32 v16, v9
	v_mov_b32_e32 v24, v9
	v_lshlrev_b32_e32 v25, 27, v21
	v_cmp_gt_i64_e64 s[14:15], 0, v[10:11]
	v_not_b32_e32 v10, v17
	v_cmp_gt_i64_e64 s[18:19], 0, v[22:23]
	v_xor_b32_e32 v22, s13, v33
	v_ashrrev_i32_e32 v8, 31, v8
	v_cmp_gt_i64_e64 s[16:17], 0, v[16:17]
	v_not_b32_e32 v11, v23
	v_cmp_gt_i64_e64 s[20:21], 0, v[24:25]
	v_xor_b32_e32 v23, s12, v32
	v_ashrrev_i32_e32 v10, 31, v10
	v_and_b32_e32 v22, exec_hi, v22
	v_xor_b32_e32 v24, s15, v8
	v_mov_b32_e32 v26, v9
	v_lshlrev_b32_e32 v27, 26, v21
	v_not_b32_e32 v16, v25
	v_ashrrev_i32_e32 v11, 31, v11
	v_and_b32_e32 v23, exec_lo, v23
	v_xor_b32_e32 v8, s14, v8
	v_xor_b32_e32 v25, s17, v10
	v_and_b32_e32 v22, v22, v24
	v_lshlrev_b32_e32 v29, 25, v21
	v_cmp_gt_i64_e64 s[22:23], 0, v[26:27]
	v_not_b32_e32 v17, v27
	v_ashrrev_i32_e32 v16, 31, v16
	v_xor_b32_e32 v10, s16, v10
	v_xor_b32_e32 v26, s19, v11
	v_and_b32_e32 v8, v23, v8
	v_and_b32_e32 v22, v22, v25
	v_mov_b32_e32 v28, v9
	v_mul_u32_u24_e32 v34, 36, v21
	v_lshlrev_b32_e32 v31, 24, v21
	v_not_b32_e32 v21, v29
	v_ashrrev_i32_e32 v17, 31, v17
	v_xor_b32_e32 v27, s21, v16
	v_and_b32_e32 v8, v8, v10
	v_and_b32_e32 v10, v22, v26
	v_cmp_gt_i64_e64 s[24:25], 0, v[28:29]
	v_ashrrev_i32_e32 v21, 31, v21
	v_xor_b32_e32 v11, s18, v11
	v_xor_b32_e32 v28, s23, v17
	v_and_b32_e32 v10, v10, v27
	v_xor_b32_e32 v16, s20, v16
	v_xor_b32_e32 v29, s25, v21
	v_and_b32_e32 v8, v8, v11
	v_and_b32_e32 v10, v10, v28
	;; [unrolled: 1-line block ×4, first 2 shown]
	v_xor_b32_e32 v17, s22, v17
	v_mov_b32_e32 v30, v9
	v_xor_b32_e32 v21, s24, v21
	v_and_b32_e32 v8, v8, v17
	v_and_b32_e32 v8, v8, v21
	v_mul_u32_u24_e32 v12, 20, v2
	ds_write2_b32 v12, v9, v9 offset0:8 offset1:9
	ds_write2_b32 v12, v9, v9 offset0:10 offset1:11
	ds_write_b32 v12, v9 offset:48
	s_waitcnt lgkmcnt(0)
	s_barrier
	s_waitcnt vmcnt(0)
	; wave barrier
	v_mad_u64_u32 v[10:11], s[12:13], v18, v13, v[2:3]
	v_lshrrev_b32_e32 v10, 4, v10
	v_and_b32_e32 v22, 0xffffffc, v10
	v_not_b32_e32 v10, v31
	v_cmp_gt_i64_e64 s[12:13], 0, v[30:31]
	v_ashrrev_i32_e32 v10, 31, v10
	v_add_u32_e32 v17, v22, v34
	v_xor_b32_e32 v11, s13, v10
	v_xor_b32_e32 v10, s12, v10
	v_and_b32_e32 v10, v8, v10
	v_and_b32_e32 v11, v16, v11
	v_mbcnt_lo_u32_b32 v8, v10, 0
	v_mbcnt_hi_u32_b32 v13, v11, v8
	v_cmp_eq_u32_e64 s[12:13], 0, v13
	v_cmp_ne_u64_e64 s[14:15], 0, v[10:11]
	s_and_b64 s[14:15], s[14:15], s[12:13]
	s_and_saveexec_b64 s[12:13], s[14:15]
; %bb.14:
	v_bcnt_u32_b32 v8, v10, 0
	v_bcnt_u32_b32 v8, v11, v8
	ds_write_b32 v17, v8 offset:32
; %bb.15:
	s_or_b64 exec, exec, s[12:13]
	v_xor_b32_e32 v14, 0x7f, v14
	v_lshrrev_b32_sdwa v8, s44, v14 dst_sel:DWORD dst_unused:UNUSED_PAD src0_sel:DWORD src1_sel:BYTE_0
	v_and_b32_e32 v18, s50, v8
	v_mad_u32_u24 v8, v18, 36, v22
	; wave barrier
	ds_read_b32 v16, v8 offset:32
	v_and_b32_e32 v8, 1, v18
	v_lshl_add_u64 v[10:11], v[8:9], 0, -1
	v_cmp_ne_u32_e64 s[12:13], 0, v8
	v_mul_u32_u24_e32 v21, 36, v18
	s_nop 0
	v_xor_b32_e32 v10, s12, v10
	v_xor_b32_e32 v8, s13, v11
	v_and_b32_e32 v23, exec_lo, v10
	v_lshlrev_b32_e32 v11, 30, v18
	v_mov_b32_e32 v10, v9
	v_cmp_gt_i64_e64 s[12:13], 0, v[10:11]
	v_not_b32_e32 v10, v11
	v_ashrrev_i32_e32 v10, 31, v10
	v_and_b32_e32 v8, exec_hi, v8
	v_xor_b32_e32 v11, s13, v10
	v_xor_b32_e32 v10, s12, v10
	v_and_b32_e32 v8, v8, v11
	v_and_b32_e32 v23, v23, v10
	v_lshlrev_b32_e32 v11, 29, v18
	v_mov_b32_e32 v10, v9
	v_cmp_gt_i64_e64 s[12:13], 0, v[10:11]
	v_not_b32_e32 v10, v11
	v_ashrrev_i32_e32 v10, 31, v10
	v_xor_b32_e32 v11, s13, v10
	v_xor_b32_e32 v10, s12, v10
	v_and_b32_e32 v8, v8, v11
	v_and_b32_e32 v23, v23, v10
	v_lshlrev_b32_e32 v11, 28, v18
	v_mov_b32_e32 v10, v9
	v_cmp_gt_i64_e64 s[12:13], 0, v[10:11]
	v_not_b32_e32 v10, v11
	v_ashrrev_i32_e32 v10, 31, v10
	;; [unrolled: 9-line block ×5, first 2 shown]
	v_xor_b32_e32 v11, s13, v10
	v_xor_b32_e32 v10, s12, v10
	v_and_b32_e32 v8, v8, v11
	v_lshlrev_b32_e32 v11, 24, v18
	v_and_b32_e32 v23, v23, v10
	v_mov_b32_e32 v10, v9
	v_not_b32_e32 v9, v11
	v_cmp_gt_i64_e64 s[12:13], 0, v[10:11]
	v_ashrrev_i32_e32 v9, 31, v9
	; wave barrier
	s_nop 0
	v_xor_b32_e32 v10, s13, v9
	v_xor_b32_e32 v11, s12, v9
	v_and_b32_e32 v9, v8, v10
	v_and_b32_e32 v8, v23, v11
	v_mbcnt_lo_u32_b32 v10, v8, 0
	v_mbcnt_hi_u32_b32 v18, v9, v10
	v_cmp_eq_u32_e64 s[12:13], 0, v18
	v_cmp_ne_u64_e64 s[14:15], 0, v[8:9]
	s_and_b64 s[14:15], s[14:15], s[12:13]
	v_add_u32_e32 v23, v22, v21
	s_and_saveexec_b64 s[12:13], s[14:15]
	s_cbranch_execz .LBB39_17
; %bb.16:
	v_bcnt_u32_b32 v8, v8, 0
	v_bcnt_u32_b32 v8, v9, v8
	s_waitcnt lgkmcnt(0)
	v_add_u32_e32 v8, v16, v8
	ds_write_b32 v23, v8 offset:32
.LBB39_17:
	s_or_b64 exec, exec, s[12:13]
	v_xor_b32_e32 v19, 0x7f, v19
	v_lshrrev_b32_sdwa v8, s44, v19 dst_sel:DWORD dst_unused:UNUSED_PAD src0_sel:DWORD src1_sel:BYTE_0
	v_and_b32_e32 v24, s50, v8
	v_mad_u32_u24 v8, v24, 36, v22
	; wave barrier
	ds_read_b32 v21, v8 offset:32
	v_and_b32_e32 v8, 1, v24
	v_mov_b32_e32 v9, 0
	v_lshl_add_u64 v[10:11], v[8:9], 0, -1
	v_cmp_ne_u32_e64 s[12:13], 0, v8
	v_mul_u32_u24_e32 v25, 36, v24
	s_nop 0
	v_xor_b32_e32 v10, s12, v10
	v_xor_b32_e32 v8, s13, v11
	v_and_b32_e32 v26, exec_lo, v10
	v_lshlrev_b32_e32 v11, 30, v24
	v_mov_b32_e32 v10, v9
	v_cmp_gt_i64_e64 s[12:13], 0, v[10:11]
	v_not_b32_e32 v10, v11
	v_ashrrev_i32_e32 v10, 31, v10
	v_and_b32_e32 v8, exec_hi, v8
	v_xor_b32_e32 v11, s13, v10
	v_xor_b32_e32 v10, s12, v10
	v_and_b32_e32 v8, v8, v11
	v_and_b32_e32 v26, v26, v10
	v_lshlrev_b32_e32 v11, 29, v24
	v_mov_b32_e32 v10, v9
	v_cmp_gt_i64_e64 s[12:13], 0, v[10:11]
	v_not_b32_e32 v10, v11
	v_ashrrev_i32_e32 v10, 31, v10
	v_xor_b32_e32 v11, s13, v10
	v_xor_b32_e32 v10, s12, v10
	v_and_b32_e32 v8, v8, v11
	v_and_b32_e32 v26, v26, v10
	v_lshlrev_b32_e32 v11, 28, v24
	v_mov_b32_e32 v10, v9
	v_cmp_gt_i64_e64 s[12:13], 0, v[10:11]
	v_not_b32_e32 v10, v11
	v_ashrrev_i32_e32 v10, 31, v10
	;; [unrolled: 9-line block ×6, first 2 shown]
	v_xor_b32_e32 v11, s13, v10
	v_xor_b32_e32 v10, s12, v10
	v_and_b32_e32 v10, v26, v10
	v_and_b32_e32 v11, v8, v11
	v_mbcnt_lo_u32_b32 v8, v10, 0
	v_mbcnt_hi_u32_b32 v24, v11, v8
	v_cmp_eq_u32_e64 s[12:13], 0, v24
	v_cmp_ne_u64_e64 s[14:15], 0, v[10:11]
	s_and_b64 s[14:15], s[14:15], s[12:13]
	v_add_u32_e32 v26, v22, v25
	; wave barrier
	s_and_saveexec_b64 s[12:13], s[14:15]
	s_cbranch_execz .LBB39_19
; %bb.18:
	v_bcnt_u32_b32 v8, v10, 0
	v_bcnt_u32_b32 v8, v11, v8
	s_waitcnt lgkmcnt(0)
	v_add_u32_e32 v8, v21, v8
	ds_write_b32 v26, v8 offset:32
.LBB39_19:
	s_or_b64 exec, exec, s[12:13]
	v_xor_b32_e32 v20, 0x7f, v20
	v_lshrrev_b32_sdwa v8, s44, v20 dst_sel:DWORD dst_unused:UNUSED_PAD src0_sel:DWORD src1_sel:BYTE_0
	v_and_b32_e32 v27, s50, v8
	v_mad_u32_u24 v8, v27, 36, v22
	; wave barrier
	ds_read_b32 v25, v8 offset:32
	v_and_b32_e32 v8, 1, v27
	v_lshl_add_u64 v[10:11], v[8:9], 0, -1
	v_cmp_ne_u32_e64 s[12:13], 0, v8
	v_mul_u32_u24_e32 v28, 36, v27
	s_nop 0
	v_xor_b32_e32 v10, s12, v10
	v_xor_b32_e32 v8, s13, v11
	v_and_b32_e32 v29, exec_lo, v10
	v_lshlrev_b32_e32 v11, 30, v27
	v_mov_b32_e32 v10, v9
	v_cmp_gt_i64_e64 s[12:13], 0, v[10:11]
	v_not_b32_e32 v10, v11
	v_ashrrev_i32_e32 v10, 31, v10
	v_and_b32_e32 v8, exec_hi, v8
	v_xor_b32_e32 v11, s13, v10
	v_xor_b32_e32 v10, s12, v10
	v_and_b32_e32 v8, v8, v11
	v_and_b32_e32 v29, v29, v10
	v_lshlrev_b32_e32 v11, 29, v27
	v_mov_b32_e32 v10, v9
	v_cmp_gt_i64_e64 s[12:13], 0, v[10:11]
	v_not_b32_e32 v10, v11
	v_ashrrev_i32_e32 v10, 31, v10
	v_xor_b32_e32 v11, s13, v10
	v_xor_b32_e32 v10, s12, v10
	v_and_b32_e32 v8, v8, v11
	v_and_b32_e32 v29, v29, v10
	v_lshlrev_b32_e32 v11, 28, v27
	v_mov_b32_e32 v10, v9
	v_cmp_gt_i64_e64 s[12:13], 0, v[10:11]
	v_not_b32_e32 v10, v11
	v_ashrrev_i32_e32 v10, 31, v10
	;; [unrolled: 9-line block ×5, first 2 shown]
	v_xor_b32_e32 v11, s13, v10
	v_xor_b32_e32 v10, s12, v10
	v_and_b32_e32 v8, v8, v11
	v_lshlrev_b32_e32 v11, 24, v27
	v_and_b32_e32 v29, v29, v10
	v_mov_b32_e32 v10, v9
	v_not_b32_e32 v9, v11
	v_cmp_gt_i64_e64 s[12:13], 0, v[10:11]
	v_ashrrev_i32_e32 v9, 31, v9
	v_add_u32_e32 v27, v22, v28
	v_xor_b32_e32 v10, s13, v9
	v_xor_b32_e32 v11, s12, v9
	v_and_b32_e32 v9, v8, v10
	v_and_b32_e32 v8, v29, v11
	v_mbcnt_lo_u32_b32 v10, v8, 0
	v_mbcnt_hi_u32_b32 v29, v9, v10
	v_cmp_eq_u32_e64 s[12:13], 0, v29
	v_cmp_ne_u64_e64 s[14:15], 0, v[8:9]
	s_and_b64 s[14:15], s[14:15], s[12:13]
	; wave barrier
	s_and_saveexec_b64 s[12:13], s[14:15]
	s_cbranch_execz .LBB39_21
; %bb.20:
	v_bcnt_u32_b32 v8, v8, 0
	v_bcnt_u32_b32 v8, v9, v8
	s_waitcnt lgkmcnt(0)
	v_add_u32_e32 v8, v25, v8
	ds_write_b32 v27, v8 offset:32
.LBB39_21:
	s_or_b64 exec, exec, s[12:13]
	v_xor_b32_e32 v15, 0x7f, v15
	v_lshrrev_b32_sdwa v8, s44, v15 dst_sel:DWORD dst_unused:UNUSED_PAD src0_sel:DWORD src1_sel:BYTE_0
	v_and_b32_e32 v28, s50, v8
	v_mad_u32_u24 v8, v28, 36, v22
	; wave barrier
	ds_read_b32 v30, v8 offset:32
	v_and_b32_e32 v8, 1, v28
	v_mov_b32_e32 v9, 0
	v_lshl_add_u64 v[10:11], v[8:9], 0, -1
	v_cmp_ne_u32_e64 s[12:13], 0, v8
	v_mul_u32_u24_e32 v32, 36, v28
	s_nop 0
	v_xor_b32_e32 v10, s12, v10
	v_xor_b32_e32 v8, s13, v11
	v_and_b32_e32 v31, exec_lo, v10
	v_lshlrev_b32_e32 v11, 30, v28
	v_mov_b32_e32 v10, v9
	v_cmp_gt_i64_e64 s[12:13], 0, v[10:11]
	v_not_b32_e32 v10, v11
	v_ashrrev_i32_e32 v10, 31, v10
	v_and_b32_e32 v8, exec_hi, v8
	v_xor_b32_e32 v11, s13, v10
	v_xor_b32_e32 v10, s12, v10
	v_and_b32_e32 v8, v8, v11
	v_and_b32_e32 v31, v31, v10
	v_lshlrev_b32_e32 v11, 29, v28
	v_mov_b32_e32 v10, v9
	v_cmp_gt_i64_e64 s[12:13], 0, v[10:11]
	v_not_b32_e32 v10, v11
	v_ashrrev_i32_e32 v10, 31, v10
	v_xor_b32_e32 v11, s13, v10
	v_xor_b32_e32 v10, s12, v10
	v_and_b32_e32 v8, v8, v11
	v_and_b32_e32 v31, v31, v10
	v_lshlrev_b32_e32 v11, 28, v28
	v_mov_b32_e32 v10, v9
	v_cmp_gt_i64_e64 s[12:13], 0, v[10:11]
	v_not_b32_e32 v10, v11
	v_ashrrev_i32_e32 v10, 31, v10
	;; [unrolled: 9-line block ×6, first 2 shown]
	v_xor_b32_e32 v11, s13, v10
	v_xor_b32_e32 v10, s12, v10
	v_and_b32_e32 v10, v31, v10
	v_and_b32_e32 v11, v8, v11
	v_mbcnt_lo_u32_b32 v8, v10, 0
	v_mbcnt_hi_u32_b32 v31, v11, v8
	v_cmp_eq_u32_e64 s[12:13], 0, v31
	v_cmp_ne_u64_e64 s[14:15], 0, v[10:11]
	s_and_b64 s[14:15], s[14:15], s[12:13]
	v_add_u32_e32 v28, v22, v32
	; wave barrier
	s_and_saveexec_b64 s[12:13], s[14:15]
	s_cbranch_execz .LBB39_23
; %bb.22:
	v_bcnt_u32_b32 v8, v10, 0
	v_bcnt_u32_b32 v8, v11, v8
	s_waitcnt lgkmcnt(0)
	v_add_u32_e32 v8, v30, v8
	ds_write_b32 v28, v8 offset:32
.LBB39_23:
	s_or_b64 exec, exec, s[12:13]
	v_xor_b32_e32 v7, 0x7f, v7
	v_lshrrev_b32_sdwa v8, s44, v7 dst_sel:DWORD dst_unused:UNUSED_PAD src0_sel:DWORD src1_sel:BYTE_0
	v_and_b32_e32 v33, s50, v8
	v_mad_u32_u24 v8, v33, 36, v22
	; wave barrier
	ds_read_b32 v32, v8 offset:32
	v_and_b32_e32 v8, 1, v33
	v_lshl_add_u64 v[10:11], v[8:9], 0, -1
	v_cmp_ne_u32_e64 s[12:13], 0, v8
	v_mul_u32_u24_e32 v34, 36, v33
	v_add_u32_e32 v22, v22, v34
	v_xor_b32_e32 v10, s12, v10
	v_xor_b32_e32 v8, s13, v11
	v_and_b32_e32 v35, exec_lo, v10
	v_lshlrev_b32_e32 v11, 30, v33
	v_mov_b32_e32 v10, v9
	v_cmp_gt_i64_e64 s[12:13], 0, v[10:11]
	v_not_b32_e32 v10, v11
	v_ashrrev_i32_e32 v10, 31, v10
	v_and_b32_e32 v8, exec_hi, v8
	v_xor_b32_e32 v11, s13, v10
	v_xor_b32_e32 v10, s12, v10
	v_and_b32_e32 v8, v8, v11
	v_and_b32_e32 v35, v35, v10
	v_lshlrev_b32_e32 v11, 29, v33
	v_mov_b32_e32 v10, v9
	v_cmp_gt_i64_e64 s[12:13], 0, v[10:11]
	v_not_b32_e32 v10, v11
	v_ashrrev_i32_e32 v10, 31, v10
	v_xor_b32_e32 v11, s13, v10
	v_xor_b32_e32 v10, s12, v10
	v_and_b32_e32 v8, v8, v11
	v_and_b32_e32 v35, v35, v10
	v_lshlrev_b32_e32 v11, 28, v33
	v_mov_b32_e32 v10, v9
	v_cmp_gt_i64_e64 s[12:13], 0, v[10:11]
	v_not_b32_e32 v10, v11
	v_ashrrev_i32_e32 v10, 31, v10
	;; [unrolled: 9-line block ×5, first 2 shown]
	v_xor_b32_e32 v11, s13, v10
	v_xor_b32_e32 v10, s12, v10
	v_and_b32_e32 v8, v8, v11
	v_lshlrev_b32_e32 v11, 24, v33
	v_and_b32_e32 v35, v35, v10
	v_mov_b32_e32 v10, v9
	v_not_b32_e32 v9, v11
	v_cmp_gt_i64_e64 s[12:13], 0, v[10:11]
	v_ashrrev_i32_e32 v9, 31, v9
	s_nop 0
	v_xor_b32_e32 v10, s13, v9
	v_xor_b32_e32 v11, s12, v9
	v_and_b32_e32 v9, v8, v10
	v_and_b32_e32 v8, v35, v11
	v_mbcnt_lo_u32_b32 v10, v8, 0
	v_mbcnt_hi_u32_b32 v33, v9, v10
	v_cmp_eq_u32_e64 s[12:13], 0, v33
	v_cmp_ne_u64_e64 s[14:15], 0, v[8:9]
	s_and_b64 s[14:15], s[14:15], s[12:13]
	; wave barrier
	s_and_saveexec_b64 s[12:13], s[14:15]
	s_cbranch_execz .LBB39_25
; %bb.24:
	v_bcnt_u32_b32 v8, v8, 0
	v_bcnt_u32_b32 v8, v9, v8
	s_waitcnt lgkmcnt(0)
	v_add_u32_e32 v8, v32, v8
	ds_write_b32 v22, v8 offset:32
.LBB39_25:
	s_or_b64 exec, exec, s[12:13]
	; wave barrier
	s_waitcnt lgkmcnt(0)
	s_barrier
	ds_read2_b32 v[10:11], v12 offset0:8 offset1:9
	ds_read2_b32 v[8:9], v12 offset0:10 offset1:11
	ds_read_b32 v34, v12 offset:48
	v_min_u32_e32 v3, 0x1c0, v3
	v_or_b32_e32 v3, 63, v3
	s_waitcnt lgkmcnt(1)
	v_add3_u32 v35, v11, v10, v8
	s_waitcnt lgkmcnt(0)
	v_add3_u32 v34, v35, v9, v34
	v_and_b32_e32 v35, 15, v6
	v_cmp_ne_u32_e64 s[12:13], 0, v35
	v_mov_b32_dpp v36, v34 row_shr:1 row_mask:0xf bank_mask:0xf
	s_nop 0
	v_cndmask_b32_e64 v36, 0, v36, s[12:13]
	v_add_u32_e32 v34, v36, v34
	v_cmp_lt_u32_e64 s[12:13], 1, v35
	s_nop 0
	v_mov_b32_dpp v36, v34 row_shr:2 row_mask:0xf bank_mask:0xf
	v_cndmask_b32_e64 v36, 0, v36, s[12:13]
	v_add_u32_e32 v34, v34, v36
	v_cmp_lt_u32_e64 s[12:13], 3, v35
	s_nop 0
	v_mov_b32_dpp v36, v34 row_shr:4 row_mask:0xf bank_mask:0xf
	;; [unrolled: 5-line block ×3, first 2 shown]
	v_cndmask_b32_e64 v35, 0, v36, s[12:13]
	v_add_u32_e32 v34, v34, v35
	v_bfe_i32 v36, v6, 4, 1
	v_cmp_lt_u32_e64 s[12:13], 31, v6
	v_mov_b32_dpp v35, v34 row_bcast:15 row_mask:0xf bank_mask:0xf
	v_and_b32_e32 v35, v36, v35
	v_add_u32_e32 v34, v34, v35
	s_nop 1
	v_mov_b32_dpp v35, v34 row_bcast:31 row_mask:0xf bank_mask:0xf
	v_cndmask_b32_e64 v35, 0, v35, s[12:13]
	v_add_u32_e32 v34, v34, v35
	v_lshrrev_b32_e32 v35, 6, v2
	v_cmp_eq_u32_e64 s[12:13], v2, v3
	s_and_saveexec_b64 s[14:15], s[12:13]
; %bb.26:
	v_lshlrev_b32_e32 v3, 2, v35
	ds_write_b32 v3, v34
; %bb.27:
	s_or_b64 exec, exec, s[14:15]
	v_cmp_gt_u32_e64 s[12:13], 8, v2
	s_waitcnt lgkmcnt(0)
	s_barrier
	s_and_saveexec_b64 s[14:15], s[12:13]
	s_cbranch_execz .LBB39_29
; %bb.28:
	v_lshlrev_b32_e32 v3, 2, v2
	ds_read_b32 v36, v3
	v_and_b32_e32 v37, 7, v6
	v_cmp_ne_u32_e64 s[12:13], 0, v37
	s_waitcnt lgkmcnt(0)
	v_mov_b32_dpp v38, v36 row_shr:1 row_mask:0xf bank_mask:0xf
	v_cndmask_b32_e64 v38, 0, v38, s[12:13]
	v_add_u32_e32 v36, v38, v36
	v_cmp_lt_u32_e64 s[12:13], 1, v37
	s_nop 0
	v_mov_b32_dpp v38, v36 row_shr:2 row_mask:0xf bank_mask:0xf
	v_cndmask_b32_e64 v38, 0, v38, s[12:13]
	v_add_u32_e32 v36, v36, v38
	v_cmp_lt_u32_e64 s[12:13], 3, v37
	s_nop 0
	v_mov_b32_dpp v38, v36 row_shr:4 row_mask:0xf bank_mask:0xf
	v_cndmask_b32_e64 v37, 0, v38, s[12:13]
	v_add_u32_e32 v36, v36, v37
	ds_write_b32 v3, v36
.LBB39_29:
	s_or_b64 exec, exec, s[14:15]
	v_cmp_lt_u32_e64 s[12:13], 63, v2
	v_mov_b32_e32 v3, 0
	s_waitcnt lgkmcnt(0)
	s_barrier
	s_and_saveexec_b64 s[14:15], s[12:13]
; %bb.30:
	v_lshl_add_u32 v3, v35, 2, -4
	ds_read_b32 v3, v3
; %bb.31:
	s_or_b64 exec, exec, s[14:15]
	v_add_u32_e32 v35, -1, v6
	v_and_b32_e32 v36, 64, v6
	v_cmp_lt_i32_e64 s[12:13], v35, v36
	s_waitcnt lgkmcnt(0)
	v_add_u32_e32 v34, v3, v34
	s_movk_i32 s16, 0x100
	v_cndmask_b32_e64 v35, v35, v6, s[12:13]
	v_lshlrev_b32_e32 v35, 2, v35
	ds_bpermute_b32 v34, v35, v34
	v_cmp_eq_u32_e64 s[12:13], 0, v6
	v_cmp_gt_u32_e64 s[14:15], s16, v2
	s_waitcnt lgkmcnt(0)
	v_cndmask_b32_e64 v3, v34, v3, s[12:13]
	v_cmp_ne_u32_e64 s[12:13], 0, v2
	s_nop 1
	v_cndmask_b32_e64 v3, 0, v3, s[12:13]
	v_add_u32_e32 v10, v3, v10
	v_add_u32_e32 v11, v10, v11
	;; [unrolled: 1-line block ×4, first 2 shown]
	ds_write2_b32 v12, v3, v10 offset0:8 offset1:9
	ds_write2_b32 v12, v11, v8 offset0:10 offset1:11
	ds_write_b32 v12, v9 offset:48
	s_waitcnt lgkmcnt(0)
	s_barrier
	ds_read_b32 v3, v17 offset:32
	ds_read_b32 v11, v23 offset:32
	;; [unrolled: 1-line block ×6, first 2 shown]
	s_movk_i32 s12, 0xff
	v_cmp_lt_u32_e64 s[12:13], s12, v2
	v_mov_b64_e32 v[8:9], 0
                                        ; implicit-def: $vgpr10
	s_and_saveexec_b64 s[18:19], s[14:15]
	s_cbranch_execz .LBB39_35
; %bb.32:
	v_mul_u32_u24_e32 v8, 36, v2
	ds_read_b32 v8, v8 offset:32
	v_add_u32_e32 v10, 1, v2
	v_cmp_ne_u32_e64 s[16:17], s16, v10
	v_mov_b32_e32 v9, 0xc00
	s_and_saveexec_b64 s[20:21], s[16:17]
; %bb.33:
	v_mul_u32_u24_e32 v9, 36, v10
	ds_read_b32 v9, v9 offset:32
; %bb.34:
	s_or_b64 exec, exec, s[20:21]
	s_waitcnt lgkmcnt(0)
	v_sub_u32_e32 v10, v9, v8
	v_mov_b32_e32 v9, 0
.LBB39_35:
	s_or_b64 exec, exec, s[18:19]
	s_waitcnt lgkmcnt(5)
	v_add_u32_e32 v28, v3, v13
	v_mov_b32_e32 v13, 0
	s_waitcnt lgkmcnt(4)
	v_add3_u32 v27, v18, v16, v11
	s_waitcnt lgkmcnt(3)
	v_add3_u32 v26, v24, v21, v12
	s_waitcnt lgkmcnt(2)
	v_add3_u32 v24, v29, v25, v17
	s_waitcnt lgkmcnt(1)
	v_add3_u32 v23, v31, v30, v23
	s_waitcnt lgkmcnt(0)
	v_add3_u32 v22, v33, v32, v22
	v_mov_b32_e32 v3, v13
	v_lshlrev_b32_e32 v11, 3, v2
	s_barrier
	ds_write_b8 v28, v5 offset:2048
	ds_write_b8 v27, v14 offset:2048
	;; [unrolled: 1-line block ×6, first 2 shown]
	s_waitcnt lgkmcnt(0)
	s_barrier
	s_and_saveexec_b64 s[16:17], s[14:15]
	s_cbranch_execz .LBB39_45
; %bb.36:
	v_lshl_add_u32 v12, s2, 8, v2
	v_lshl_add_u64 v[14:15], v[12:13], 2, s[48:49]
	v_or_b32_e32 v5, 2.0, v10
	global_store_dword v[14:15], v5, off sc1
	s_mov_b64 s[18:19], 0
	s_brev_b32 s24, -4
	s_mov_b32 s25, s2
	v_mov_b32_e32 v5, 0
                                        ; implicit-def: $sgpr14_sgpr15
	s_branch .LBB39_39
.LBB39_37:                              ;   in Loop: Header=BB39_39 Depth=1
	s_or_b64 exec, exec, s[22:23]
.LBB39_38:                              ;   in Loop: Header=BB39_39 Depth=1
	s_or_b64 exec, exec, s[20:21]
	v_and_b32_e32 v12, 0x3fffffff, v7
	v_add_u32_e32 v5, v12, v5
	v_cmp_gt_i32_e64 s[14:15], -2.0, v7
	s_and_b64 s[20:21], exec, s[14:15]
	s_or_b64 s[18:19], s[20:21], s[18:19]
	s_andn2_b64 exec, exec, s[18:19]
	s_cbranch_execz .LBB39_44
.LBB39_39:                              ; =>This Loop Header: Depth=1
                                        ;     Child Loop BB39_42 Depth 2
	s_or_b64 s[14:15], s[14:15], exec
	s_cmp_eq_u32 s25, 0
	s_cbranch_scc1 .LBB39_43
; %bb.40:                               ;   in Loop: Header=BB39_39 Depth=1
	s_add_i32 s25, s25, -1
	v_lshl_or_b32 v12, s25, 8, v2
	v_lshl_add_u64 v[16:17], v[12:13], 2, s[48:49]
	global_load_dword v7, v[16:17], off sc1
	s_waitcnt vmcnt(0)
	v_cmp_gt_u32_e64 s[14:15], 2.0, v7
	s_and_saveexec_b64 s[20:21], s[14:15]
	s_cbranch_execz .LBB39_38
; %bb.41:                               ;   in Loop: Header=BB39_39 Depth=1
	s_mov_b64 s[22:23], 0
.LBB39_42:                              ;   Parent Loop BB39_39 Depth=1
                                        ; =>  This Inner Loop Header: Depth=2
	global_load_dword v7, v[16:17], off sc1
	s_waitcnt vmcnt(0)
	v_cmp_lt_u32_e64 s[14:15], s24, v7
	s_or_b64 s[22:23], s[14:15], s[22:23]
	s_andn2_b64 exec, exec, s[22:23]
	s_cbranch_execnz .LBB39_42
	s_branch .LBB39_37
.LBB39_43:                              ;   in Loop: Header=BB39_39 Depth=1
                                        ; implicit-def: $sgpr25
	s_and_b64 s[20:21], exec, s[14:15]
	s_or_b64 s[18:19], s[20:21], s[18:19]
	s_andn2_b64 exec, exec, s[18:19]
	s_cbranch_execnz .LBB39_39
.LBB39_44:
	s_or_b64 exec, exec, s[18:19]
	v_add_u32_e32 v12, v5, v10
	v_or_b32_e32 v12, 0x80000000, v12
	v_lshlrev_b32_e32 v7, 3, v2
	global_store_dword v[14:15], v12, off sc1
	global_load_dwordx2 v[12:13], v7, s[28:29]
	v_sub_co_u32_e64 v14, s[14:15], v5, v8
	s_nop 1
	v_subb_co_u32_e64 v15, s[14:15], 0, v9, s[14:15]
	s_waitcnt vmcnt(0)
	v_lshl_add_u64 v[12:13], v[14:15], 0, v[12:13]
	ds_write_b64 v11, v[12:13]
.LBB39_45:
	s_or_b64 exec, exec, s[16:17]
	v_cmp_gt_u32_e64 s[14:15], s33, v2
	s_waitcnt lgkmcnt(0)
	s_barrier
	s_and_saveexec_b64 s[16:17], s[14:15]
	s_cbranch_execz .LBB39_47
; %bb.46:
	ds_read_u8 v5, v2 offset:2048
	s_waitcnt lgkmcnt(0)
	v_lshrrev_b32_sdwa v7, s44, v5 dst_sel:DWORD dst_unused:UNUSED_PAD src0_sel:DWORD src1_sel:BYTE_0
	v_and_b32_e32 v7, s50, v7
	v_lshlrev_b32_e32 v7, 3, v7
	ds_read_b64 v[12:13], v7
	v_xor_b32_e32 v5, 0x7f, v5
	s_waitcnt lgkmcnt(0)
	v_lshl_add_u64 v[12:13], s[38:39], 0, v[12:13]
	v_lshl_add_u64 v[12:13], v[12:13], 0, v[2:3]
	global_store_byte v[12:13], v5, off
.LBB39_47:
	s_or_b64 exec, exec, s[16:17]
	v_add_u32_e32 v25, 0x200, v2
	v_cmp_gt_u32_e64 s[16:17], s33, v25
	s_and_saveexec_b64 s[18:19], s[16:17]
	s_cbranch_execz .LBB39_49
; %bb.48:
	ds_read_u8 v5, v2 offset:2560
	s_waitcnt lgkmcnt(0)
	v_lshrrev_b32_sdwa v7, s44, v5 dst_sel:DWORD dst_unused:UNUSED_PAD src0_sel:DWORD src1_sel:BYTE_0
	v_and_b32_e32 v7, s50, v7
	v_lshlrev_b32_e32 v7, 3, v7
	ds_read_b64 v[12:13], v7
	v_xor_b32_e32 v5, 0x7f, v5
	s_waitcnt lgkmcnt(0)
	v_lshl_add_u64 v[12:13], s[38:39], 0, v[12:13]
	v_lshl_add_u64 v[12:13], v[12:13], 0, v[2:3]
	global_store_byte v[12:13], v5, off offset:512
.LBB39_49:
	s_or_b64 exec, exec, s[18:19]
	v_or_b32_e32 v29, 0x400, v2
	v_cmp_gt_u32_e64 s[18:19], s33, v29
	s_and_saveexec_b64 s[20:21], s[18:19]
	s_cbranch_execz .LBB39_51
; %bb.50:
	ds_read_u8 v5, v2 offset:3072
	s_waitcnt lgkmcnt(0)
	v_lshrrev_b32_sdwa v7, s44, v5 dst_sel:DWORD dst_unused:UNUSED_PAD src0_sel:DWORD src1_sel:BYTE_0
	v_and_b32_e32 v7, s50, v7
	v_lshlrev_b32_e32 v7, 3, v7
	ds_read_b64 v[12:13], v7
	v_xor_b32_e32 v5, 0x7f, v5
	s_waitcnt lgkmcnt(0)
	v_lshl_add_u64 v[12:13], s[38:39], 0, v[12:13]
	v_lshl_add_u64 v[12:13], v[12:13], 0, v[2:3]
	global_store_byte v[12:13], v5, off offset:1024
.LBB39_51:
	s_or_b64 exec, exec, s[20:21]
	v_add_u32_e32 v30, 0x600, v2
	v_cmp_gt_u32_e64 s[20:21], s33, v30
	s_and_saveexec_b64 s[22:23], s[20:21]
	s_cbranch_execz .LBB39_53
; %bb.52:
	ds_read_u8 v5, v2 offset:3584
	s_waitcnt lgkmcnt(0)
	v_lshrrev_b32_sdwa v7, s44, v5 dst_sel:DWORD dst_unused:UNUSED_PAD src0_sel:DWORD src1_sel:BYTE_0
	v_and_b32_e32 v7, s50, v7
	v_lshlrev_b32_e32 v7, 3, v7
	ds_read_b64 v[12:13], v7
	v_xor_b32_e32 v5, 0x7f, v5
	s_waitcnt lgkmcnt(0)
	v_lshl_add_u64 v[12:13], s[38:39], 0, v[12:13]
	v_lshl_add_u64 v[12:13], v[12:13], 0, v[2:3]
	global_store_byte v[12:13], v5, off offset:1536
.LBB39_53:
	s_or_b64 exec, exec, s[22:23]
	v_or_b32_e32 v31, 0x800, v2
	v_cmp_gt_u32_e64 s[22:23], s33, v31
	s_and_saveexec_b64 s[24:25], s[22:23]
	s_cbranch_execz .LBB39_55
; %bb.54:
	ds_read_u8 v5, v2 offset:4096
	s_waitcnt lgkmcnt(0)
	v_lshrrev_b32_sdwa v7, s44, v5 dst_sel:DWORD dst_unused:UNUSED_PAD src0_sel:DWORD src1_sel:BYTE_0
	v_and_b32_e32 v7, s50, v7
	v_lshlrev_b32_e32 v7, 3, v7
	ds_read_b64 v[12:13], v7
	v_xor_b32_e32 v5, 0x7f, v5
	s_waitcnt lgkmcnt(0)
	v_lshl_add_u64 v[12:13], s[38:39], 0, v[12:13]
	v_lshl_add_u64 v[12:13], v[12:13], 0, v[2:3]
	global_store_byte v[12:13], v5, off offset:2048
.LBB39_55:
	s_or_b64 exec, exec, s[24:25]
	v_add_u32_e32 v32, 0xa00, v2
	v_cmp_gt_u32_e64 s[24:25], s33, v32
	s_and_saveexec_b64 s[46:47], s[24:25]
	s_cbranch_execz .LBB39_57
; %bb.56:
	ds_read_u8 v5, v2 offset:4608
	s_waitcnt lgkmcnt(0)
	v_lshrrev_b32_sdwa v7, s44, v5 dst_sel:DWORD dst_unused:UNUSED_PAD src0_sel:DWORD src1_sel:BYTE_0
	v_and_b32_e32 v7, s50, v7
	v_lshlrev_b32_e32 v7, 3, v7
	ds_read_b64 v[12:13], v7
	v_xor_b32_e32 v5, 0x7f, v5
	s_waitcnt lgkmcnt(0)
	v_lshl_add_u64 v[12:13], s[38:39], 0, v[12:13]
	v_lshl_add_u64 v[12:13], v[12:13], 0, v[2:3]
	global_store_byte v[12:13], v5, off offset:2560
.LBB39_57:
	s_or_b64 exec, exec, s[46:47]
	s_lshl_b64 s[46:47], s[34:35], 3
	s_add_u32 s46, s40, s46
	s_addc_u32 s47, s41, s47
	v_lshlrev_b32_e32 v6, 3, v6
	v_mov_b32_e32 v7, 0
	v_lshl_add_u64 v[12:13], s[46:47], 0, v[6:7]
	v_lshlrev_b32_e32 v6, 3, v4
	v_lshl_add_u64 v[20:21], v[12:13], 0, v[6:7]
                                        ; implicit-def: $vgpr4_vgpr5
	s_and_saveexec_b64 s[46:47], vcc
	s_xor_b64 s[46:47], exec, s[46:47]
	s_cbranch_execz .LBB39_63
; %bb.58:
	global_load_dwordx2 v[4:5], v[20:21], off
	s_or_b64 exec, exec, s[46:47]
                                        ; implicit-def: $vgpr6_vgpr7
	s_and_saveexec_b64 s[46:47], s[26:27]
	s_cbranch_execnz .LBB39_64
.LBB39_59:
	s_or_b64 exec, exec, s[46:47]
                                        ; implicit-def: $vgpr12_vgpr13
	s_and_saveexec_b64 s[26:27], s[4:5]
	s_cbranch_execz .LBB39_65
.LBB39_60:
	global_load_dwordx2 v[12:13], v[20:21], off offset:1024
	s_or_b64 exec, exec, s[26:27]
                                        ; implicit-def: $vgpr14_vgpr15
	s_and_saveexec_b64 s[4:5], s[6:7]
	s_cbranch_execnz .LBB39_66
.LBB39_61:
	s_or_b64 exec, exec, s[4:5]
                                        ; implicit-def: $vgpr16_vgpr17
	s_and_saveexec_b64 s[4:5], s[8:9]
	s_cbranch_execz .LBB39_67
.LBB39_62:
	global_load_dwordx2 v[16:17], v[20:21], off offset:2048
	s_or_b64 exec, exec, s[4:5]
                                        ; implicit-def: $vgpr18_vgpr19
	s_and_saveexec_b64 s[4:5], s[10:11]
	s_cbranch_execnz .LBB39_68
	s_branch .LBB39_69
.LBB39_63:
	s_or_b64 exec, exec, s[46:47]
                                        ; implicit-def: $vgpr6_vgpr7
	s_and_saveexec_b64 s[46:47], s[26:27]
	s_cbranch_execz .LBB39_59
.LBB39_64:
	global_load_dwordx2 v[6:7], v[20:21], off offset:512
	s_or_b64 exec, exec, s[46:47]
                                        ; implicit-def: $vgpr12_vgpr13
	s_and_saveexec_b64 s[26:27], s[4:5]
	s_cbranch_execnz .LBB39_60
.LBB39_65:
	s_or_b64 exec, exec, s[26:27]
                                        ; implicit-def: $vgpr14_vgpr15
	s_and_saveexec_b64 s[4:5], s[6:7]
	s_cbranch_execz .LBB39_61
.LBB39_66:
	global_load_dwordx2 v[14:15], v[20:21], off offset:1536
	s_or_b64 exec, exec, s[4:5]
                                        ; implicit-def: $vgpr16_vgpr17
	s_and_saveexec_b64 s[4:5], s[8:9]
	s_cbranch_execnz .LBB39_62
.LBB39_67:
	s_or_b64 exec, exec, s[4:5]
                                        ; implicit-def: $vgpr18_vgpr19
	s_and_saveexec_b64 s[4:5], s[10:11]
	s_cbranch_execz .LBB39_69
.LBB39_68:
	global_load_dwordx2 v[18:19], v[20:21], off offset:2560
.LBB39_69:
	s_or_b64 exec, exec, s[4:5]
	v_mov_b32_e32 v34, 0
	v_mov_b32_e32 v3, 0
	s_and_saveexec_b64 s[4:5], s[14:15]
	s_cbranch_execz .LBB39_71
; %bb.70:
	ds_read_u8 v3, v2 offset:2048
	s_waitcnt lgkmcnt(0)
	v_lshrrev_b32_e32 v3, s44, v3
	v_and_b32_e32 v3, s50, v3
.LBB39_71:
	s_or_b64 exec, exec, s[4:5]
	s_and_saveexec_b64 s[4:5], s[16:17]
	s_cbranch_execz .LBB39_73
; %bb.72:
	ds_read_u8 v20, v2 offset:2560
	s_waitcnt lgkmcnt(0)
	v_lshrrev_b32_e32 v20, s44, v20
	v_and_b32_e32 v34, s50, v20
.LBB39_73:
	s_or_b64 exec, exec, s[4:5]
	v_mov_b32_e32 v21, 0
	v_mov_b32_e32 v35, 0
	s_and_saveexec_b64 s[4:5], s[18:19]
	s_cbranch_execz .LBB39_75
; %bb.74:
	ds_read_u8 v20, v2 offset:3072
	s_waitcnt lgkmcnt(0)
	v_lshrrev_b32_e32 v20, s44, v20
	v_and_b32_e32 v35, s50, v20
.LBB39_75:
	s_or_b64 exec, exec, s[4:5]
	s_and_saveexec_b64 s[4:5], s[20:21]
	s_cbranch_execz .LBB39_77
; %bb.76:
	ds_read_u8 v20, v2 offset:3584
	s_waitcnt lgkmcnt(0)
	v_lshrrev_b32_e32 v20, s44, v20
	v_and_b32_e32 v21, s50, v20
.LBB39_77:
	;; [unrolled: 20-line block ×3, first 2 shown]
	s_or_b64 exec, exec, s[4:5]
	v_lshlrev_b32_e32 v28, 3, v28
	s_barrier
	s_waitcnt vmcnt(0)
	ds_write_b64 v28, v[4:5] offset:2048
	v_lshlrev_b32_e32 v4, 3, v27
	ds_write_b64 v4, v[6:7] offset:2048
	v_lshlrev_b32_e32 v4, 3, v26
	;; [unrolled: 2-line block ×5, first 2 shown]
	v_lshlrev_b32_e32 v2, 3, v2
	ds_write_b64 v4, v[18:19] offset:2048
	s_waitcnt lgkmcnt(0)
	s_barrier
	s_and_saveexec_b64 s[4:5], s[14:15]
	s_cbranch_execz .LBB39_87
; %bb.82:
	v_lshlrev_b32_e32 v3, 3, v3
	ds_read_b64 v[4:5], v3
	ds_read_b64 v[6:7], v11 offset:2048
	v_mov_b32_e32 v3, 0
	s_waitcnt lgkmcnt(1)
	v_lshl_add_u64 v[4:5], v[4:5], 3, s[42:43]
	v_lshl_add_u64 v[4:5], v[4:5], 0, v[2:3]
	s_waitcnt lgkmcnt(0)
	global_store_dwordx2 v[4:5], v[6:7], off
	s_or_b64 exec, exec, s[4:5]
	s_and_saveexec_b64 s[4:5], s[16:17]
	s_cbranch_execnz .LBB39_88
.LBB39_83:
	s_or_b64 exec, exec, s[4:5]
	s_and_saveexec_b64 s[4:5], s[18:19]
	s_cbranch_execz .LBB39_89
.LBB39_84:
	v_lshlrev_b32_e32 v3, 3, v35
	ds_read_b64 v[4:5], v3
	ds_read_b64 v[6:7], v11 offset:10240
	v_lshlrev_b32_e32 v12, 3, v29
	v_mov_b32_e32 v13, 0
	s_waitcnt lgkmcnt(1)
	v_lshl_add_u64 v[4:5], v[4:5], 3, s[42:43]
	v_lshl_add_u64 v[4:5], v[4:5], 0, v[12:13]
	s_waitcnt lgkmcnt(0)
	global_store_dwordx2 v[4:5], v[6:7], off
	s_or_b64 exec, exec, s[4:5]
	s_and_saveexec_b64 s[4:5], s[20:21]
	s_cbranch_execnz .LBB39_90
.LBB39_85:
	s_or_b64 exec, exec, s[4:5]
	s_and_saveexec_b64 s[4:5], s[22:23]
	s_cbranch_execz .LBB39_91
.LBB39_86:
	v_lshlrev_b32_e32 v3, 3, v33
	ds_read_b64 v[4:5], v3
	ds_read_b64 v[6:7], v11 offset:18432
	v_lshlrev_b32_e32 v12, 3, v31
	v_mov_b32_e32 v13, 0
	s_waitcnt lgkmcnt(1)
	v_lshl_add_u64 v[4:5], v[4:5], 3, s[42:43]
	v_lshl_add_u64 v[4:5], v[4:5], 0, v[12:13]
	s_waitcnt lgkmcnt(0)
	global_store_dwordx2 v[4:5], v[6:7], off
	s_or_b64 exec, exec, s[4:5]
	s_and_saveexec_b64 s[4:5], s[24:25]
	s_cbranch_execnz .LBB39_92
	s_branch .LBB39_93
.LBB39_87:
	s_or_b64 exec, exec, s[4:5]
	s_and_saveexec_b64 s[4:5], s[16:17]
	s_cbranch_execz .LBB39_83
.LBB39_88:
	v_lshlrev_b32_e32 v3, 3, v34
	ds_read_b64 v[4:5], v3
	ds_read_b64 v[6:7], v11 offset:6144
	v_lshlrev_b32_e32 v12, 3, v25
	v_mov_b32_e32 v13, 0
	s_waitcnt lgkmcnt(1)
	v_lshl_add_u64 v[4:5], v[4:5], 3, s[42:43]
	v_lshl_add_u64 v[4:5], v[4:5], 0, v[12:13]
	s_waitcnt lgkmcnt(0)
	global_store_dwordx2 v[4:5], v[6:7], off
	s_or_b64 exec, exec, s[4:5]
	s_and_saveexec_b64 s[4:5], s[18:19]
	s_cbranch_execnz .LBB39_84
.LBB39_89:
	s_or_b64 exec, exec, s[4:5]
	s_and_saveexec_b64 s[4:5], s[20:21]
	s_cbranch_execz .LBB39_85
.LBB39_90:
	v_lshlrev_b32_e32 v3, 3, v21
	ds_read_b64 v[4:5], v3
	ds_read_b64 v[6:7], v11 offset:14336
	v_lshlrev_b32_e32 v12, 3, v30
	v_mov_b32_e32 v13, 0
	s_waitcnt lgkmcnt(1)
	v_lshl_add_u64 v[4:5], v[4:5], 3, s[42:43]
	v_lshl_add_u64 v[4:5], v[4:5], 0, v[12:13]
	s_waitcnt lgkmcnt(0)
	global_store_dwordx2 v[4:5], v[6:7], off
	s_or_b64 exec, exec, s[4:5]
	s_and_saveexec_b64 s[4:5], s[22:23]
	s_cbranch_execnz .LBB39_86
.LBB39_91:
	s_or_b64 exec, exec, s[4:5]
	s_and_saveexec_b64 s[4:5], s[24:25]
	s_cbranch_execz .LBB39_93
.LBB39_92:
	v_lshlrev_b32_e32 v3, 3, v20
	ds_read_b64 v[4:5], v3
	ds_read_b64 v[6:7], v11 offset:22528
	v_lshlrev_b32_e32 v12, 3, v32
	v_mov_b32_e32 v13, 0
	s_waitcnt lgkmcnt(1)
	v_lshl_add_u64 v[4:5], v[4:5], 3, s[42:43]
	v_lshl_add_u64 v[4:5], v[4:5], 0, v[12:13]
	s_waitcnt lgkmcnt(0)
	global_store_dwordx2 v[4:5], v[6:7], off
.LBB39_93:
	s_or_b64 exec, exec, s[4:5]
	s_add_i32 s3, s3, -1
	s_cmp_eq_u32 s2, s3
	s_cselect_b64 s[4:5], -1, 0
	s_xor_b64 s[6:7], s[12:13], -1
	s_and_b64 s[6:7], s[6:7], s[4:5]
	s_and_saveexec_b64 s[4:5], s[6:7]
	s_cbranch_execz .LBB39_95
; %bb.94:
	ds_read_b64 v[4:5], v11
	v_mov_b32_e32 v11, 0
	v_lshl_add_u64 v[6:7], v[8:9], 0, v[10:11]
	s_waitcnt lgkmcnt(0)
	v_lshl_add_u64 v[4:5], v[6:7], 0, v[4:5]
	global_store_dwordx2 v2, v[4:5], s[30:31]
.LBB39_95:
	s_or_b64 exec, exec, s[4:5]
	s_mov_b64 s[4:5], 0
.LBB39_96:
	s_and_b64 vcc, exec, s[4:5]
	s_cbranch_vccz .LBB39_131
; %bb.97:
	s_add_u32 s4, s36, s34
	s_addc_u32 s5, s37, 0
	v_mbcnt_hi_u32_b32 v6, -1, v1
	v_and_b32_e32 v10, 0x1c0, v0
	v_mov_b32_e32 v7, 0
	v_mul_u32_u24_e32 v4, 6, v10
	v_lshl_add_u64 v[2:3], s[4:5], 0, v[6:7]
	v_mov_b32_e32 v5, v7
	v_lshl_add_u64 v[12:13], v[2:3], 0, v[4:5]
	global_load_ubyte v5, v[12:13], off
	s_load_dword s4, s[0:1], 0x5c
	s_load_dword s3, s[0:1], 0x50
	s_add_u32 s0, s0, 0x50
	s_addc_u32 s1, s1, 0
	v_and_b32_e32 v2, 0x3ff, v0
	s_waitcnt lgkmcnt(0)
	s_lshr_b32 s4, s4, 16
	s_cmp_lt_u32 s2, s3
	s_cselect_b32 s5, 12, 18
	s_add_u32 s0, s0, s5
	s_addc_u32 s1, s1, 0
	global_load_ushort v11, v7, s[0:1]
	v_mul_u32_u24_e32 v3, 20, v2
	ds_write2_b32 v3, v7, v7 offset0:8 offset1:9
	ds_write2_b32 v3, v7, v7 offset0:10 offset1:11
	ds_write_b32 v3, v7 offset:48
	global_load_ubyte v9, v[12:13], off offset:64
	global_load_ubyte v8, v[12:13], off offset:128
	;; [unrolled: 1-line block ×5, first 2 shown]
	v_bfe_u32 v15, v0, 10, 10
	v_bfe_u32 v0, v0, 20, 10
	v_mad_u32_u24 v18, v0, s4, v15
	s_lshl_b32 s0, -1, s45
	v_mov_b32_e32 v1, v7
	v_mov_b32_e32 v14, v7
	;; [unrolled: 1-line block ×4, first 2 shown]
	s_not_b32 s12, s0
	v_mov_b32_e32 v26, v7
	v_mov_b32_e32 v28, v7
	s_mov_b32 s35, 0
	s_waitcnt lgkmcnt(0)
	s_barrier
	s_waitcnt vmcnt(6)
	; wave barrier
	v_xor_b32_e32 v5, 0x7f, v5
	v_lshrrev_b32_e32 v0, s44, v5
	v_bitop3_b32 v20, v0, s0, v0 bitop3:0x30
	v_and_b32_e32 v0, 1, v20
	v_lshlrev_b32_e32 v15, 30, v20
	v_lshlrev_b32_e32 v17, 29, v20
	;; [unrolled: 1-line block ×3, first 2 shown]
	v_lshl_add_u64 v[12:13], v[0:1], 0, -1
	v_cmp_ne_u32_e32 vcc, 0, v0
	v_not_b32_e32 v0, v15
	v_not_b32_e32 v1, v17
	v_cmp_gt_i64_e64 s[0:1], 0, v[14:15]
	v_cmp_gt_i64_e64 s[4:5], 0, v[16:17]
	;; [unrolled: 1-line block ×3, first 2 shown]
	v_xor_b32_e32 v13, vcc_hi, v13
	v_xor_b32_e32 v12, vcc_lo, v12
	v_ashrrev_i32_e32 v17, 31, v0
	v_ashrrev_i32_e32 v22, 31, v1
	s_waitcnt vmcnt(5)
	v_mad_u64_u32 v[0:1], s[14:15], v18, v11, v[2:3]
	v_lshlrev_b32_e32 v27, 27, v20
	v_not_b32_e32 v14, v23
	v_and_b32_e32 v1, exec_hi, v13
	v_and_b32_e32 v11, exec_lo, v12
	v_xor_b32_e32 v12, s1, v17
	v_xor_b32_e32 v13, s0, v17
	v_lshlrev_b32_e32 v29, 26, v20
	v_not_b32_e32 v15, v27
	v_ashrrev_i32_e32 v14, 31, v14
	v_xor_b32_e32 v18, s5, v22
	v_xor_b32_e32 v22, s4, v22
	v_lshrrev_b32_e32 v0, 4, v0
	v_and_b32_e32 v1, v1, v12
	v_and_b32_e32 v11, v11, v13
	v_cmp_gt_i64_e64 s[8:9], 0, v[26:27]
	v_not_b32_e32 v16, v29
	v_ashrrev_i32_e32 v15, 31, v15
	v_xor_b32_e32 v23, s7, v14
	v_xor_b32_e32 v14, s6, v14
	v_and_b32_e32 v17, 0xffffffc, v0
	v_and_b32_e32 v0, v1, v18
	;; [unrolled: 1-line block ×3, first 2 shown]
	v_cmp_gt_i64_e64 s[10:11], 0, v[28:29]
	v_xor_b32_e32 v26, s9, v15
	v_xor_b32_e32 v15, s8, v15
	v_and_b32_e32 v0, v0, v23
	v_and_b32_e32 v1, v1, v14
	v_ashrrev_i32_e32 v11, 31, v16
	v_and_b32_e32 v0, v0, v26
	v_and_b32_e32 v1, v1, v15
	v_xor_b32_e32 v12, s11, v11
	v_xor_b32_e32 v11, s10, v11
	v_and_b32_e32 v12, v0, v12
	v_and_b32_e32 v11, v1, v11
	v_lshlrev_b32_e32 v1, 25, v20
	v_mov_b32_e32 v0, v7
	v_cmp_gt_i64_e32 vcc, 0, v[0:1]
	v_not_b32_e32 v0, v1
	v_ashrrev_i32_e32 v0, 31, v0
	v_xor_b32_e32 v1, vcc_hi, v0
	v_xor_b32_e32 v0, vcc_lo, v0
	v_and_b32_e32 v12, v12, v1
	v_and_b32_e32 v11, v11, v0
	v_lshlrev_b32_e32 v1, 24, v20
	v_mov_b32_e32 v0, v7
	v_cmp_gt_i64_e32 vcc, 0, v[0:1]
	v_not_b32_e32 v0, v1
	v_ashrrev_i32_e32 v0, 31, v0
	v_xor_b32_e32 v1, vcc_hi, v0
	v_xor_b32_e32 v0, vcc_lo, v0
	v_and_b32_e32 v0, v11, v0
	v_and_b32_e32 v1, v12, v1
	v_mbcnt_lo_u32_b32 v11, v0, 0
	v_mbcnt_hi_u32_b32 v11, v1, v11
	v_mul_u32_u24_e32 v25, 36, v20
	v_cmp_eq_u32_e32 vcc, 0, v11
	v_cmp_ne_u64_e64 s[0:1], 0, v[0:1]
	s_and_b64 s[4:5], s[0:1], vcc
	v_add_u32_e32 v14, v17, v25
	s_and_saveexec_b64 s[0:1], s[4:5]
; %bb.98:
	v_bcnt_u32_b32 v0, v0, 0
	v_bcnt_u32_b32 v0, v1, v0
	ds_write_b32 v14, v0 offset:32
; %bb.99:
	s_or_b64 exec, exec, s[0:1]
	s_waitcnt vmcnt(4)
	v_xor_b32_e32 v12, 0x7f, v9
	v_lshrrev_b32_sdwa v0, s44, v12 dst_sel:DWORD dst_unused:UNUSED_PAD src0_sel:DWORD src1_sel:BYTE_0
	v_and_b32_e32 v9, s12, v0
	v_mad_u32_u24 v0, v9, 36, v17
	; wave barrier
	ds_read_b32 v13, v0 offset:32
	v_and_b32_e32 v0, 1, v9
	v_mov_b32_e32 v1, v7
	v_lshl_add_u64 v[22:23], v[0:1], 0, -1
	v_cmp_ne_u32_e32 vcc, 0, v0
	v_mul_u32_u24_e32 v15, 36, v9
	s_nop 0
	v_xor_b32_e32 v0, vcc_hi, v23
	v_xor_b32_e32 v1, vcc_lo, v22
	v_and_b32_e32 v16, exec_hi, v0
	v_and_b32_e32 v18, exec_lo, v1
	v_lshlrev_b32_e32 v1, 30, v9
	v_mov_b32_e32 v0, v7
	v_cmp_gt_i64_e32 vcc, 0, v[0:1]
	v_not_b32_e32 v0, v1
	v_ashrrev_i32_e32 v0, 31, v0
	v_xor_b32_e32 v1, vcc_hi, v0
	v_xor_b32_e32 v0, vcc_lo, v0
	v_and_b32_e32 v16, v16, v1
	v_and_b32_e32 v18, v18, v0
	v_lshlrev_b32_e32 v1, 29, v9
	v_mov_b32_e32 v0, v7
	v_cmp_gt_i64_e32 vcc, 0, v[0:1]
	v_not_b32_e32 v0, v1
	v_ashrrev_i32_e32 v0, 31, v0
	v_xor_b32_e32 v1, vcc_hi, v0
	v_xor_b32_e32 v0, vcc_lo, v0
	v_and_b32_e32 v16, v16, v1
	v_and_b32_e32 v18, v18, v0
	;; [unrolled: 9-line block ×7, first 2 shown]
	v_mbcnt_lo_u32_b32 v7, v0, 0
	v_mbcnt_hi_u32_b32 v7, v1, v7
	v_cmp_eq_u32_e32 vcc, 0, v7
	v_cmp_ne_u64_e64 s[0:1], 0, v[0:1]
	s_and_b64 s[4:5], s[0:1], vcc
	v_add_u32_e32 v18, v17, v15
	; wave barrier
	s_and_saveexec_b64 s[0:1], s[4:5]
	s_cbranch_execz .LBB39_101
; %bb.100:
	v_bcnt_u32_b32 v0, v0, 0
	v_bcnt_u32_b32 v0, v1, v0
	s_waitcnt lgkmcnt(0)
	v_add_u32_e32 v0, v13, v0
	ds_write_b32 v18, v0 offset:32
.LBB39_101:
	s_or_b64 exec, exec, s[0:1]
	s_waitcnt vmcnt(3)
	v_xor_b32_e32 v15, 0x7f, v8
	v_lshrrev_b32_sdwa v0, s44, v15 dst_sel:DWORD dst_unused:UNUSED_PAD src0_sel:DWORD src1_sel:BYTE_0
	v_and_b32_e32 v20, s12, v0
	v_mad_u32_u24 v0, v20, 36, v17
	; wave barrier
	ds_read_b32 v16, v0 offset:32
	v_and_b32_e32 v0, 1, v20
	v_mov_b32_e32 v1, 0
	v_lshl_add_u64 v[8:9], v[0:1], 0, -1
	v_cmp_ne_u32_e32 vcc, 0, v0
	v_mul_u32_u24_e32 v22, 36, v20
	s_nop 0
	v_xor_b32_e32 v8, vcc_lo, v8
	v_xor_b32_e32 v0, vcc_hi, v9
	v_and_b32_e32 v23, exec_lo, v8
	v_lshlrev_b32_e32 v9, 30, v20
	v_mov_b32_e32 v8, v1
	v_cmp_gt_i64_e32 vcc, 0, v[8:9]
	v_not_b32_e32 v8, v9
	v_ashrrev_i32_e32 v8, 31, v8
	v_and_b32_e32 v0, exec_hi, v0
	v_xor_b32_e32 v9, vcc_hi, v8
	v_xor_b32_e32 v8, vcc_lo, v8
	v_and_b32_e32 v0, v0, v9
	v_and_b32_e32 v23, v23, v8
	v_lshlrev_b32_e32 v9, 29, v20
	v_mov_b32_e32 v8, v1
	v_cmp_gt_i64_e32 vcc, 0, v[8:9]
	v_not_b32_e32 v8, v9
	v_ashrrev_i32_e32 v8, 31, v8
	v_xor_b32_e32 v9, vcc_hi, v8
	v_xor_b32_e32 v8, vcc_lo, v8
	v_and_b32_e32 v0, v0, v9
	v_and_b32_e32 v23, v23, v8
	v_lshlrev_b32_e32 v9, 28, v20
	v_mov_b32_e32 v8, v1
	v_cmp_gt_i64_e32 vcc, 0, v[8:9]
	v_not_b32_e32 v8, v9
	v_ashrrev_i32_e32 v8, 31, v8
	;; [unrolled: 9-line block ×6, first 2 shown]
	v_xor_b32_e32 v9, vcc_hi, v8
	v_xor_b32_e32 v8, vcc_lo, v8
	v_and_b32_e32 v8, v23, v8
	v_and_b32_e32 v9, v0, v9
	v_mbcnt_lo_u32_b32 v0, v8, 0
	v_mbcnt_hi_u32_b32 v20, v9, v0
	v_cmp_eq_u32_e32 vcc, 0, v20
	v_cmp_ne_u64_e64 s[0:1], 0, v[8:9]
	s_and_b64 s[4:5], s[0:1], vcc
	v_add_u32_e32 v23, v17, v22
	; wave barrier
	s_and_saveexec_b64 s[0:1], s[4:5]
	s_cbranch_execz .LBB39_103
; %bb.102:
	v_bcnt_u32_b32 v0, v8, 0
	v_bcnt_u32_b32 v0, v9, v0
	s_waitcnt lgkmcnt(0)
	v_add_u32_e32 v0, v16, v0
	ds_write_b32 v23, v0 offset:32
.LBB39_103:
	s_or_b64 exec, exec, s[0:1]
	s_waitcnt vmcnt(2)
	v_xor_b32_e32 v21, 0x7f, v21
	v_lshrrev_b32_sdwa v0, s44, v21 dst_sel:DWORD dst_unused:UNUSED_PAD src0_sel:DWORD src1_sel:BYTE_0
	v_and_b32_e32 v25, s12, v0
	v_mad_u32_u24 v0, v25, 36, v17
	; wave barrier
	ds_read_b32 v22, v0 offset:32
	v_and_b32_e32 v0, 1, v25
	v_lshl_add_u64 v[8:9], v[0:1], 0, -1
	v_cmp_ne_u32_e32 vcc, 0, v0
	v_mul_u32_u24_e32 v26, 36, v25
	s_nop 0
	v_xor_b32_e32 v8, vcc_lo, v8
	v_xor_b32_e32 v0, vcc_hi, v9
	v_and_b32_e32 v27, exec_lo, v8
	v_lshlrev_b32_e32 v9, 30, v25
	v_mov_b32_e32 v8, v1
	v_cmp_gt_i64_e32 vcc, 0, v[8:9]
	v_not_b32_e32 v8, v9
	v_ashrrev_i32_e32 v8, 31, v8
	v_and_b32_e32 v0, exec_hi, v0
	v_xor_b32_e32 v9, vcc_hi, v8
	v_xor_b32_e32 v8, vcc_lo, v8
	v_and_b32_e32 v0, v0, v9
	v_and_b32_e32 v27, v27, v8
	v_lshlrev_b32_e32 v9, 29, v25
	v_mov_b32_e32 v8, v1
	v_cmp_gt_i64_e32 vcc, 0, v[8:9]
	v_not_b32_e32 v8, v9
	v_ashrrev_i32_e32 v8, 31, v8
	v_xor_b32_e32 v9, vcc_hi, v8
	v_xor_b32_e32 v8, vcc_lo, v8
	v_and_b32_e32 v0, v0, v9
	v_and_b32_e32 v27, v27, v8
	v_lshlrev_b32_e32 v9, 28, v25
	v_mov_b32_e32 v8, v1
	v_cmp_gt_i64_e32 vcc, 0, v[8:9]
	v_not_b32_e32 v8, v9
	v_ashrrev_i32_e32 v8, 31, v8
	;; [unrolled: 9-line block ×5, first 2 shown]
	v_xor_b32_e32 v9, vcc_hi, v8
	v_xor_b32_e32 v8, vcc_lo, v8
	v_and_b32_e32 v0, v0, v9
	v_lshlrev_b32_e32 v9, 24, v25
	v_and_b32_e32 v27, v27, v8
	v_mov_b32_e32 v8, v1
	v_not_b32_e32 v1, v9
	v_cmp_gt_i64_e32 vcc, 0, v[8:9]
	v_ashrrev_i32_e32 v1, 31, v1
	; wave barrier
	s_nop 0
	v_xor_b32_e32 v8, vcc_hi, v1
	v_xor_b32_e32 v9, vcc_lo, v1
	v_and_b32_e32 v1, v0, v8
	v_and_b32_e32 v0, v27, v9
	v_mbcnt_lo_u32_b32 v8, v0, 0
	v_mbcnt_hi_u32_b32 v25, v1, v8
	v_cmp_eq_u32_e32 vcc, 0, v25
	v_cmp_ne_u64_e64 s[0:1], 0, v[0:1]
	s_and_b64 s[4:5], s[0:1], vcc
	v_add_u32_e32 v27, v17, v26
	s_and_saveexec_b64 s[0:1], s[4:5]
	s_cbranch_execz .LBB39_105
; %bb.104:
	v_bcnt_u32_b32 v0, v0, 0
	v_bcnt_u32_b32 v0, v1, v0
	s_waitcnt lgkmcnt(0)
	v_add_u32_e32 v0, v22, v0
	ds_write_b32 v27, v0 offset:32
.LBB39_105:
	s_or_b64 exec, exec, s[0:1]
	s_waitcnt vmcnt(1)
	v_xor_b32_e32 v24, 0x7f, v24
	v_lshrrev_b32_sdwa v0, s44, v24 dst_sel:DWORD dst_unused:UNUSED_PAD src0_sel:DWORD src1_sel:BYTE_0
	v_and_b32_e32 v28, s12, v0
	v_mad_u32_u24 v0, v28, 36, v17
	; wave barrier
	ds_read_b32 v26, v0 offset:32
	v_and_b32_e32 v0, 1, v28
	v_mov_b32_e32 v1, 0
	v_lshl_add_u64 v[8:9], v[0:1], 0, -1
	v_cmp_ne_u32_e32 vcc, 0, v0
	v_mul_u32_u24_e32 v29, 36, v28
	s_nop 0
	v_xor_b32_e32 v8, vcc_lo, v8
	v_xor_b32_e32 v0, vcc_hi, v9
	v_and_b32_e32 v30, exec_lo, v8
	v_lshlrev_b32_e32 v9, 30, v28
	v_mov_b32_e32 v8, v1
	v_cmp_gt_i64_e32 vcc, 0, v[8:9]
	v_not_b32_e32 v8, v9
	v_ashrrev_i32_e32 v8, 31, v8
	v_and_b32_e32 v0, exec_hi, v0
	v_xor_b32_e32 v9, vcc_hi, v8
	v_xor_b32_e32 v8, vcc_lo, v8
	v_and_b32_e32 v0, v0, v9
	v_and_b32_e32 v30, v30, v8
	v_lshlrev_b32_e32 v9, 29, v28
	v_mov_b32_e32 v8, v1
	v_cmp_gt_i64_e32 vcc, 0, v[8:9]
	v_not_b32_e32 v8, v9
	v_ashrrev_i32_e32 v8, 31, v8
	v_xor_b32_e32 v9, vcc_hi, v8
	v_xor_b32_e32 v8, vcc_lo, v8
	v_and_b32_e32 v0, v0, v9
	v_and_b32_e32 v30, v30, v8
	v_lshlrev_b32_e32 v9, 28, v28
	v_mov_b32_e32 v8, v1
	v_cmp_gt_i64_e32 vcc, 0, v[8:9]
	v_not_b32_e32 v8, v9
	v_ashrrev_i32_e32 v8, 31, v8
	;; [unrolled: 9-line block ×6, first 2 shown]
	v_xor_b32_e32 v9, vcc_hi, v8
	v_xor_b32_e32 v8, vcc_lo, v8
	v_and_b32_e32 v8, v30, v8
	v_and_b32_e32 v9, v0, v9
	v_mbcnt_lo_u32_b32 v0, v8, 0
	v_mbcnt_hi_u32_b32 v28, v9, v0
	v_cmp_eq_u32_e32 vcc, 0, v28
	v_cmp_ne_u64_e64 s[0:1], 0, v[8:9]
	s_and_b64 s[4:5], s[0:1], vcc
	v_add_u32_e32 v30, v17, v29
	; wave barrier
	s_and_saveexec_b64 s[0:1], s[4:5]
	s_cbranch_execz .LBB39_107
; %bb.106:
	v_bcnt_u32_b32 v0, v8, 0
	v_bcnt_u32_b32 v0, v9, v0
	s_waitcnt lgkmcnt(0)
	v_add_u32_e32 v0, v26, v0
	ds_write_b32 v30, v0 offset:32
.LBB39_107:
	s_or_b64 exec, exec, s[0:1]
	s_waitcnt vmcnt(0)
	v_xor_b32_e32 v19, 0x7f, v19
	v_lshrrev_b32_sdwa v0, s44, v19 dst_sel:DWORD dst_unused:UNUSED_PAD src0_sel:DWORD src1_sel:BYTE_0
	v_and_b32_e32 v31, s12, v0
	v_mad_u32_u24 v0, v31, 36, v17
	; wave barrier
	ds_read_b32 v29, v0 offset:32
	v_and_b32_e32 v0, 1, v31
	v_lshl_add_u64 v[8:9], v[0:1], 0, -1
	v_cmp_ne_u32_e32 vcc, 0, v0
	v_mul_u32_u24_e32 v32, 36, v31
	v_add_u32_e32 v17, v17, v32
	v_xor_b32_e32 v8, vcc_lo, v8
	v_xor_b32_e32 v0, vcc_hi, v9
	v_and_b32_e32 v33, exec_lo, v8
	v_lshlrev_b32_e32 v9, 30, v31
	v_mov_b32_e32 v8, v1
	v_cmp_gt_i64_e32 vcc, 0, v[8:9]
	v_not_b32_e32 v8, v9
	v_ashrrev_i32_e32 v8, 31, v8
	v_and_b32_e32 v0, exec_hi, v0
	v_xor_b32_e32 v9, vcc_hi, v8
	v_xor_b32_e32 v8, vcc_lo, v8
	v_and_b32_e32 v0, v0, v9
	v_and_b32_e32 v33, v33, v8
	v_lshlrev_b32_e32 v9, 29, v31
	v_mov_b32_e32 v8, v1
	v_cmp_gt_i64_e32 vcc, 0, v[8:9]
	v_not_b32_e32 v8, v9
	v_ashrrev_i32_e32 v8, 31, v8
	v_xor_b32_e32 v9, vcc_hi, v8
	v_xor_b32_e32 v8, vcc_lo, v8
	v_and_b32_e32 v0, v0, v9
	v_and_b32_e32 v33, v33, v8
	v_lshlrev_b32_e32 v9, 28, v31
	v_mov_b32_e32 v8, v1
	v_cmp_gt_i64_e32 vcc, 0, v[8:9]
	v_not_b32_e32 v8, v9
	v_ashrrev_i32_e32 v8, 31, v8
	;; [unrolled: 9-line block ×5, first 2 shown]
	v_xor_b32_e32 v9, vcc_hi, v8
	v_xor_b32_e32 v8, vcc_lo, v8
	v_and_b32_e32 v0, v0, v9
	v_lshlrev_b32_e32 v9, 24, v31
	v_and_b32_e32 v33, v33, v8
	v_mov_b32_e32 v8, v1
	v_not_b32_e32 v1, v9
	v_cmp_gt_i64_e32 vcc, 0, v[8:9]
	v_ashrrev_i32_e32 v1, 31, v1
	s_nop 0
	v_xor_b32_e32 v8, vcc_hi, v1
	v_xor_b32_e32 v9, vcc_lo, v1
	v_and_b32_e32 v1, v0, v8
	v_and_b32_e32 v0, v33, v9
	v_mbcnt_lo_u32_b32 v8, v0, 0
	v_mbcnt_hi_u32_b32 v31, v1, v8
	v_cmp_eq_u32_e32 vcc, 0, v31
	v_cmp_ne_u64_e64 s[0:1], 0, v[0:1]
	s_and_b64 s[4:5], s[0:1], vcc
	; wave barrier
	s_and_saveexec_b64 s[0:1], s[4:5]
	s_cbranch_execz .LBB39_109
; %bb.108:
	v_bcnt_u32_b32 v0, v0, 0
	v_bcnt_u32_b32 v0, v1, v0
	s_waitcnt lgkmcnt(0)
	v_add_u32_e32 v0, v29, v0
	ds_write_b32 v17, v0 offset:32
.LBB39_109:
	s_or_b64 exec, exec, s[0:1]
	; wave barrier
	s_waitcnt lgkmcnt(0)
	s_barrier
	ds_read2_b32 v[8:9], v3 offset0:8 offset1:9
	ds_read2_b32 v[0:1], v3 offset0:10 offset1:11
	ds_read_b32 v32, v3 offset:48
	v_min_u32_e32 v10, 0x1c0, v10
	v_or_b32_e32 v10, 63, v10
	s_waitcnt lgkmcnt(1)
	v_add3_u32 v33, v9, v8, v0
	s_waitcnt lgkmcnt(0)
	v_add3_u32 v32, v33, v1, v32
	v_and_b32_e32 v33, 15, v6
	v_cmp_ne_u32_e32 vcc, 0, v33
	v_mov_b32_dpp v34, v32 row_shr:1 row_mask:0xf bank_mask:0xf
	s_nop 0
	v_cndmask_b32_e32 v34, 0, v34, vcc
	v_add_u32_e32 v32, v34, v32
	v_cmp_lt_u32_e32 vcc, 1, v33
	s_nop 0
	v_mov_b32_dpp v34, v32 row_shr:2 row_mask:0xf bank_mask:0xf
	v_cndmask_b32_e32 v34, 0, v34, vcc
	v_add_u32_e32 v32, v32, v34
	v_cmp_lt_u32_e32 vcc, 3, v33
	s_nop 0
	v_mov_b32_dpp v34, v32 row_shr:4 row_mask:0xf bank_mask:0xf
	;; [unrolled: 5-line block ×3, first 2 shown]
	v_cndmask_b32_e32 v33, 0, v34, vcc
	v_add_u32_e32 v32, v32, v33
	v_bfe_i32 v34, v6, 4, 1
	v_cmp_lt_u32_e32 vcc, 31, v6
	v_mov_b32_dpp v33, v32 row_bcast:15 row_mask:0xf bank_mask:0xf
	v_and_b32_e32 v33, v34, v33
	v_add_u32_e32 v32, v32, v33
	s_nop 1
	v_mov_b32_dpp v33, v32 row_bcast:31 row_mask:0xf bank_mask:0xf
	v_cndmask_b32_e32 v33, 0, v33, vcc
	v_add_u32_e32 v32, v32, v33
	v_lshrrev_b32_e32 v33, 6, v2
	v_cmp_eq_u32_e32 vcc, v2, v10
	s_and_saveexec_b64 s[0:1], vcc
; %bb.110:
	v_lshlrev_b32_e32 v10, 2, v33
	ds_write_b32 v10, v32
; %bb.111:
	s_or_b64 exec, exec, s[0:1]
	v_cmp_gt_u32_e32 vcc, 8, v2
	s_waitcnt lgkmcnt(0)
	s_barrier
	s_and_saveexec_b64 s[0:1], vcc
	s_cbranch_execz .LBB39_113
; %bb.112:
	v_lshlrev_b32_e32 v10, 2, v2
	ds_read_b32 v34, v10
	v_and_b32_e32 v35, 7, v6
	v_cmp_ne_u32_e32 vcc, 0, v35
	s_waitcnt lgkmcnt(0)
	v_mov_b32_dpp v36, v34 row_shr:1 row_mask:0xf bank_mask:0xf
	v_cndmask_b32_e32 v36, 0, v36, vcc
	v_add_u32_e32 v34, v36, v34
	v_cmp_lt_u32_e32 vcc, 1, v35
	s_nop 0
	v_mov_b32_dpp v36, v34 row_shr:2 row_mask:0xf bank_mask:0xf
	v_cndmask_b32_e32 v36, 0, v36, vcc
	v_add_u32_e32 v34, v34, v36
	v_cmp_lt_u32_e32 vcc, 3, v35
	s_nop 0
	v_mov_b32_dpp v36, v34 row_shr:4 row_mask:0xf bank_mask:0xf
	v_cndmask_b32_e32 v35, 0, v36, vcc
	v_add_u32_e32 v34, v34, v35
	ds_write_b32 v10, v34
.LBB39_113:
	s_or_b64 exec, exec, s[0:1]
	v_cmp_lt_u32_e32 vcc, 63, v2
	v_mov_b32_e32 v10, 0
	s_waitcnt lgkmcnt(0)
	s_barrier
	s_and_saveexec_b64 s[0:1], vcc
; %bb.114:
	v_lshl_add_u32 v10, v33, 2, -4
	ds_read_b32 v10, v10
; %bb.115:
	s_or_b64 exec, exec, s[0:1]
	v_add_u32_e32 v33, -1, v6
	v_and_b32_e32 v34, 64, v6
	v_cmp_lt_i32_e32 vcc, v33, v34
	s_waitcnt lgkmcnt(0)
	v_add_u32_e32 v32, v10, v32
	s_movk_i32 s0, 0xff
	v_cndmask_b32_e32 v33, v33, v6, vcc
	v_lshlrev_b32_e32 v33, 2, v33
	ds_bpermute_b32 v32, v33, v32
	v_cmp_eq_u32_e32 vcc, 0, v6
	s_movk_i32 s4, 0x100
	s_waitcnt lgkmcnt(0)
	v_cndmask_b32_e32 v10, v32, v10, vcc
	v_cmp_ne_u32_e32 vcc, 0, v2
	s_nop 1
	v_cndmask_b32_e32 v10, 0, v10, vcc
	v_add_u32_e32 v8, v10, v8
	v_add_u32_e32 v9, v8, v9
	;; [unrolled: 1-line block ×4, first 2 shown]
	ds_write2_b32 v3, v10, v8 offset0:8 offset1:9
	ds_write2_b32 v3, v9, v0 offset0:10 offset1:11
	ds_write_b32 v3, v1 offset:48
	s_waitcnt lgkmcnt(0)
	s_barrier
	ds_read_b32 v3, v14 offset:32
	ds_read_b32 v9, v18 offset:32
	;; [unrolled: 1-line block ×6, first 2 shown]
	v_cmp_lt_u32_e32 vcc, s0, v2
	v_cmp_gt_u32_e64 s[0:1], s4, v2
	v_mov_b64_e32 v[0:1], 0
                                        ; implicit-def: $vgpr8
	s_and_saveexec_b64 s[6:7], s[0:1]
	s_cbranch_execz .LBB39_119
; %bb.116:
	v_mul_u32_u24_e32 v0, 36, v2
	ds_read_b32 v0, v0 offset:32
	v_add_u32_e32 v8, 1, v2
	v_cmp_ne_u32_e64 s[4:5], s4, v8
	v_mov_b32_e32 v1, 0xc00
	s_and_saveexec_b64 s[8:9], s[4:5]
; %bb.117:
	v_mul_u32_u24_e32 v1, 36, v8
	ds_read_b32 v1, v1 offset:32
; %bb.118:
	s_or_b64 exec, exec, s[8:9]
	s_waitcnt lgkmcnt(0)
	v_sub_u32_e32 v8, v1, v0
	v_mov_b32_e32 v1, 0
.LBB39_119:
	s_or_b64 exec, exec, s[6:7]
	s_waitcnt lgkmcnt(5)
	v_add_u32_e32 v27, v3, v11
	v_mov_b32_e32 v11, 0
	s_waitcnt lgkmcnt(4)
	v_add3_u32 v23, v7, v13, v9
	s_waitcnt lgkmcnt(3)
	v_add3_u32 v18, v20, v16, v10
	;; [unrolled: 2-line block ×5, first 2 shown]
	s_barrier
	ds_write_b8 v27, v5 offset:2048
	ds_write_b8 v23, v12 offset:2048
	;; [unrolled: 1-line block ×6, first 2 shown]
	v_mov_b32_e32 v3, v11
	v_lshlrev_b32_e32 v5, 3, v2
	s_waitcnt lgkmcnt(0)
	s_barrier
	s_and_saveexec_b64 s[4:5], s[0:1]
	s_cbranch_execz .LBB39_129
; %bb.120:
	v_lshl_add_u32 v10, s2, 8, v2
	v_lshl_add_u64 v[12:13], v[10:11], 2, s[48:49]
	v_or_b32_e32 v7, 2.0, v8
	global_store_dword v[12:13], v7, off sc1
	s_mov_b64 s[6:7], 0
	s_brev_b32 s13, -4
	s_mov_b32 s14, s2
	v_mov_b32_e32 v7, 0
                                        ; implicit-def: $sgpr0_sgpr1
	s_branch .LBB39_123
.LBB39_121:                             ;   in Loop: Header=BB39_123 Depth=1
	s_or_b64 exec, exec, s[10:11]
.LBB39_122:                             ;   in Loop: Header=BB39_123 Depth=1
	s_or_b64 exec, exec, s[8:9]
	v_and_b32_e32 v14, 0x3fffffff, v10
	v_add_u32_e32 v7, v14, v7
	v_cmp_gt_i32_e64 s[0:1], -2.0, v10
	s_and_b64 s[8:9], exec, s[0:1]
	s_or_b64 s[6:7], s[8:9], s[6:7]
	s_andn2_b64 exec, exec, s[6:7]
	s_cbranch_execz .LBB39_128
.LBB39_123:                             ; =>This Loop Header: Depth=1
                                        ;     Child Loop BB39_126 Depth 2
	s_or_b64 s[0:1], s[0:1], exec
	s_cmp_eq_u32 s14, 0
	s_cbranch_scc1 .LBB39_127
; %bb.124:                              ;   in Loop: Header=BB39_123 Depth=1
	s_add_i32 s14, s14, -1
	v_lshl_or_b32 v10, s14, 8, v2
	v_lshl_add_u64 v[14:15], v[10:11], 2, s[48:49]
	global_load_dword v10, v[14:15], off sc1
	s_waitcnt vmcnt(0)
	v_cmp_gt_u32_e64 s[0:1], 2.0, v10
	s_and_saveexec_b64 s[8:9], s[0:1]
	s_cbranch_execz .LBB39_122
; %bb.125:                              ;   in Loop: Header=BB39_123 Depth=1
	s_mov_b64 s[10:11], 0
.LBB39_126:                             ;   Parent Loop BB39_123 Depth=1
                                        ; =>  This Inner Loop Header: Depth=2
	global_load_dword v10, v[14:15], off sc1
	s_waitcnt vmcnt(0)
	v_cmp_lt_u32_e64 s[0:1], s13, v10
	s_or_b64 s[10:11], s[0:1], s[10:11]
	s_andn2_b64 exec, exec, s[10:11]
	s_cbranch_execnz .LBB39_126
	s_branch .LBB39_121
.LBB39_127:                             ;   in Loop: Header=BB39_123 Depth=1
                                        ; implicit-def: $sgpr14
	s_and_b64 s[8:9], exec, s[0:1]
	s_or_b64 s[6:7], s[8:9], s[6:7]
	s_andn2_b64 exec, exec, s[6:7]
	s_cbranch_execnz .LBB39_123
.LBB39_128:
	s_or_b64 exec, exec, s[6:7]
	v_add_u32_e32 v11, v7, v8
	v_or_b32_e32 v11, 0x80000000, v11
	v_lshlrev_b32_e32 v10, 3, v2
	global_store_dword v[12:13], v11, off sc1
	global_load_dwordx2 v[10:11], v10, s[28:29]
	v_sub_co_u32_e64 v12, s[0:1], v7, v0
	s_nop 1
	v_subb_co_u32_e64 v13, s[0:1], 0, v1, s[0:1]
	s_waitcnt vmcnt(0)
	v_lshl_add_u64 v[10:11], v[12:13], 0, v[10:11]
	ds_write_b64 v5, v[10:11]
.LBB39_129:
	s_or_b64 exec, exec, s[4:5]
	s_waitcnt lgkmcnt(0)
	s_barrier
	ds_read_u8 v7, v2 offset:4096
	ds_read_u8 v19, v2 offset:3072
	;; [unrolled: 1-line block ×5, first 2 shown]
	s_waitcnt lgkmcnt(4)
	v_lshrrev_b32_sdwa v10, s44, v7 dst_sel:DWORD dst_unused:UNUSED_PAD src0_sel:DWORD src1_sel:BYTE_0
	v_and_b32_e32 v10, s12, v10
	v_lshlrev_b32_e32 v32, 3, v10
	s_waitcnt lgkmcnt(1)
	v_lshrrev_b32_sdwa v10, s44, v26 dst_sel:DWORD dst_unused:UNUSED_PAD src0_sel:DWORD src1_sel:BYTE_0
	v_and_b32_e32 v10, s12, v10
	v_lshlrev_b32_e32 v33, 3, v10
	ds_read_u8 v30, v2 offset:2560
	ds_read_b64 v[10:11], v32
	ds_read_b64 v[12:13], v33
	s_waitcnt lgkmcnt(3)
	v_lshrrev_b32_sdwa v15, s44, v14 dst_sel:DWORD dst_unused:UNUSED_PAD src0_sel:DWORD src1_sel:BYTE_0
	v_and_b32_e32 v15, s12, v15
	s_waitcnt lgkmcnt(2)
	v_lshrrev_b32_sdwa v20, s44, v30 dst_sel:DWORD dst_unused:UNUSED_PAD src0_sel:DWORD src1_sel:BYTE_0
	v_lshlrev_b32_e32 v34, 3, v15
	v_and_b32_e32 v20, s12, v20
	v_xor_b32_e32 v31, 0x7f, v14
	ds_read_b64 v[14:15], v34
	v_lshlrev_b32_e32 v35, 3, v20
	v_lshrrev_b32_sdwa v20, s44, v19 dst_sel:DWORD dst_unused:UNUSED_PAD src0_sel:DWORD src1_sel:BYTE_0
	v_and_b32_e32 v20, s12, v20
	v_lshlrev_b32_e32 v36, 3, v20
	v_lshrrev_b32_sdwa v20, s44, v22 dst_sel:DWORD dst_unused:UNUSED_PAD src0_sel:DWORD src1_sel:BYTE_0
	v_and_b32_e32 v20, s12, v20
	v_lshlrev_b32_e32 v37, 3, v20
	ds_read_b64 v[20:21], v35
	ds_read_b64 v[24:25], v36
	;; [unrolled: 1-line block ×3, first 2 shown]
	s_waitcnt lgkmcnt(3)
	v_lshl_add_u64 v[14:15], s[38:39], 0, v[14:15]
	v_lshl_add_u64 v[14:15], v[14:15], 0, v[2:3]
	global_store_byte v[14:15], v31, off
	s_waitcnt lgkmcnt(2)
	v_lshl_add_u64 v[14:15], s[38:39], 0, v[20:21]
	v_xor_b32_e32 v30, 0x7f, v30
	v_lshl_add_u64 v[14:15], v[14:15], 0, v[2:3]
	global_store_byte v[14:15], v30, off offset:512
	s_waitcnt lgkmcnt(1)
	v_lshl_add_u64 v[14:15], s[38:39], 0, v[24:25]
	v_xor_b32_e32 v19, 0x7f, v19
	v_lshl_add_u64 v[14:15], v[14:15], 0, v[2:3]
	global_store_byte v[14:15], v19, off offset:1024
	s_waitcnt lgkmcnt(0)
	v_lshl_add_u64 v[14:15], s[38:39], 0, v[28:29]
	v_lshl_add_u64 v[10:11], s[38:39], 0, v[10:11]
	v_xor_b32_e32 v19, 0x7f, v22
	v_lshl_add_u64 v[14:15], v[14:15], 0, v[2:3]
	v_xor_b32_e32 v7, 0x7f, v7
	v_lshl_add_u64 v[10:11], v[10:11], 0, v[2:3]
	global_store_byte v[14:15], v19, off offset:1536
	global_store_byte v[10:11], v7, off offset:2048
	v_lshl_add_u64 v[10:11], s[38:39], 0, v[12:13]
	s_lshl_b64 s[0:1], s[34:35], 3
	v_xor_b32_e32 v7, 0x7f, v26
	v_lshl_add_u64 v[10:11], v[10:11], 0, v[2:3]
	s_add_u32 s0, s40, s0
	global_store_byte v[10:11], v7, off offset:2560
	s_addc_u32 s1, s41, s1
	v_lshlrev_b32_e32 v6, 3, v6
	v_mov_b32_e32 v7, 0
	v_lshl_add_u64 v[10:11], s[0:1], 0, v[6:7]
	v_lshlrev_b32_e32 v6, 3, v4
	v_lshl_add_u64 v[10:11], v[10:11], 0, v[6:7]
	global_load_dwordx2 v[12:13], v[10:11], off
	global_load_dwordx2 v[14:15], v[10:11], off offset:512
	global_load_dwordx2 v[20:21], v[10:11], off offset:1024
	;; [unrolled: 1-line block ×5, first 2 shown]
	v_lshlrev_b32_e32 v3, 3, v27
	v_lshlrev_b32_e32 v10, 3, v18
	;; [unrolled: 1-line block ×4, first 2 shown]
	v_mad_u32_u24 v38, v2, 7, v2
	v_lshlrev_b32_e32 v4, 3, v23
	v_lshlrev_b32_e32 v9, 3, v9
	v_lshlrev_b32_e32 v6, 3, v2
	s_barrier
	v_add_u32_e32 v18, 0x1000, v5
	v_or_b32_e32 v22, 0x2000, v5
	v_mov_b32_e32 v19, v7
	v_mov_b32_e32 v23, v7
	s_add_i32 s3, s3, -1
	s_cmp_eq_u32 s2, s3
	s_cselect_b64 s[0:1], -1, 0
	s_xor_b64 s[2:3], vcc, -1
	s_and_b64 s[0:1], s[2:3], s[0:1]
	s_waitcnt vmcnt(5)
	ds_write_b64 v3, v[12:13] offset:2048
	s_waitcnt vmcnt(4)
	ds_write_b64 v4, v[14:15] offset:2048
	;; [unrolled: 2-line block ×6, first 2 shown]
	s_waitcnt lgkmcnt(0)
	s_barrier
	ds_read2st64_b64 v[10:13], v38 offset0:4 offset1:12
	ds_read_b64 v[2:3], v34
	ds_read_b64 v[20:21], v35
	;; [unrolled: 1-line block ×3, first 2 shown]
	ds_read2st64_b64 v[14:17], v38 offset0:20 offset1:28
	ds_read_b64 v[26:27], v37
	s_waitcnt lgkmcnt(4)
	v_lshl_add_u64 v[2:3], v[2:3], 3, s[42:43]
	s_waitcnt lgkmcnt(3)
	v_lshl_add_u64 v[20:21], v[20:21], 3, s[42:43]
	;; [unrolled: 2-line block ×3, first 2 shown]
	v_lshl_add_u64 v[2:3], v[2:3], 0, v[6:7]
	v_lshl_add_u64 v[18:19], v[20:21], 0, v[18:19]
	global_store_dwordx2 v[2:3], v[10:11], off
	global_store_dwordx2 v[18:19], v[12:13], off
	v_lshl_add_u64 v[2:3], v[24:25], 0, v[22:23]
	s_waitcnt lgkmcnt(1)
	global_store_dwordx2 v[2:3], v[14:15], off
	s_waitcnt lgkmcnt(0)
	v_lshl_add_u64 v[2:3], v[26:27], 3, s[42:43]
	v_add_u32_e32 v10, 0x3000, v5
	v_mov_b32_e32 v11, v7
	ds_read_b64 v[14:15], v32
	v_lshl_add_u64 v[2:3], v[2:3], 0, v[10:11]
	global_store_dwordx2 v[2:3], v[16:17], off
	ds_read2st64_b64 v[10:13], v38 offset0:36 offset1:44
	ds_read_b64 v[2:3], v33
	v_or_b32_e32 v16, 0x4000, v5
	s_waitcnt lgkmcnt(2)
	v_lshl_add_u64 v[14:15], v[14:15], 3, s[42:43]
	v_mov_b32_e32 v17, v7
	v_lshl_add_u64 v[14:15], v[14:15], 0, v[16:17]
	s_waitcnt lgkmcnt(1)
	global_store_dwordx2 v[14:15], v[10:11], off
	s_waitcnt lgkmcnt(0)
	v_lshl_add_u64 v[2:3], v[2:3], 3, s[42:43]
	v_add_u32_e32 v10, 0x5000, v5
	v_mov_b32_e32 v11, v7
	v_lshl_add_u64 v[2:3], v[2:3], 0, v[10:11]
	global_store_dwordx2 v[2:3], v[12:13], off
	s_and_saveexec_b64 s[2:3], s[0:1]
	s_cbranch_execz .LBB39_131
; %bb.130:
	ds_read_b64 v[2:3], v5
	v_mov_b32_e32 v9, v7
	v_lshl_add_u64 v[0:1], v[0:1], 0, v[8:9]
	s_waitcnt lgkmcnt(0)
	v_lshl_add_u64 v[0:1], v[0:1], 0, v[2:3]
	global_store_dwordx2 v6, v[0:1], s[30:31]
.LBB39_131:
	s_endpgm
	.section	.rodata,"a",@progbits
	.p2align	6, 0x0
	.amdhsa_kernel _ZN7rocprim17ROCPRIM_304000_NS6detail25onesweep_iteration_kernelINS1_34wrapped_radix_sort_onesweep_configINS0_14default_configEaN2at4cuda3cub6detail10OpaqueTypeILi8EEEEELb1EPaSC_PSA_SD_mNS0_19identity_decomposerEEEvT1_T2_T3_T4_jPT5_SK_PNS1_23onesweep_lookback_stateET6_jjj
		.amdhsa_group_segment_fixed_size 26624
		.amdhsa_private_segment_fixed_size 0
		.amdhsa_kernarg_size 336
		.amdhsa_user_sgpr_count 2
		.amdhsa_user_sgpr_dispatch_ptr 0
		.amdhsa_user_sgpr_queue_ptr 0
		.amdhsa_user_sgpr_kernarg_segment_ptr 1
		.amdhsa_user_sgpr_dispatch_id 0
		.amdhsa_user_sgpr_kernarg_preload_length 0
		.amdhsa_user_sgpr_kernarg_preload_offset 0
		.amdhsa_user_sgpr_private_segment_size 0
		.amdhsa_uses_dynamic_stack 0
		.amdhsa_enable_private_segment 0
		.amdhsa_system_sgpr_workgroup_id_x 1
		.amdhsa_system_sgpr_workgroup_id_y 0
		.amdhsa_system_sgpr_workgroup_id_z 0
		.amdhsa_system_sgpr_workgroup_info 0
		.amdhsa_system_vgpr_workitem_id 2
		.amdhsa_next_free_vgpr 39
		.amdhsa_next_free_sgpr 51
		.amdhsa_accum_offset 40
		.amdhsa_reserve_vcc 1
		.amdhsa_float_round_mode_32 0
		.amdhsa_float_round_mode_16_64 0
		.amdhsa_float_denorm_mode_32 3
		.amdhsa_float_denorm_mode_16_64 3
		.amdhsa_dx10_clamp 1
		.amdhsa_ieee_mode 1
		.amdhsa_fp16_overflow 0
		.amdhsa_tg_split 0
		.amdhsa_exception_fp_ieee_invalid_op 0
		.amdhsa_exception_fp_denorm_src 0
		.amdhsa_exception_fp_ieee_div_zero 0
		.amdhsa_exception_fp_ieee_overflow 0
		.amdhsa_exception_fp_ieee_underflow 0
		.amdhsa_exception_fp_ieee_inexact 0
		.amdhsa_exception_int_div_zero 0
	.end_amdhsa_kernel
	.section	.text._ZN7rocprim17ROCPRIM_304000_NS6detail25onesweep_iteration_kernelINS1_34wrapped_radix_sort_onesweep_configINS0_14default_configEaN2at4cuda3cub6detail10OpaqueTypeILi8EEEEELb1EPaSC_PSA_SD_mNS0_19identity_decomposerEEEvT1_T2_T3_T4_jPT5_SK_PNS1_23onesweep_lookback_stateET6_jjj,"axG",@progbits,_ZN7rocprim17ROCPRIM_304000_NS6detail25onesweep_iteration_kernelINS1_34wrapped_radix_sort_onesweep_configINS0_14default_configEaN2at4cuda3cub6detail10OpaqueTypeILi8EEEEELb1EPaSC_PSA_SD_mNS0_19identity_decomposerEEEvT1_T2_T3_T4_jPT5_SK_PNS1_23onesweep_lookback_stateET6_jjj,comdat
.Lfunc_end39:
	.size	_ZN7rocprim17ROCPRIM_304000_NS6detail25onesweep_iteration_kernelINS1_34wrapped_radix_sort_onesweep_configINS0_14default_configEaN2at4cuda3cub6detail10OpaqueTypeILi8EEEEELb1EPaSC_PSA_SD_mNS0_19identity_decomposerEEEvT1_T2_T3_T4_jPT5_SK_PNS1_23onesweep_lookback_stateET6_jjj, .Lfunc_end39-_ZN7rocprim17ROCPRIM_304000_NS6detail25onesweep_iteration_kernelINS1_34wrapped_radix_sort_onesweep_configINS0_14default_configEaN2at4cuda3cub6detail10OpaqueTypeILi8EEEEELb1EPaSC_PSA_SD_mNS0_19identity_decomposerEEEvT1_T2_T3_T4_jPT5_SK_PNS1_23onesweep_lookback_stateET6_jjj
                                        ; -- End function
	.set _ZN7rocprim17ROCPRIM_304000_NS6detail25onesweep_iteration_kernelINS1_34wrapped_radix_sort_onesweep_configINS0_14default_configEaN2at4cuda3cub6detail10OpaqueTypeILi8EEEEELb1EPaSC_PSA_SD_mNS0_19identity_decomposerEEEvT1_T2_T3_T4_jPT5_SK_PNS1_23onesweep_lookback_stateET6_jjj.num_vgpr, 39
	.set _ZN7rocprim17ROCPRIM_304000_NS6detail25onesweep_iteration_kernelINS1_34wrapped_radix_sort_onesweep_configINS0_14default_configEaN2at4cuda3cub6detail10OpaqueTypeILi8EEEEELb1EPaSC_PSA_SD_mNS0_19identity_decomposerEEEvT1_T2_T3_T4_jPT5_SK_PNS1_23onesweep_lookback_stateET6_jjj.num_agpr, 0
	.set _ZN7rocprim17ROCPRIM_304000_NS6detail25onesweep_iteration_kernelINS1_34wrapped_radix_sort_onesweep_configINS0_14default_configEaN2at4cuda3cub6detail10OpaqueTypeILi8EEEEELb1EPaSC_PSA_SD_mNS0_19identity_decomposerEEEvT1_T2_T3_T4_jPT5_SK_PNS1_23onesweep_lookback_stateET6_jjj.numbered_sgpr, 51
	.set _ZN7rocprim17ROCPRIM_304000_NS6detail25onesweep_iteration_kernelINS1_34wrapped_radix_sort_onesweep_configINS0_14default_configEaN2at4cuda3cub6detail10OpaqueTypeILi8EEEEELb1EPaSC_PSA_SD_mNS0_19identity_decomposerEEEvT1_T2_T3_T4_jPT5_SK_PNS1_23onesweep_lookback_stateET6_jjj.num_named_barrier, 0
	.set _ZN7rocprim17ROCPRIM_304000_NS6detail25onesweep_iteration_kernelINS1_34wrapped_radix_sort_onesweep_configINS0_14default_configEaN2at4cuda3cub6detail10OpaqueTypeILi8EEEEELb1EPaSC_PSA_SD_mNS0_19identity_decomposerEEEvT1_T2_T3_T4_jPT5_SK_PNS1_23onesweep_lookback_stateET6_jjj.private_seg_size, 0
	.set _ZN7rocprim17ROCPRIM_304000_NS6detail25onesweep_iteration_kernelINS1_34wrapped_radix_sort_onesweep_configINS0_14default_configEaN2at4cuda3cub6detail10OpaqueTypeILi8EEEEELb1EPaSC_PSA_SD_mNS0_19identity_decomposerEEEvT1_T2_T3_T4_jPT5_SK_PNS1_23onesweep_lookback_stateET6_jjj.uses_vcc, 1
	.set _ZN7rocprim17ROCPRIM_304000_NS6detail25onesweep_iteration_kernelINS1_34wrapped_radix_sort_onesweep_configINS0_14default_configEaN2at4cuda3cub6detail10OpaqueTypeILi8EEEEELb1EPaSC_PSA_SD_mNS0_19identity_decomposerEEEvT1_T2_T3_T4_jPT5_SK_PNS1_23onesweep_lookback_stateET6_jjj.uses_flat_scratch, 0
	.set _ZN7rocprim17ROCPRIM_304000_NS6detail25onesweep_iteration_kernelINS1_34wrapped_radix_sort_onesweep_configINS0_14default_configEaN2at4cuda3cub6detail10OpaqueTypeILi8EEEEELb1EPaSC_PSA_SD_mNS0_19identity_decomposerEEEvT1_T2_T3_T4_jPT5_SK_PNS1_23onesweep_lookback_stateET6_jjj.has_dyn_sized_stack, 0
	.set _ZN7rocprim17ROCPRIM_304000_NS6detail25onesweep_iteration_kernelINS1_34wrapped_radix_sort_onesweep_configINS0_14default_configEaN2at4cuda3cub6detail10OpaqueTypeILi8EEEEELb1EPaSC_PSA_SD_mNS0_19identity_decomposerEEEvT1_T2_T3_T4_jPT5_SK_PNS1_23onesweep_lookback_stateET6_jjj.has_recursion, 0
	.set _ZN7rocprim17ROCPRIM_304000_NS6detail25onesweep_iteration_kernelINS1_34wrapped_radix_sort_onesweep_configINS0_14default_configEaN2at4cuda3cub6detail10OpaqueTypeILi8EEEEELb1EPaSC_PSA_SD_mNS0_19identity_decomposerEEEvT1_T2_T3_T4_jPT5_SK_PNS1_23onesweep_lookback_stateET6_jjj.has_indirect_call, 0
	.section	.AMDGPU.csdata,"",@progbits
; Kernel info:
; codeLenInByte = 11016
; TotalNumSgprs: 57
; NumVgprs: 39
; NumAgprs: 0
; TotalNumVgprs: 39
; ScratchSize: 0
; MemoryBound: 0
; FloatMode: 240
; IeeeMode: 1
; LDSByteSize: 26624 bytes/workgroup (compile time only)
; SGPRBlocks: 7
; VGPRBlocks: 4
; NumSGPRsForWavesPerEU: 57
; NumVGPRsForWavesPerEU: 39
; AccumOffset: 40
; Occupancy: 8
; WaveLimiterHint : 1
; COMPUTE_PGM_RSRC2:SCRATCH_EN: 0
; COMPUTE_PGM_RSRC2:USER_SGPR: 2
; COMPUTE_PGM_RSRC2:TRAP_HANDLER: 0
; COMPUTE_PGM_RSRC2:TGID_X_EN: 1
; COMPUTE_PGM_RSRC2:TGID_Y_EN: 0
; COMPUTE_PGM_RSRC2:TGID_Z_EN: 0
; COMPUTE_PGM_RSRC2:TIDIG_COMP_CNT: 2
; COMPUTE_PGM_RSRC3_GFX90A:ACCUM_OFFSET: 9
; COMPUTE_PGM_RSRC3_GFX90A:TG_SPLIT: 0
	.section	.text._ZN7rocprim17ROCPRIM_304000_NS6detail28radix_sort_block_sort_kernelINS1_36wrapped_radix_sort_block_sort_configINS0_13kernel_configILj256ELj4ELj4294967295EEEaN2at4cuda3cub6detail10OpaqueTypeILi8EEEEELb0EPKaPaPKSB_PSB_NS0_19identity_decomposerEEEvT1_T2_T3_T4_jT5_jj,"axG",@progbits,_ZN7rocprim17ROCPRIM_304000_NS6detail28radix_sort_block_sort_kernelINS1_36wrapped_radix_sort_block_sort_configINS0_13kernel_configILj256ELj4ELj4294967295EEEaN2at4cuda3cub6detail10OpaqueTypeILi8EEEEELb0EPKaPaPKSB_PSB_NS0_19identity_decomposerEEEvT1_T2_T3_T4_jT5_jj,comdat
	.protected	_ZN7rocprim17ROCPRIM_304000_NS6detail28radix_sort_block_sort_kernelINS1_36wrapped_radix_sort_block_sort_configINS0_13kernel_configILj256ELj4ELj4294967295EEEaN2at4cuda3cub6detail10OpaqueTypeILi8EEEEELb0EPKaPaPKSB_PSB_NS0_19identity_decomposerEEEvT1_T2_T3_T4_jT5_jj ; -- Begin function _ZN7rocprim17ROCPRIM_304000_NS6detail28radix_sort_block_sort_kernelINS1_36wrapped_radix_sort_block_sort_configINS0_13kernel_configILj256ELj4ELj4294967295EEEaN2at4cuda3cub6detail10OpaqueTypeILi8EEEEELb0EPKaPaPKSB_PSB_NS0_19identity_decomposerEEEvT1_T2_T3_T4_jT5_jj
	.globl	_ZN7rocprim17ROCPRIM_304000_NS6detail28radix_sort_block_sort_kernelINS1_36wrapped_radix_sort_block_sort_configINS0_13kernel_configILj256ELj4ELj4294967295EEEaN2at4cuda3cub6detail10OpaqueTypeILi8EEEEELb0EPKaPaPKSB_PSB_NS0_19identity_decomposerEEEvT1_T2_T3_T4_jT5_jj
	.p2align	8
	.type	_ZN7rocprim17ROCPRIM_304000_NS6detail28radix_sort_block_sort_kernelINS1_36wrapped_radix_sort_block_sort_configINS0_13kernel_configILj256ELj4ELj4294967295EEEaN2at4cuda3cub6detail10OpaqueTypeILi8EEEEELb0EPKaPaPKSB_PSB_NS0_19identity_decomposerEEEvT1_T2_T3_T4_jT5_jj,@function
_ZN7rocprim17ROCPRIM_304000_NS6detail28radix_sort_block_sort_kernelINS1_36wrapped_radix_sort_block_sort_configINS0_13kernel_configILj256ELj4ELj4294967295EEEaN2at4cuda3cub6detail10OpaqueTypeILi8EEEEELb0EPKaPaPKSB_PSB_NS0_19identity_decomposerEEEvT1_T2_T3_T4_jT5_jj: ; @_ZN7rocprim17ROCPRIM_304000_NS6detail28radix_sort_block_sort_kernelINS1_36wrapped_radix_sort_block_sort_configINS0_13kernel_configILj256ELj4ELj4294967295EEEaN2at4cuda3cub6detail10OpaqueTypeILi8EEEEELb0EPKaPaPKSB_PSB_NS0_19identity_decomposerEEEvT1_T2_T3_T4_jT5_jj
; %bb.0:
	s_load_dword s4, s[0:1], 0x20
	s_load_dwordx8 s[36:43], s[0:1], 0x0
	s_lshl_b32 s28, s2, 10
	v_and_b32_e32 v8, 0x3ff, v0
	v_mbcnt_lo_u32_b32 v1, -1, 0
	s_waitcnt lgkmcnt(0)
	s_lshr_b32 s3, s4, 10
	s_cmp_lg_u32 s2, s3
	s_cselect_b64 s[30:31], -1, 0
	s_add_u32 s6, s36, s28
	s_addc_u32 s7, s37, 0
	v_mbcnt_hi_u32_b32 v2, -1, v1
	v_lshlrev_b32_e32 v1, 2, v8
	v_mov_b32_e32 v3, 0
	v_and_b32_e32 v12, 0x300, v1
	v_lshl_add_u64 v[4:5], s[6:7], 0, v[2:3]
	v_mov_b32_e32 v13, v3
	s_mov_b32 s29, 0
	s_cmp_eq_u32 s2, s3
	v_lshl_add_u64 v[10:11], v[4:5], 0, v[12:13]
	v_lshlrev_b32_e32 v6, 3, v2
	v_lshlrev_b32_e32 v4, 3, v12
	v_add_u32_e32 v17, v2, v12
	s_cbranch_scc1 .LBB40_2
; %bb.1:
	s_lshl_b64 s[2:3], s[28:29], 3
	s_add_u32 s2, s40, s2
	s_addc_u32 s3, s41, s3
	v_mov_b32_e32 v7, v3
	v_lshl_add_u64 v[18:19], s[2:3], 0, v[6:7]
	v_mov_b32_e32 v5, v3
	v_lshl_add_u64 v[18:19], v[18:19], 0, v[4:5]
	global_load_ubyte v13, v[10:11], off offset:192
	global_load_ubyte v15, v[10:11], off offset:128
	;; [unrolled: 1-line block ×3, first 2 shown]
	global_load_ubyte v16, v[10:11], off
	global_load_dwordx2 v[36:37], v[18:19], off
	global_load_dwordx2 v[38:39], v[18:19], off offset:512
	global_load_dwordx2 v[42:43], v[18:19], off offset:1024
	;; [unrolled: 1-line block ×3, first 2 shown]
	v_add_u32_e32 v22, v2, v12
	v_add_u32_e32 v9, 64, v22
	;; [unrolled: 1-line block ×4, first 2 shown]
	s_sub_i32 s33, s4, s28
	s_cbranch_execz .LBB40_3
	s_branch .LBB40_17
.LBB40_2:
                                        ; implicit-def: $vgpr16
                                        ; implicit-def: $vgpr14
                                        ; implicit-def: $vgpr15
                                        ; implicit-def: $vgpr13
                                        ; implicit-def: $vgpr36_vgpr37
                                        ; implicit-def: $vgpr38_vgpr39
                                        ; implicit-def: $vgpr42_vgpr43
                                        ; implicit-def: $vgpr44_vgpr45
                                        ; implicit-def: $vgpr22
                                        ; implicit-def: $vgpr9
                                        ; implicit-def: $vgpr20
                                        ; implicit-def: $vgpr21
	s_sub_i32 s33, s4, s28
.LBB40_3:
	v_cmp_gt_u32_e32 vcc, s33, v17
	s_waitcnt vmcnt(7)
	v_mov_b32_e32 v13, 0x7f
	s_waitcnt vmcnt(4)
	v_mov_b32_e32 v16, 0x7f
	v_mov_b32_e32 v14, 0x7f
	v_mov_b32_e32 v15, 0x7f
	s_and_saveexec_b64 s[2:3], vcc
	s_cbranch_execz .LBB40_5
; %bb.4:
	global_load_ubyte v16, v[10:11], off
	v_mov_b32_e32 v13, 0x7f
	v_mov_b32_e32 v14, 0x7f
	v_mov_b32_e32 v15, 0x7f
.LBB40_5:
	s_or_b64 exec, exec, s[2:3]
	v_add_u32_e32 v9, 64, v17
	v_cmp_gt_u32_e64 s[2:3], s33, v9
	s_and_saveexec_b64 s[4:5], s[2:3]
	s_cbranch_execz .LBB40_7
; %bb.6:
	global_load_ubyte v14, v[10:11], off offset:64
.LBB40_7:
	s_or_b64 exec, exec, s[4:5]
	v_add_u32_e32 v20, 0x80, v17
	v_cmp_gt_u32_e64 s[4:5], s33, v20
	s_and_saveexec_b64 s[6:7], s[4:5]
	s_cbranch_execz .LBB40_9
; %bb.8:
	global_load_ubyte v15, v[10:11], off offset:128
.LBB40_9:
	;; [unrolled: 8-line block ×3, first 2 shown]
	s_or_b64 exec, exec, s[8:9]
	s_lshl_b64 s[8:9], s[28:29], 3
	s_add_u32 s8, s40, s8
	s_addc_u32 s9, s41, s9
	v_mov_b32_e32 v7, 0
	v_lshl_add_u64 v[10:11], s[8:9], 0, v[6:7]
	v_mov_b32_e32 v5, v7
	v_lshl_add_u64 v[4:5], v[10:11], 0, v[4:5]
                                        ; implicit-def: $vgpr36_vgpr37
	s_and_saveexec_b64 s[8:9], vcc
	s_cbranch_execnz .LBB40_54
; %bb.12:
	s_or_b64 exec, exec, s[8:9]
                                        ; implicit-def: $vgpr38_vgpr39
	s_and_saveexec_b64 s[8:9], s[2:3]
	s_cbranch_execnz .LBB40_55
.LBB40_13:
	s_or_b64 exec, exec, s[8:9]
                                        ; implicit-def: $vgpr42_vgpr43
	s_and_saveexec_b64 s[2:3], s[4:5]
	s_cbranch_execnz .LBB40_56
.LBB40_14:
	s_or_b64 exec, exec, s[2:3]
                                        ; implicit-def: $vgpr44_vgpr45
	s_and_saveexec_b64 s[2:3], s[6:7]
	s_cbranch_execz .LBB40_16
.LBB40_15:
	global_load_dwordx2 v[44:45], v[4:5], off offset:1536
.LBB40_16:
	s_or_b64 exec, exec, s[2:3]
	v_mov_b32_e32 v22, v17
.LBB40_17:
	s_load_dwordx2 s[34:35], s[0:1], 0x28
	s_movk_i32 s2, 0x80
	s_load_dword s0, s[0:1], 0x3c
	s_waitcnt vmcnt(0)
	v_xor_b32_e32 v3, 0x80, v16
	v_xor_b32_sdwa v4, v14, s2 dst_sel:BYTE_1 dst_unused:UNUSED_PAD src0_sel:DWORD src1_sel:DWORD
	s_movk_i32 s1, 0xff
	v_bitop3_b16 v3, v3, v4, s1 bitop3:0xec
	v_xor_b32_e32 v4, 0x80, v15
	v_xor_b32_sdwa v5, v13, s2 dst_sel:BYTE_1 dst_unused:UNUSED_PAD src0_sel:DWORD src1_sel:DWORD
	v_lshlrev_b32_e32 v23, 2, v1
	v_bitop3_b16 v4, v4, v5, s1 bitop3:0xec
	v_lshlrev_b32_e32 v4, 16, v4
	v_or_b32_sdwa v25, v3, v4 dst_sel:DWORD dst_unused:UNUSED_PAD src0_sel:WORD_0 src1_sel:DWORD
	s_waitcnt lgkmcnt(0)
	s_lshr_b32 s1, s0, 16
	v_bfe_u32 v3, v0, 10, 10
	v_bfe_u32 v0, v0, 20, 10
	s_and_b32 s0, s0, 0xffff
	v_mad_u32_u24 v0, v0, s1, v3
	v_mad_u64_u32 v[4:5], s[0:1], v0, s0, v[8:9]
	v_lshrrev_b32_e32 v0, 4, v4
	v_and_b32_e32 v24, 0xffffffc, v0
	v_and_b32_e32 v0, 15, v2
	v_cmp_eq_u32_e64 s[0:1], 0, v0
	v_cmp_lt_u32_e64 s[2:3], 1, v0
	v_cmp_lt_u32_e64 s[4:5], 3, v0
	;; [unrolled: 1-line block ×3, first 2 shown]
	v_and_b32_e32 v0, 16, v2
	v_cmp_eq_u32_e64 s[8:9], 0, v0
	v_and_b32_e32 v0, 0x3c0, v8
	v_min_u32_e32 v0, 0xc0, v0
	v_or_b32_e32 v0, 63, v0
	v_cmp_eq_u32_e64 s[12:13], v8, v0
	v_subrev_co_u32_e64 v0, s[18:19], 1, v2
	v_and_b32_e32 v1, 64, v2
	v_cmp_lt_i32_e32 vcc, v0, v1
	s_mov_b32 s26, 0
	v_and_b32_e32 v1, 3, v2
	v_cndmask_b32_e32 v0, v0, v2, vcc
	v_lshlrev_b32_e32 v26, 2, v0
	v_lshrrev_b32_e32 v0, 4, v8
	v_cmp_lt_u32_e64 s[10:11], 31, v2
	v_and_b32_e32 v27, 60, v0
	v_mul_i32_i24_e32 v0, -12, v8
	v_cmp_eq_u32_e64 s[22:23], 0, v1
	v_cmp_lt_u32_e64 s[24:25], 1, v1
	v_mul_lo_u32 v1, v22, 7
	v_mul_lo_u32 v2, v9, 7
	;; [unrolled: 1-line block ×4, first 2 shown]
	s_mov_b32 s27, s26
	s_mov_b32 s40, s26
	;; [unrolled: 1-line block ×3, first 2 shown]
	s_add_i32 s36, s35, s34
	v_cmp_gt_u32_e64 s[14:15], 4, v8
	v_cmp_lt_u32_e64 s[16:17], 63, v8
	v_cmp_eq_u32_e64 s[20:21], 0, v8
	v_add_u32_e32 v28, -4, v27
	v_mov_b64_e32 v[14:15], s[26:27]
	v_mov_b64_e32 v[16:17], s[40:41]
	v_mov_b32_e32 v19, 0
	v_add_u32_e32 v29, v23, v0
	s_mov_b32 s37, 0xc0c0004
	v_add_u32_e32 v30, v22, v1
	v_add_u32_e32 v31, v9, v2
	;; [unrolled: 1-line block ×4, first 2 shown]
	s_branch .LBB40_19
.LBB40_18:                              ;   in Loop: Header=BB40_19 Depth=1
	s_andn2_b64 vcc, exec, s[26:27]
	s_mov_b32 s35, s40
	s_cbranch_vccz .LBB40_35
.LBB40_19:                              ; =>This Inner Loop Header: Depth=1
	s_min_u32 s26, s35, 8
	s_lshl_b32 s40, -1, s26
	v_lshrrev_b32_sdwa v0, s34, v25 dst_sel:DWORD dst_unused:UNUSED_PAD src0_sel:DWORD src1_sel:BYTE_0
	v_bitop3_b32 v2, v0, s40, v0 bitop3:0x30
	v_and_b32_e32 v18, 1, v2
	v_lshl_add_u64 v[0:1], v[18:19], 0, -1
	v_cmp_ne_u32_e32 vcc, 0, v18
	v_lshlrev_b32_e32 v3, 4, v2
	v_mov_b64_e32 v[12:13], v[36:37]
	v_xor_b32_e32 v1, vcc_hi, v1
	v_xor_b32_e32 v0, vcc_lo, v0
	v_and_b32_e32 v18, exec_hi, v1
	v_and_b32_e32 v34, exec_lo, v0
	v_lshlrev_b32_e32 v1, 30, v2
	v_mov_b32_e32 v0, v19
	v_cmp_gt_i64_e32 vcc, 0, v[0:1]
	v_not_b32_e32 v0, v1
	v_ashrrev_i32_e32 v0, 31, v0
	v_xor_b32_e32 v1, vcc_hi, v0
	v_xor_b32_e32 v0, vcc_lo, v0
	v_and_b32_e32 v18, v18, v1
	v_and_b32_e32 v34, v34, v0
	v_lshlrev_b32_e32 v1, 29, v2
	v_mov_b32_e32 v0, v19
	v_cmp_gt_i64_e32 vcc, 0, v[0:1]
	v_not_b32_e32 v0, v1
	v_ashrrev_i32_e32 v0, 31, v0
	v_xor_b32_e32 v1, vcc_hi, v0
	v_xor_b32_e32 v0, vcc_lo, v0
	v_and_b32_e32 v18, v18, v1
	v_and_b32_e32 v34, v34, v0
	v_lshlrev_b32_e32 v1, 28, v2
	v_mov_b32_e32 v0, v19
	v_cmp_gt_i64_e32 vcc, 0, v[0:1]
	v_not_b32_e32 v0, v1
	v_ashrrev_i32_e32 v0, 31, v0
	v_xor_b32_e32 v1, vcc_hi, v0
	v_xor_b32_e32 v0, vcc_lo, v0
	v_and_b32_e32 v18, v18, v1
	v_and_b32_e32 v34, v34, v0
	v_lshlrev_b32_e32 v1, 27, v2
	v_mov_b32_e32 v0, v19
	v_cmp_gt_i64_e32 vcc, 0, v[0:1]
	v_not_b32_e32 v0, v1
	v_ashrrev_i32_e32 v0, 31, v0
	v_xor_b32_e32 v1, vcc_hi, v0
	v_xor_b32_e32 v0, vcc_lo, v0
	v_and_b32_e32 v18, v18, v1
	v_and_b32_e32 v34, v34, v0
	v_lshlrev_b32_e32 v1, 26, v2
	v_mov_b32_e32 v0, v19
	v_cmp_gt_i64_e32 vcc, 0, v[0:1]
	v_not_b32_e32 v0, v1
	v_ashrrev_i32_e32 v0, 31, v0
	v_xor_b32_e32 v1, vcc_hi, v0
	v_xor_b32_e32 v0, vcc_lo, v0
	v_and_b32_e32 v18, v18, v1
	v_and_b32_e32 v34, v34, v0
	v_lshlrev_b32_e32 v1, 25, v2
	v_mov_b32_e32 v0, v19
	v_cmp_gt_i64_e32 vcc, 0, v[0:1]
	v_not_b32_e32 v0, v1
	v_ashrrev_i32_e32 v0, 31, v0
	v_xor_b32_e32 v1, vcc_hi, v0
	v_xor_b32_e32 v0, vcc_lo, v0
	v_and_b32_e32 v18, v18, v1
	v_and_b32_e32 v34, v34, v0
	v_lshlrev_b32_e32 v1, 24, v2
	v_mov_b32_e32 v0, v19
	v_cmp_gt_i64_e32 vcc, 0, v[0:1]
	v_not_b32_e32 v0, v1
	v_ashrrev_i32_e32 v0, 31, v0
	v_xor_b32_e32 v1, vcc_hi, v0
	v_xor_b32_e32 v0, vcc_lo, v0
	v_and_b32_e32 v0, v34, v0
	v_and_b32_e32 v1, v18, v1
	v_mbcnt_lo_u32_b32 v2, v0, 0
	v_mbcnt_hi_u32_b32 v34, v1, v2
	v_cmp_eq_u32_e32 vcc, 0, v34
	v_cmp_ne_u64_e64 s[26:27], 0, v[0:1]
	v_mov_b64_e32 v[10:11], v[38:39]
	v_mov_b64_e32 v[6:7], v[42:43]
	;; [unrolled: 1-line block ×3, first 2 shown]
	s_and_b64 s[44:45], s[26:27], vcc
	v_add_u32_e32 v35, v24, v3
	ds_write2_b64 v23, v[14:15], v[16:17] offset0:2 offset1:3
	s_waitcnt lgkmcnt(0)
	s_barrier
	; wave barrier
	s_and_saveexec_b64 s[26:27], s[44:45]
; %bb.20:                               ;   in Loop: Header=BB40_19 Depth=1
	v_bcnt_u32_b32 v0, v0, 0
	v_bcnt_u32_b32 v0, v1, v0
	ds_write_b32 v35, v0 offset:16
; %bb.21:                               ;   in Loop: Header=BB40_19 Depth=1
	s_or_b64 exec, exec, s[26:27]
	s_not_b32 s40, s40
	v_lshrrev_b32_sdwa v0, s34, v25 dst_sel:DWORD dst_unused:UNUSED_PAD src0_sel:DWORD src1_sel:BYTE_1
	v_and_b32_e32 v2, s40, v0
	v_lshlrev_b32_e32 v0, 4, v2
	v_and_b32_e32 v18, 1, v2
	v_add_u32_e32 v37, v24, v0
	v_lshl_add_u64 v[0:1], v[18:19], 0, -1
	v_cmp_ne_u32_e32 vcc, 0, v18
	; wave barrier
	s_nop 1
	v_xor_b32_e32 v1, vcc_hi, v1
	v_xor_b32_e32 v0, vcc_lo, v0
	v_and_b32_e32 v3, exec_hi, v1
	v_and_b32_e32 v18, exec_lo, v0
	v_lshlrev_b32_e32 v1, 30, v2
	v_mov_b32_e32 v0, v19
	v_cmp_gt_i64_e32 vcc, 0, v[0:1]
	v_not_b32_e32 v0, v1
	v_ashrrev_i32_e32 v0, 31, v0
	v_xor_b32_e32 v1, vcc_hi, v0
	v_xor_b32_e32 v0, vcc_lo, v0
	v_and_b32_e32 v3, v3, v1
	v_and_b32_e32 v18, v18, v0
	v_lshlrev_b32_e32 v1, 29, v2
	v_mov_b32_e32 v0, v19
	v_cmp_gt_i64_e32 vcc, 0, v[0:1]
	v_not_b32_e32 v0, v1
	v_ashrrev_i32_e32 v0, 31, v0
	v_xor_b32_e32 v1, vcc_hi, v0
	v_xor_b32_e32 v0, vcc_lo, v0
	v_and_b32_e32 v3, v3, v1
	v_and_b32_e32 v18, v18, v0
	;; [unrolled: 9-line block ×6, first 2 shown]
	v_lshlrev_b32_e32 v1, 24, v2
	v_mov_b32_e32 v0, v19
	v_cmp_gt_i64_e32 vcc, 0, v[0:1]
	v_not_b32_e32 v0, v1
	v_ashrrev_i32_e32 v0, 31, v0
	v_xor_b32_e32 v1, vcc_hi, v0
	v_xor_b32_e32 v0, vcc_lo, v0
	ds_read_b32 v36, v37 offset:16
	v_and_b32_e32 v0, v18, v0
	v_and_b32_e32 v1, v3, v1
	v_mbcnt_lo_u32_b32 v2, v0, 0
	v_mbcnt_hi_u32_b32 v38, v1, v2
	v_cmp_eq_u32_e32 vcc, 0, v38
	v_cmp_ne_u64_e64 s[26:27], 0, v[0:1]
	s_and_b64 s[44:45], s[26:27], vcc
	; wave barrier
	s_and_saveexec_b64 s[26:27], s[44:45]
	s_cbranch_execz .LBB40_23
; %bb.22:                               ;   in Loop: Header=BB40_19 Depth=1
	v_bcnt_u32_b32 v0, v0, 0
	v_bcnt_u32_b32 v0, v1, v0
	s_waitcnt lgkmcnt(0)
	v_add_u32_e32 v0, v36, v0
	ds_write_b32 v37, v0 offset:16
.LBB40_23:                              ;   in Loop: Header=BB40_19 Depth=1
	s_or_b64 exec, exec, s[26:27]
	v_lshrrev_b32_sdwa v0, s34, v25 dst_sel:DWORD dst_unused:UNUSED_PAD src0_sel:DWORD src1_sel:BYTE_2
	v_and_b32_e32 v2, s40, v0
	v_lshlrev_b32_e32 v0, 4, v2
	v_and_b32_e32 v18, 1, v2
	v_add_u32_e32 v40, v24, v0
	v_lshl_add_u64 v[0:1], v[18:19], 0, -1
	v_cmp_ne_u32_e32 vcc, 0, v18
	; wave barrier
	s_nop 1
	v_xor_b32_e32 v1, vcc_hi, v1
	v_xor_b32_e32 v0, vcc_lo, v0
	v_and_b32_e32 v3, exec_hi, v1
	v_and_b32_e32 v18, exec_lo, v0
	v_lshlrev_b32_e32 v1, 30, v2
	v_mov_b32_e32 v0, v19
	v_cmp_gt_i64_e32 vcc, 0, v[0:1]
	v_not_b32_e32 v0, v1
	v_ashrrev_i32_e32 v0, 31, v0
	v_xor_b32_e32 v1, vcc_hi, v0
	v_xor_b32_e32 v0, vcc_lo, v0
	v_and_b32_e32 v3, v3, v1
	v_and_b32_e32 v18, v18, v0
	v_lshlrev_b32_e32 v1, 29, v2
	v_mov_b32_e32 v0, v19
	v_cmp_gt_i64_e32 vcc, 0, v[0:1]
	v_not_b32_e32 v0, v1
	v_ashrrev_i32_e32 v0, 31, v0
	v_xor_b32_e32 v1, vcc_hi, v0
	v_xor_b32_e32 v0, vcc_lo, v0
	v_and_b32_e32 v3, v3, v1
	v_and_b32_e32 v18, v18, v0
	;; [unrolled: 9-line block ×6, first 2 shown]
	v_lshlrev_b32_e32 v1, 24, v2
	v_mov_b32_e32 v0, v19
	v_cmp_gt_i64_e32 vcc, 0, v[0:1]
	v_not_b32_e32 v0, v1
	v_ashrrev_i32_e32 v0, 31, v0
	v_xor_b32_e32 v1, vcc_hi, v0
	v_xor_b32_e32 v0, vcc_lo, v0
	ds_read_b32 v39, v40 offset:16
	v_and_b32_e32 v0, v18, v0
	v_and_b32_e32 v1, v3, v1
	v_mbcnt_lo_u32_b32 v2, v0, 0
	v_mbcnt_hi_u32_b32 v42, v1, v2
	v_cmp_eq_u32_e32 vcc, 0, v42
	v_cmp_ne_u64_e64 s[26:27], 0, v[0:1]
	s_and_b64 s[44:45], s[26:27], vcc
	; wave barrier
	s_and_saveexec_b64 s[26:27], s[44:45]
	s_cbranch_execz .LBB40_25
; %bb.24:                               ;   in Loop: Header=BB40_19 Depth=1
	v_bcnt_u32_b32 v0, v0, 0
	v_bcnt_u32_b32 v0, v1, v0
	s_waitcnt lgkmcnt(0)
	v_add_u32_e32 v0, v39, v0
	ds_write_b32 v40, v0 offset:16
.LBB40_25:                              ;   in Loop: Header=BB40_19 Depth=1
	s_or_b64 exec, exec, s[26:27]
	v_lshrrev_b32_e32 v41, 24, v25
	v_lshrrev_b32_e32 v0, s34, v41
	v_and_b32_e32 v2, s40, v0
	v_lshlrev_b32_e32 v0, 4, v2
	v_and_b32_e32 v18, 1, v2
	v_add_u32_e32 v44, v24, v0
	v_lshl_add_u64 v[0:1], v[18:19], 0, -1
	v_cmp_ne_u32_e32 vcc, 0, v18
	; wave barrier
	s_nop 1
	v_xor_b32_e32 v1, vcc_hi, v1
	v_xor_b32_e32 v0, vcc_lo, v0
	v_and_b32_e32 v3, exec_hi, v1
	v_and_b32_e32 v18, exec_lo, v0
	v_lshlrev_b32_e32 v1, 30, v2
	v_mov_b32_e32 v0, v19
	v_cmp_gt_i64_e32 vcc, 0, v[0:1]
	v_not_b32_e32 v0, v1
	v_ashrrev_i32_e32 v0, 31, v0
	v_xor_b32_e32 v1, vcc_hi, v0
	v_xor_b32_e32 v0, vcc_lo, v0
	v_and_b32_e32 v3, v3, v1
	v_and_b32_e32 v18, v18, v0
	v_lshlrev_b32_e32 v1, 29, v2
	v_mov_b32_e32 v0, v19
	v_cmp_gt_i64_e32 vcc, 0, v[0:1]
	v_not_b32_e32 v0, v1
	v_ashrrev_i32_e32 v0, 31, v0
	v_xor_b32_e32 v1, vcc_hi, v0
	v_xor_b32_e32 v0, vcc_lo, v0
	v_and_b32_e32 v3, v3, v1
	v_and_b32_e32 v18, v18, v0
	;; [unrolled: 9-line block ×6, first 2 shown]
	v_lshlrev_b32_e32 v1, 24, v2
	v_mov_b32_e32 v0, v19
	v_cmp_gt_i64_e32 vcc, 0, v[0:1]
	v_not_b32_e32 v0, v1
	v_ashrrev_i32_e32 v0, 31, v0
	v_xor_b32_e32 v1, vcc_hi, v0
	v_xor_b32_e32 v0, vcc_lo, v0
	ds_read_b32 v43, v44 offset:16
	v_and_b32_e32 v0, v18, v0
	v_and_b32_e32 v1, v3, v1
	v_mbcnt_lo_u32_b32 v2, v0, 0
	v_mbcnt_hi_u32_b32 v45, v1, v2
	v_cmp_eq_u32_e32 vcc, 0, v45
	v_cmp_ne_u64_e64 s[26:27], 0, v[0:1]
	s_and_b64 s[40:41], s[26:27], vcc
	; wave barrier
	s_and_saveexec_b64 s[26:27], s[40:41]
	s_cbranch_execz .LBB40_27
; %bb.26:                               ;   in Loop: Header=BB40_19 Depth=1
	v_bcnt_u32_b32 v0, v0, 0
	v_bcnt_u32_b32 v0, v1, v0
	s_waitcnt lgkmcnt(0)
	v_add_u32_e32 v0, v43, v0
	ds_write_b32 v44, v0 offset:16
.LBB40_27:                              ;   in Loop: Header=BB40_19 Depth=1
	s_or_b64 exec, exec, s[26:27]
	; wave barrier
	s_waitcnt lgkmcnt(0)
	s_barrier
	ds_read2_b64 v[0:3], v23 offset0:2 offset1:3
	s_waitcnt lgkmcnt(0)
	v_add_u32_e32 v18, v1, v0
	v_add3_u32 v3, v18, v2, v3
	s_nop 1
	v_mov_b32_dpp v18, v3 row_shr:1 row_mask:0xf bank_mask:0xf
	v_cndmask_b32_e64 v18, v18, 0, s[0:1]
	v_add_u32_e32 v3, v18, v3
	s_nop 1
	v_mov_b32_dpp v18, v3 row_shr:2 row_mask:0xf bank_mask:0xf
	v_cndmask_b32_e64 v18, 0, v18, s[2:3]
	v_add_u32_e32 v3, v3, v18
	;; [unrolled: 4-line block ×4, first 2 shown]
	s_nop 1
	v_mov_b32_dpp v18, v3 row_bcast:15 row_mask:0xf bank_mask:0xf
	v_cndmask_b32_e64 v18, v18, 0, s[8:9]
	v_add_u32_e32 v3, v3, v18
	s_nop 1
	v_mov_b32_dpp v18, v3 row_bcast:31 row_mask:0xf bank_mask:0xf
	v_cndmask_b32_e64 v18, 0, v18, s[10:11]
	v_add_u32_e32 v3, v3, v18
	s_and_saveexec_b64 s[26:27], s[12:13]
; %bb.28:                               ;   in Loop: Header=BB40_19 Depth=1
	ds_write_b32 v27, v3
; %bb.29:                               ;   in Loop: Header=BB40_19 Depth=1
	s_or_b64 exec, exec, s[26:27]
	s_waitcnt lgkmcnt(0)
	s_barrier
	s_and_saveexec_b64 s[26:27], s[14:15]
	s_cbranch_execz .LBB40_31
; %bb.30:                               ;   in Loop: Header=BB40_19 Depth=1
	ds_read_b32 v18, v29
	s_waitcnt lgkmcnt(0)
	s_nop 0
	v_mov_b32_dpp v46, v18 row_shr:1 row_mask:0xf bank_mask:0xf
	v_cndmask_b32_e64 v46, v46, 0, s[22:23]
	v_add_u32_e32 v18, v46, v18
	s_nop 1
	v_mov_b32_dpp v46, v18 row_shr:2 row_mask:0xf bank_mask:0xf
	v_cndmask_b32_e64 v46, 0, v46, s[24:25]
	v_add_u32_e32 v18, v18, v46
	ds_write_b32 v29, v18
.LBB40_31:                              ;   in Loop: Header=BB40_19 Depth=1
	s_or_b64 exec, exec, s[26:27]
	v_mov_b32_e32 v18, 0
	s_waitcnt lgkmcnt(0)
	s_barrier
	s_and_saveexec_b64 s[26:27], s[16:17]
; %bb.32:                               ;   in Loop: Header=BB40_19 Depth=1
	ds_read_b32 v18, v28
; %bb.33:                               ;   in Loop: Header=BB40_19 Depth=1
	s_or_b64 exec, exec, s[26:27]
	s_waitcnt lgkmcnt(0)
	v_add_u32_e32 v3, v18, v3
	ds_bpermute_b32 v47, v26, v3
	s_add_i32 s34, s34, 8
	v_mov_b32_e32 v3, v25
	v_lshrrev_b32_e32 v46, 8, v25
	s_cmp_ge_u32 s34, s36
	s_waitcnt lgkmcnt(0)
	v_cndmask_b32_e64 v18, v47, v18, s[18:19]
	v_cndmask_b32_e64 v48, v18, 0, s[20:21]
	v_add_u32_e32 v49, v48, v0
	v_add_u32_e32 v0, v49, v1
	;; [unrolled: 1-line block ×3, first 2 shown]
	ds_write2_b64 v23, v[48:49], v[0:1] offset0:2 offset1:3
	s_waitcnt lgkmcnt(0)
	s_barrier
	ds_read_b32 v0, v35 offset:16
	ds_read_b32 v2, v37 offset:16
	;; [unrolled: 1-line block ×4, first 2 shown]
	v_lshrrev_b32_e32 v35, 16, v25
	s_waitcnt lgkmcnt(3)
	v_add_u32_e32 v1, v0, v34
	s_waitcnt lgkmcnt(2)
	v_add3_u32 v18, v38, v36, v2
	s_waitcnt lgkmcnt(1)
	v_add3_u32 v2, v42, v39, v37
	s_waitcnt lgkmcnt(0)
	v_add3_u32 v0, v45, v43, v40
	v_mul_lo_u32 v34, v1, 7
	s_mov_b64 s[26:27], -1
	v_readfirstlane_b32 s40, v0
                                        ; implicit-def: $vgpr36_vgpr37
                                        ; implicit-def: $vgpr38_vgpr39
                                        ; implicit-def: $vgpr42_vgpr43
                                        ; implicit-def: $vgpr44_vgpr45
	s_cbranch_scc1 .LBB40_18
; %bb.34:                               ;   in Loop: Header=BB40_19 Depth=1
	s_barrier
	ds_write_b8 v1, v25
	ds_write_b8 v18, v46
	;; [unrolled: 1-line block ×4, first 2 shown]
	s_waitcnt lgkmcnt(0)
	s_barrier
	ds_read_u8 v25, v9
	ds_read_u8 v36, v20
	ds_read_u8 v37, v22
	ds_read_u8 v38, v21
	s_waitcnt lgkmcnt(0)
	s_barrier
	v_perm_b32 v25, v37, v25, s37
	v_perm_b32 v36, v36, v38, s37
	v_lshl_or_b32 v25, v36, 16, v25
	v_add_u32_e32 v36, v1, v34
	ds_write_b64 v36, v[12:13]
	v_mad_u64_u32 v[36:37], s[26:27], v18, 7, v[18:19]
	ds_write_b64 v36, v[10:11]
	v_mad_u64_u32 v[36:37], s[26:27], v2, 7, v[2:3]
	;; [unrolled: 2-line block ×3, first 2 shown]
	ds_write_b64 v36, v[4:5]
	s_waitcnt lgkmcnt(0)
	s_barrier
	ds_read_b64 v[36:37], v30
	ds_read_b64 v[38:39], v31
	;; [unrolled: 1-line block ×4, first 2 shown]
	s_add_i32 s40, s35, -8
	s_mov_b64 s[26:27], 0
	s_waitcnt lgkmcnt(0)
	s_barrier
	s_branch .LBB40_18
.LBB40_35:
	s_barrier
	ds_write_b8 v1, v3
	ds_write_b8 v18, v46
	;; [unrolled: 1-line block ×4, first 2 shown]
	s_waitcnt lgkmcnt(0)
	s_barrier
	ds_read_u8 v9, v8
	ds_read_u8 v14, v8 offset:256
	ds_read_u8 v15, v8 offset:512
	;; [unrolled: 1-line block ×3, first 2 shown]
	v_add_u32_e32 v1, v1, v34
	s_waitcnt lgkmcnt(0)
	s_barrier
	ds_write_b64 v1, v[12:13]
	v_mad_u64_u32 v[12:13], s[0:1], v18, 7, v[18:19]
	v_mad_u64_u32 v[2:3], s[0:1], v2, 7, v[2:3]
	;; [unrolled: 1-line block ×3, first 2 shown]
	ds_write_b64 v12, v[10:11]
	ds_write_b64 v2, v[6:7]
	;; [unrolled: 1-line block ×3, first 2 shown]
	v_mad_u32_u24 v0, v8, 7, v8
	s_waitcnt lgkmcnt(0)
	s_barrier
	ds_read2st64_b64 v[4:7], v0 offset1:4
	ds_read2st64_b64 v[0:3], v0 offset0:8 offset1:12
	s_add_u32 s0, s38, s28
	v_xor_b32_e32 v17, 0xffffff80, v9
	s_addc_u32 s1, s39, 0
	v_mov_b32_e32 v9, 0
	v_xor_b32_e32 v16, 0xffffff80, v14
	v_xor_b32_e32 v15, 0xffffff80, v15
	;; [unrolled: 1-line block ×3, first 2 shown]
	v_lshl_add_u64 v[12:13], s[0:1], 0, v[8:9]
	s_andn2_b64 vcc, exec, s[30:31]
	v_lshlrev_b32_e32 v10, 3, v8
	s_cbranch_vccnz .LBB40_37
; %bb.36:
	s_lshl_b64 s[0:1], s[28:29], 3
	s_add_u32 s0, s42, s0
	s_addc_u32 s1, s43, s1
	v_mov_b32_e32 v11, v9
	v_lshl_add_u64 v[18:19], s[0:1], 0, v[10:11]
	v_add_co_u32_e32 v18, vcc, 0x1000, v18
	global_store_byte v[12:13], v17, off
	global_store_byte v[12:13], v16, off offset:256
	global_store_byte v[12:13], v15, off offset:512
	;; [unrolled: 1-line block ×3, first 2 shown]
	s_waitcnt lgkmcnt(1)
	global_store_dwordx2 v10, v[4:5], s[0:1]
	global_store_dwordx2 v10, v[6:7], s[0:1] offset:2048
	v_addc_co_u32_e32 v19, vcc, 0, v19, vcc
	s_mov_b64 s[4:5], -1
	s_waitcnt lgkmcnt(0)
	global_store_dwordx2 v[18:19], v[0:1], off
	s_cbranch_execz .LBB40_38
	s_branch .LBB40_51
.LBB40_37:
	s_mov_b64 s[4:5], 0
.LBB40_38:
	v_cmp_gt_u32_e32 vcc, s33, v8
	s_and_saveexec_b64 s[0:1], vcc
	s_cbranch_execz .LBB40_40
; %bb.39:
	global_store_byte v[12:13], v17, off
.LBB40_40:
	s_or_b64 exec, exec, s[0:1]
	v_add_u32_e32 v9, 0x100, v8
	v_cmp_gt_u32_e64 s[0:1], s33, v9
	s_and_saveexec_b64 s[2:3], s[0:1]
	s_cbranch_execz .LBB40_42
; %bb.41:
	global_store_byte v[12:13], v16, off offset:256
.LBB40_42:
	s_or_b64 exec, exec, s[2:3]
	v_add_u32_e32 v9, 0x200, v8
	v_cmp_gt_u32_e64 s[2:3], s33, v9
	s_and_saveexec_b64 s[4:5], s[2:3]
	s_cbranch_execz .LBB40_44
; %bb.43:
	global_store_byte v[12:13], v15, off offset:512
.LBB40_44:
	;; [unrolled: 8-line block ×3, first 2 shown]
	s_or_b64 exec, exec, s[6:7]
	s_lshl_b64 s[6:7], s[28:29], 3
	s_add_u32 s6, s42, s6
	s_addc_u32 s7, s43, s7
	v_mov_b32_e32 v11, 0
	v_lshl_add_u64 v[8:9], s[6:7], 0, v[10:11]
	s_and_saveexec_b64 s[6:7], vcc
	s_cbranch_execnz .LBB40_57
; %bb.47:
	s_or_b64 exec, exec, s[6:7]
	s_and_saveexec_b64 s[6:7], s[0:1]
	s_cbranch_execnz .LBB40_58
.LBB40_48:
	s_or_b64 exec, exec, s[6:7]
	s_and_saveexec_b64 s[0:1], s[2:3]
	s_cbranch_execz .LBB40_50
.LBB40_49:
	s_waitcnt lgkmcnt(1)
	v_add_co_u32_e32 v4, vcc, 0x1000, v8
	s_nop 1
	v_addc_co_u32_e32 v5, vcc, 0, v9, vcc
	s_waitcnt lgkmcnt(0)
	global_store_dwordx2 v[4:5], v[0:1], off
.LBB40_50:
	s_or_b64 exec, exec, s[0:1]
.LBB40_51:
	s_and_saveexec_b64 s[0:1], s[4:5]
	s_cbranch_execnz .LBB40_53
; %bb.52:
	s_endpgm
.LBB40_53:
	s_lshl_b64 s[0:1], s[28:29], 3
	s_add_u32 s0, s42, s0
	s_addc_u32 s1, s43, s1
	v_mov_b32_e32 v11, 0
	s_waitcnt lgkmcnt(0)
	v_lshl_add_u64 v[0:1], s[0:1], 0, v[10:11]
	v_add_co_u32_e32 v0, vcc, 0x1000, v0
	s_nop 1
	v_addc_co_u32_e32 v1, vcc, 0, v1, vcc
	global_store_dwordx2 v[0:1], v[2:3], off offset:2048
	s_endpgm
.LBB40_54:
	global_load_dwordx2 v[36:37], v[4:5], off
	s_or_b64 exec, exec, s[8:9]
                                        ; implicit-def: $vgpr38_vgpr39
	s_and_saveexec_b64 s[8:9], s[2:3]
	s_cbranch_execz .LBB40_13
.LBB40_55:
	global_load_dwordx2 v[38:39], v[4:5], off offset:512
	s_or_b64 exec, exec, s[8:9]
                                        ; implicit-def: $vgpr42_vgpr43
	s_and_saveexec_b64 s[2:3], s[4:5]
	s_cbranch_execz .LBB40_14
.LBB40_56:
	global_load_dwordx2 v[42:43], v[4:5], off offset:1024
	s_or_b64 exec, exec, s[2:3]
                                        ; implicit-def: $vgpr44_vgpr45
	s_and_saveexec_b64 s[2:3], s[6:7]
	s_cbranch_execnz .LBB40_15
	s_branch .LBB40_16
.LBB40_57:
	s_waitcnt lgkmcnt(1)
	global_store_dwordx2 v[8:9], v[4:5], off
	s_or_b64 exec, exec, s[6:7]
	s_and_saveexec_b64 s[6:7], s[0:1]
	s_cbranch_execz .LBB40_48
.LBB40_58:
	s_waitcnt lgkmcnt(1)
	global_store_dwordx2 v[8:9], v[6:7], off offset:2048
	s_or_b64 exec, exec, s[6:7]
	s_and_saveexec_b64 s[0:1], s[2:3]
	s_cbranch_execnz .LBB40_49
	s_branch .LBB40_50
	.section	.rodata,"a",@progbits
	.p2align	6, 0x0
	.amdhsa_kernel _ZN7rocprim17ROCPRIM_304000_NS6detail28radix_sort_block_sort_kernelINS1_36wrapped_radix_sort_block_sort_configINS0_13kernel_configILj256ELj4ELj4294967295EEEaN2at4cuda3cub6detail10OpaqueTypeILi8EEEEELb0EPKaPaPKSB_PSB_NS0_19identity_decomposerEEEvT1_T2_T3_T4_jT5_jj
		.amdhsa_group_segment_fixed_size 8192
		.amdhsa_private_segment_fixed_size 0
		.amdhsa_kernarg_size 304
		.amdhsa_user_sgpr_count 2
		.amdhsa_user_sgpr_dispatch_ptr 0
		.amdhsa_user_sgpr_queue_ptr 0
		.amdhsa_user_sgpr_kernarg_segment_ptr 1
		.amdhsa_user_sgpr_dispatch_id 0
		.amdhsa_user_sgpr_kernarg_preload_length 0
		.amdhsa_user_sgpr_kernarg_preload_offset 0
		.amdhsa_user_sgpr_private_segment_size 0
		.amdhsa_uses_dynamic_stack 0
		.amdhsa_enable_private_segment 0
		.amdhsa_system_sgpr_workgroup_id_x 1
		.amdhsa_system_sgpr_workgroup_id_y 0
		.amdhsa_system_sgpr_workgroup_id_z 0
		.amdhsa_system_sgpr_workgroup_info 0
		.amdhsa_system_vgpr_workitem_id 2
		.amdhsa_next_free_vgpr 50
		.amdhsa_next_free_sgpr 46
		.amdhsa_accum_offset 52
		.amdhsa_reserve_vcc 1
		.amdhsa_float_round_mode_32 0
		.amdhsa_float_round_mode_16_64 0
		.amdhsa_float_denorm_mode_32 3
		.amdhsa_float_denorm_mode_16_64 3
		.amdhsa_dx10_clamp 1
		.amdhsa_ieee_mode 1
		.amdhsa_fp16_overflow 0
		.amdhsa_tg_split 0
		.amdhsa_exception_fp_ieee_invalid_op 0
		.amdhsa_exception_fp_denorm_src 0
		.amdhsa_exception_fp_ieee_div_zero 0
		.amdhsa_exception_fp_ieee_overflow 0
		.amdhsa_exception_fp_ieee_underflow 0
		.amdhsa_exception_fp_ieee_inexact 0
		.amdhsa_exception_int_div_zero 0
	.end_amdhsa_kernel
	.section	.text._ZN7rocprim17ROCPRIM_304000_NS6detail28radix_sort_block_sort_kernelINS1_36wrapped_radix_sort_block_sort_configINS0_13kernel_configILj256ELj4ELj4294967295EEEaN2at4cuda3cub6detail10OpaqueTypeILi8EEEEELb0EPKaPaPKSB_PSB_NS0_19identity_decomposerEEEvT1_T2_T3_T4_jT5_jj,"axG",@progbits,_ZN7rocprim17ROCPRIM_304000_NS6detail28radix_sort_block_sort_kernelINS1_36wrapped_radix_sort_block_sort_configINS0_13kernel_configILj256ELj4ELj4294967295EEEaN2at4cuda3cub6detail10OpaqueTypeILi8EEEEELb0EPKaPaPKSB_PSB_NS0_19identity_decomposerEEEvT1_T2_T3_T4_jT5_jj,comdat
.Lfunc_end40:
	.size	_ZN7rocprim17ROCPRIM_304000_NS6detail28radix_sort_block_sort_kernelINS1_36wrapped_radix_sort_block_sort_configINS0_13kernel_configILj256ELj4ELj4294967295EEEaN2at4cuda3cub6detail10OpaqueTypeILi8EEEEELb0EPKaPaPKSB_PSB_NS0_19identity_decomposerEEEvT1_T2_T3_T4_jT5_jj, .Lfunc_end40-_ZN7rocprim17ROCPRIM_304000_NS6detail28radix_sort_block_sort_kernelINS1_36wrapped_radix_sort_block_sort_configINS0_13kernel_configILj256ELj4ELj4294967295EEEaN2at4cuda3cub6detail10OpaqueTypeILi8EEEEELb0EPKaPaPKSB_PSB_NS0_19identity_decomposerEEEvT1_T2_T3_T4_jT5_jj
                                        ; -- End function
	.set _ZN7rocprim17ROCPRIM_304000_NS6detail28radix_sort_block_sort_kernelINS1_36wrapped_radix_sort_block_sort_configINS0_13kernel_configILj256ELj4ELj4294967295EEEaN2at4cuda3cub6detail10OpaqueTypeILi8EEEEELb0EPKaPaPKSB_PSB_NS0_19identity_decomposerEEEvT1_T2_T3_T4_jT5_jj.num_vgpr, 50
	.set _ZN7rocprim17ROCPRIM_304000_NS6detail28radix_sort_block_sort_kernelINS1_36wrapped_radix_sort_block_sort_configINS0_13kernel_configILj256ELj4ELj4294967295EEEaN2at4cuda3cub6detail10OpaqueTypeILi8EEEEELb0EPKaPaPKSB_PSB_NS0_19identity_decomposerEEEvT1_T2_T3_T4_jT5_jj.num_agpr, 0
	.set _ZN7rocprim17ROCPRIM_304000_NS6detail28radix_sort_block_sort_kernelINS1_36wrapped_radix_sort_block_sort_configINS0_13kernel_configILj256ELj4ELj4294967295EEEaN2at4cuda3cub6detail10OpaqueTypeILi8EEEEELb0EPKaPaPKSB_PSB_NS0_19identity_decomposerEEEvT1_T2_T3_T4_jT5_jj.numbered_sgpr, 46
	.set _ZN7rocprim17ROCPRIM_304000_NS6detail28radix_sort_block_sort_kernelINS1_36wrapped_radix_sort_block_sort_configINS0_13kernel_configILj256ELj4ELj4294967295EEEaN2at4cuda3cub6detail10OpaqueTypeILi8EEEEELb0EPKaPaPKSB_PSB_NS0_19identity_decomposerEEEvT1_T2_T3_T4_jT5_jj.num_named_barrier, 0
	.set _ZN7rocprim17ROCPRIM_304000_NS6detail28radix_sort_block_sort_kernelINS1_36wrapped_radix_sort_block_sort_configINS0_13kernel_configILj256ELj4ELj4294967295EEEaN2at4cuda3cub6detail10OpaqueTypeILi8EEEEELb0EPKaPaPKSB_PSB_NS0_19identity_decomposerEEEvT1_T2_T3_T4_jT5_jj.private_seg_size, 0
	.set _ZN7rocprim17ROCPRIM_304000_NS6detail28radix_sort_block_sort_kernelINS1_36wrapped_radix_sort_block_sort_configINS0_13kernel_configILj256ELj4ELj4294967295EEEaN2at4cuda3cub6detail10OpaqueTypeILi8EEEEELb0EPKaPaPKSB_PSB_NS0_19identity_decomposerEEEvT1_T2_T3_T4_jT5_jj.uses_vcc, 1
	.set _ZN7rocprim17ROCPRIM_304000_NS6detail28radix_sort_block_sort_kernelINS1_36wrapped_radix_sort_block_sort_configINS0_13kernel_configILj256ELj4ELj4294967295EEEaN2at4cuda3cub6detail10OpaqueTypeILi8EEEEELb0EPKaPaPKSB_PSB_NS0_19identity_decomposerEEEvT1_T2_T3_T4_jT5_jj.uses_flat_scratch, 0
	.set _ZN7rocprim17ROCPRIM_304000_NS6detail28radix_sort_block_sort_kernelINS1_36wrapped_radix_sort_block_sort_configINS0_13kernel_configILj256ELj4ELj4294967295EEEaN2at4cuda3cub6detail10OpaqueTypeILi8EEEEELb0EPKaPaPKSB_PSB_NS0_19identity_decomposerEEEvT1_T2_T3_T4_jT5_jj.has_dyn_sized_stack, 0
	.set _ZN7rocprim17ROCPRIM_304000_NS6detail28radix_sort_block_sort_kernelINS1_36wrapped_radix_sort_block_sort_configINS0_13kernel_configILj256ELj4ELj4294967295EEEaN2at4cuda3cub6detail10OpaqueTypeILi8EEEEELb0EPKaPaPKSB_PSB_NS0_19identity_decomposerEEEvT1_T2_T3_T4_jT5_jj.has_recursion, 0
	.set _ZN7rocprim17ROCPRIM_304000_NS6detail28radix_sort_block_sort_kernelINS1_36wrapped_radix_sort_block_sort_configINS0_13kernel_configILj256ELj4ELj4294967295EEEaN2at4cuda3cub6detail10OpaqueTypeILi8EEEEELb0EPKaPaPKSB_PSB_NS0_19identity_decomposerEEEvT1_T2_T3_T4_jT5_jj.has_indirect_call, 0
	.section	.AMDGPU.csdata,"",@progbits
; Kernel info:
; codeLenInByte = 4056
; TotalNumSgprs: 52
; NumVgprs: 50
; NumAgprs: 0
; TotalNumVgprs: 50
; ScratchSize: 0
; MemoryBound: 0
; FloatMode: 240
; IeeeMode: 1
; LDSByteSize: 8192 bytes/workgroup (compile time only)
; SGPRBlocks: 6
; VGPRBlocks: 6
; NumSGPRsForWavesPerEU: 52
; NumVGPRsForWavesPerEU: 50
; AccumOffset: 52
; Occupancy: 8
; WaveLimiterHint : 1
; COMPUTE_PGM_RSRC2:SCRATCH_EN: 0
; COMPUTE_PGM_RSRC2:USER_SGPR: 2
; COMPUTE_PGM_RSRC2:TRAP_HANDLER: 0
; COMPUTE_PGM_RSRC2:TGID_X_EN: 1
; COMPUTE_PGM_RSRC2:TGID_Y_EN: 0
; COMPUTE_PGM_RSRC2:TGID_Z_EN: 0
; COMPUTE_PGM_RSRC2:TIDIG_COMP_CNT: 2
; COMPUTE_PGM_RSRC3_GFX90A:ACCUM_OFFSET: 12
; COMPUTE_PGM_RSRC3_GFX90A:TG_SPLIT: 0
	.section	.text._ZN7rocprim17ROCPRIM_304000_NS6detail45device_block_merge_mergepath_partition_kernelINS1_37wrapped_merge_sort_block_merge_configINS0_14default_configEaN2at4cuda3cub6detail10OpaqueTypeILi8EEEEEPajNS1_19radix_merge_compareILb0ELb0EaNS0_19identity_decomposerEEEEEvT0_T1_jPSH_T2_SH_,"axG",@progbits,_ZN7rocprim17ROCPRIM_304000_NS6detail45device_block_merge_mergepath_partition_kernelINS1_37wrapped_merge_sort_block_merge_configINS0_14default_configEaN2at4cuda3cub6detail10OpaqueTypeILi8EEEEEPajNS1_19radix_merge_compareILb0ELb0EaNS0_19identity_decomposerEEEEEvT0_T1_jPSH_T2_SH_,comdat
	.protected	_ZN7rocprim17ROCPRIM_304000_NS6detail45device_block_merge_mergepath_partition_kernelINS1_37wrapped_merge_sort_block_merge_configINS0_14default_configEaN2at4cuda3cub6detail10OpaqueTypeILi8EEEEEPajNS1_19radix_merge_compareILb0ELb0EaNS0_19identity_decomposerEEEEEvT0_T1_jPSH_T2_SH_ ; -- Begin function _ZN7rocprim17ROCPRIM_304000_NS6detail45device_block_merge_mergepath_partition_kernelINS1_37wrapped_merge_sort_block_merge_configINS0_14default_configEaN2at4cuda3cub6detail10OpaqueTypeILi8EEEEEPajNS1_19radix_merge_compareILb0ELb0EaNS0_19identity_decomposerEEEEEvT0_T1_jPSH_T2_SH_
	.globl	_ZN7rocprim17ROCPRIM_304000_NS6detail45device_block_merge_mergepath_partition_kernelINS1_37wrapped_merge_sort_block_merge_configINS0_14default_configEaN2at4cuda3cub6detail10OpaqueTypeILi8EEEEEPajNS1_19radix_merge_compareILb0ELb0EaNS0_19identity_decomposerEEEEEvT0_T1_jPSH_T2_SH_
	.p2align	8
	.type	_ZN7rocprim17ROCPRIM_304000_NS6detail45device_block_merge_mergepath_partition_kernelINS1_37wrapped_merge_sort_block_merge_configINS0_14default_configEaN2at4cuda3cub6detail10OpaqueTypeILi8EEEEEPajNS1_19radix_merge_compareILb0ELb0EaNS0_19identity_decomposerEEEEEvT0_T1_jPSH_T2_SH_,@function
_ZN7rocprim17ROCPRIM_304000_NS6detail45device_block_merge_mergepath_partition_kernelINS1_37wrapped_merge_sort_block_merge_configINS0_14default_configEaN2at4cuda3cub6detail10OpaqueTypeILi8EEEEEPajNS1_19radix_merge_compareILb0ELb0EaNS0_19identity_decomposerEEEEEvT0_T1_jPSH_T2_SH_: ; @_ZN7rocprim17ROCPRIM_304000_NS6detail45device_block_merge_mergepath_partition_kernelINS1_37wrapped_merge_sort_block_merge_configINS0_14default_configEaN2at4cuda3cub6detail10OpaqueTypeILi8EEEEEPajNS1_19radix_merge_compareILb0ELb0EaNS0_19identity_decomposerEEEEEvT0_T1_jPSH_T2_SH_
; %bb.0:
	s_load_dwordx2 s[4:5], s[0:1], 0x8
	v_lshl_or_b32 v0, s2, 7, v0
	s_waitcnt lgkmcnt(0)
	v_cmp_gt_u32_e32 vcc, s5, v0
	s_and_saveexec_b64 s[2:3], vcc
	s_cbranch_execz .LBB41_6
; %bb.1:
	s_load_dword s2, s[0:1], 0x1c
	s_waitcnt lgkmcnt(0)
	s_lshr_b32 s3, s2, 9
	s_and_b32 s3, s3, 0x7ffffe
	s_add_i32 s5, s3, -1
	s_sub_i32 s3, 0, s3
	v_and_b32_e32 v1, s3, v0
	v_and_b32_e32 v2, s5, v0
	v_lshlrev_b32_e32 v1, 10, v1
	v_lshlrev_b32_e32 v3, 10, v2
	v_min_u32_e32 v2, s4, v1
	v_add_u32_e32 v1, s2, v1
	v_min_u32_e32 v4, s4, v1
	v_add_u32_e32 v1, s2, v4
	v_min_u32_e32 v1, s4, v1
	v_sub_u32_e32 v5, v1, v2
	v_min_u32_e32 v10, v5, v3
	v_sub_u32_e32 v3, v4, v2
	v_sub_u32_e32 v1, v1, v4
	v_sub_u32_e64 v1, v10, v1 clamp
	v_min_u32_e32 v11, v10, v3
	v_cmp_lt_u32_e32 vcc, v1, v11
	s_and_saveexec_b64 s[2:3], vcc
	s_cbranch_execz .LBB41_5
; %bb.2:
	s_load_dwordx2 s[4:5], s[0:1], 0x0
	v_mov_b32_e32 v5, 0
	v_mov_b32_e32 v3, v5
	s_waitcnt lgkmcnt(0)
	v_lshl_add_u64 v[6:7], s[4:5], 0, v[2:3]
	v_lshl_add_u64 v[8:9], s[4:5], 0, v[4:5]
	s_mov_b64 s[4:5], 0
.LBB41_3:                               ; =>This Inner Loop Header: Depth=1
	v_add_u32_e32 v3, v11, v1
	v_lshrrev_b32_e32 v4, 1, v3
	v_mov_b32_e32 v13, v5
	v_xad_u32 v12, v4, -1, v10
	v_lshl_add_u64 v[14:15], v[6:7], 0, v[4:5]
	v_lshl_add_u64 v[12:13], v[8:9], 0, v[12:13]
	global_load_sbyte v3, v[14:15], off
	global_load_sbyte v16, v[12:13], off
	v_add_u32_e32 v12, 1, v4
	s_waitcnt vmcnt(0)
	v_cmp_gt_i16_e32 vcc, v3, v16
	s_nop 1
	v_cndmask_b32_e32 v11, v11, v4, vcc
	v_cndmask_b32_e32 v1, v12, v1, vcc
	v_cmp_ge_u32_e32 vcc, v1, v11
	s_or_b64 s[4:5], vcc, s[4:5]
	s_andn2_b64 exec, exec, s[4:5]
	s_cbranch_execnz .LBB41_3
; %bb.4:
	s_or_b64 exec, exec, s[4:5]
.LBB41_5:
	s_or_b64 exec, exec, s[2:3]
	s_load_dwordx2 s[0:1], s[0:1], 0x10
	v_add_u32_e32 v2, v1, v2
	v_mov_b32_e32 v1, 0
	s_waitcnt lgkmcnt(0)
	v_lshl_add_u64 v[0:1], v[0:1], 2, s[0:1]
	global_store_dword v[0:1], v2, off
.LBB41_6:
	s_endpgm
	.section	.rodata,"a",@progbits
	.p2align	6, 0x0
	.amdhsa_kernel _ZN7rocprim17ROCPRIM_304000_NS6detail45device_block_merge_mergepath_partition_kernelINS1_37wrapped_merge_sort_block_merge_configINS0_14default_configEaN2at4cuda3cub6detail10OpaqueTypeILi8EEEEEPajNS1_19radix_merge_compareILb0ELb0EaNS0_19identity_decomposerEEEEEvT0_T1_jPSH_T2_SH_
		.amdhsa_group_segment_fixed_size 0
		.amdhsa_private_segment_fixed_size 0
		.amdhsa_kernarg_size 32
		.amdhsa_user_sgpr_count 2
		.amdhsa_user_sgpr_dispatch_ptr 0
		.amdhsa_user_sgpr_queue_ptr 0
		.amdhsa_user_sgpr_kernarg_segment_ptr 1
		.amdhsa_user_sgpr_dispatch_id 0
		.amdhsa_user_sgpr_kernarg_preload_length 0
		.amdhsa_user_sgpr_kernarg_preload_offset 0
		.amdhsa_user_sgpr_private_segment_size 0
		.amdhsa_uses_dynamic_stack 0
		.amdhsa_enable_private_segment 0
		.amdhsa_system_sgpr_workgroup_id_x 1
		.amdhsa_system_sgpr_workgroup_id_y 0
		.amdhsa_system_sgpr_workgroup_id_z 0
		.amdhsa_system_sgpr_workgroup_info 0
		.amdhsa_system_vgpr_workitem_id 0
		.amdhsa_next_free_vgpr 17
		.amdhsa_next_free_sgpr 6
		.amdhsa_accum_offset 20
		.amdhsa_reserve_vcc 1
		.amdhsa_float_round_mode_32 0
		.amdhsa_float_round_mode_16_64 0
		.amdhsa_float_denorm_mode_32 3
		.amdhsa_float_denorm_mode_16_64 3
		.amdhsa_dx10_clamp 1
		.amdhsa_ieee_mode 1
		.amdhsa_fp16_overflow 0
		.amdhsa_tg_split 0
		.amdhsa_exception_fp_ieee_invalid_op 0
		.amdhsa_exception_fp_denorm_src 0
		.amdhsa_exception_fp_ieee_div_zero 0
		.amdhsa_exception_fp_ieee_overflow 0
		.amdhsa_exception_fp_ieee_underflow 0
		.amdhsa_exception_fp_ieee_inexact 0
		.amdhsa_exception_int_div_zero 0
	.end_amdhsa_kernel
	.section	.text._ZN7rocprim17ROCPRIM_304000_NS6detail45device_block_merge_mergepath_partition_kernelINS1_37wrapped_merge_sort_block_merge_configINS0_14default_configEaN2at4cuda3cub6detail10OpaqueTypeILi8EEEEEPajNS1_19radix_merge_compareILb0ELb0EaNS0_19identity_decomposerEEEEEvT0_T1_jPSH_T2_SH_,"axG",@progbits,_ZN7rocprim17ROCPRIM_304000_NS6detail45device_block_merge_mergepath_partition_kernelINS1_37wrapped_merge_sort_block_merge_configINS0_14default_configEaN2at4cuda3cub6detail10OpaqueTypeILi8EEEEEPajNS1_19radix_merge_compareILb0ELb0EaNS0_19identity_decomposerEEEEEvT0_T1_jPSH_T2_SH_,comdat
.Lfunc_end41:
	.size	_ZN7rocprim17ROCPRIM_304000_NS6detail45device_block_merge_mergepath_partition_kernelINS1_37wrapped_merge_sort_block_merge_configINS0_14default_configEaN2at4cuda3cub6detail10OpaqueTypeILi8EEEEEPajNS1_19radix_merge_compareILb0ELb0EaNS0_19identity_decomposerEEEEEvT0_T1_jPSH_T2_SH_, .Lfunc_end41-_ZN7rocprim17ROCPRIM_304000_NS6detail45device_block_merge_mergepath_partition_kernelINS1_37wrapped_merge_sort_block_merge_configINS0_14default_configEaN2at4cuda3cub6detail10OpaqueTypeILi8EEEEEPajNS1_19radix_merge_compareILb0ELb0EaNS0_19identity_decomposerEEEEEvT0_T1_jPSH_T2_SH_
                                        ; -- End function
	.set _ZN7rocprim17ROCPRIM_304000_NS6detail45device_block_merge_mergepath_partition_kernelINS1_37wrapped_merge_sort_block_merge_configINS0_14default_configEaN2at4cuda3cub6detail10OpaqueTypeILi8EEEEEPajNS1_19radix_merge_compareILb0ELb0EaNS0_19identity_decomposerEEEEEvT0_T1_jPSH_T2_SH_.num_vgpr, 17
	.set _ZN7rocprim17ROCPRIM_304000_NS6detail45device_block_merge_mergepath_partition_kernelINS1_37wrapped_merge_sort_block_merge_configINS0_14default_configEaN2at4cuda3cub6detail10OpaqueTypeILi8EEEEEPajNS1_19radix_merge_compareILb0ELb0EaNS0_19identity_decomposerEEEEEvT0_T1_jPSH_T2_SH_.num_agpr, 0
	.set _ZN7rocprim17ROCPRIM_304000_NS6detail45device_block_merge_mergepath_partition_kernelINS1_37wrapped_merge_sort_block_merge_configINS0_14default_configEaN2at4cuda3cub6detail10OpaqueTypeILi8EEEEEPajNS1_19radix_merge_compareILb0ELb0EaNS0_19identity_decomposerEEEEEvT0_T1_jPSH_T2_SH_.numbered_sgpr, 6
	.set _ZN7rocprim17ROCPRIM_304000_NS6detail45device_block_merge_mergepath_partition_kernelINS1_37wrapped_merge_sort_block_merge_configINS0_14default_configEaN2at4cuda3cub6detail10OpaqueTypeILi8EEEEEPajNS1_19radix_merge_compareILb0ELb0EaNS0_19identity_decomposerEEEEEvT0_T1_jPSH_T2_SH_.num_named_barrier, 0
	.set _ZN7rocprim17ROCPRIM_304000_NS6detail45device_block_merge_mergepath_partition_kernelINS1_37wrapped_merge_sort_block_merge_configINS0_14default_configEaN2at4cuda3cub6detail10OpaqueTypeILi8EEEEEPajNS1_19radix_merge_compareILb0ELb0EaNS0_19identity_decomposerEEEEEvT0_T1_jPSH_T2_SH_.private_seg_size, 0
	.set _ZN7rocprim17ROCPRIM_304000_NS6detail45device_block_merge_mergepath_partition_kernelINS1_37wrapped_merge_sort_block_merge_configINS0_14default_configEaN2at4cuda3cub6detail10OpaqueTypeILi8EEEEEPajNS1_19radix_merge_compareILb0ELb0EaNS0_19identity_decomposerEEEEEvT0_T1_jPSH_T2_SH_.uses_vcc, 1
	.set _ZN7rocprim17ROCPRIM_304000_NS6detail45device_block_merge_mergepath_partition_kernelINS1_37wrapped_merge_sort_block_merge_configINS0_14default_configEaN2at4cuda3cub6detail10OpaqueTypeILi8EEEEEPajNS1_19radix_merge_compareILb0ELb0EaNS0_19identity_decomposerEEEEEvT0_T1_jPSH_T2_SH_.uses_flat_scratch, 0
	.set _ZN7rocprim17ROCPRIM_304000_NS6detail45device_block_merge_mergepath_partition_kernelINS1_37wrapped_merge_sort_block_merge_configINS0_14default_configEaN2at4cuda3cub6detail10OpaqueTypeILi8EEEEEPajNS1_19radix_merge_compareILb0ELb0EaNS0_19identity_decomposerEEEEEvT0_T1_jPSH_T2_SH_.has_dyn_sized_stack, 0
	.set _ZN7rocprim17ROCPRIM_304000_NS6detail45device_block_merge_mergepath_partition_kernelINS1_37wrapped_merge_sort_block_merge_configINS0_14default_configEaN2at4cuda3cub6detail10OpaqueTypeILi8EEEEEPajNS1_19radix_merge_compareILb0ELb0EaNS0_19identity_decomposerEEEEEvT0_T1_jPSH_T2_SH_.has_recursion, 0
	.set _ZN7rocprim17ROCPRIM_304000_NS6detail45device_block_merge_mergepath_partition_kernelINS1_37wrapped_merge_sort_block_merge_configINS0_14default_configEaN2at4cuda3cub6detail10OpaqueTypeILi8EEEEEPajNS1_19radix_merge_compareILb0ELb0EaNS0_19identity_decomposerEEEEEvT0_T1_jPSH_T2_SH_.has_indirect_call, 0
	.section	.AMDGPU.csdata,"",@progbits
; Kernel info:
; codeLenInByte = 320
; TotalNumSgprs: 12
; NumVgprs: 17
; NumAgprs: 0
; TotalNumVgprs: 17
; ScratchSize: 0
; MemoryBound: 0
; FloatMode: 240
; IeeeMode: 1
; LDSByteSize: 0 bytes/workgroup (compile time only)
; SGPRBlocks: 1
; VGPRBlocks: 2
; NumSGPRsForWavesPerEU: 12
; NumVGPRsForWavesPerEU: 17
; AccumOffset: 20
; Occupancy: 8
; WaveLimiterHint : 0
; COMPUTE_PGM_RSRC2:SCRATCH_EN: 0
; COMPUTE_PGM_RSRC2:USER_SGPR: 2
; COMPUTE_PGM_RSRC2:TRAP_HANDLER: 0
; COMPUTE_PGM_RSRC2:TGID_X_EN: 1
; COMPUTE_PGM_RSRC2:TGID_Y_EN: 0
; COMPUTE_PGM_RSRC2:TGID_Z_EN: 0
; COMPUTE_PGM_RSRC2:TIDIG_COMP_CNT: 0
; COMPUTE_PGM_RSRC3_GFX90A:ACCUM_OFFSET: 4
; COMPUTE_PGM_RSRC3_GFX90A:TG_SPLIT: 0
	.section	.text._ZN7rocprim17ROCPRIM_304000_NS6detail35device_block_merge_mergepath_kernelINS1_37wrapped_merge_sort_block_merge_configINS0_14default_configEaN2at4cuda3cub6detail10OpaqueTypeILi8EEEEEPaSC_PSA_SD_jNS1_19radix_merge_compareILb0ELb0EaNS0_19identity_decomposerEEEEEvT0_T1_T2_T3_T4_SL_jT5_PKSL_NS1_7vsmem_tE,"axG",@progbits,_ZN7rocprim17ROCPRIM_304000_NS6detail35device_block_merge_mergepath_kernelINS1_37wrapped_merge_sort_block_merge_configINS0_14default_configEaN2at4cuda3cub6detail10OpaqueTypeILi8EEEEEPaSC_PSA_SD_jNS1_19radix_merge_compareILb0ELb0EaNS0_19identity_decomposerEEEEEvT0_T1_T2_T3_T4_SL_jT5_PKSL_NS1_7vsmem_tE,comdat
	.protected	_ZN7rocprim17ROCPRIM_304000_NS6detail35device_block_merge_mergepath_kernelINS1_37wrapped_merge_sort_block_merge_configINS0_14default_configEaN2at4cuda3cub6detail10OpaqueTypeILi8EEEEEPaSC_PSA_SD_jNS1_19radix_merge_compareILb0ELb0EaNS0_19identity_decomposerEEEEEvT0_T1_T2_T3_T4_SL_jT5_PKSL_NS1_7vsmem_tE ; -- Begin function _ZN7rocprim17ROCPRIM_304000_NS6detail35device_block_merge_mergepath_kernelINS1_37wrapped_merge_sort_block_merge_configINS0_14default_configEaN2at4cuda3cub6detail10OpaqueTypeILi8EEEEEPaSC_PSA_SD_jNS1_19radix_merge_compareILb0ELb0EaNS0_19identity_decomposerEEEEEvT0_T1_T2_T3_T4_SL_jT5_PKSL_NS1_7vsmem_tE
	.globl	_ZN7rocprim17ROCPRIM_304000_NS6detail35device_block_merge_mergepath_kernelINS1_37wrapped_merge_sort_block_merge_configINS0_14default_configEaN2at4cuda3cub6detail10OpaqueTypeILi8EEEEEPaSC_PSA_SD_jNS1_19radix_merge_compareILb0ELb0EaNS0_19identity_decomposerEEEEEvT0_T1_T2_T3_T4_SL_jT5_PKSL_NS1_7vsmem_tE
	.p2align	8
	.type	_ZN7rocprim17ROCPRIM_304000_NS6detail35device_block_merge_mergepath_kernelINS1_37wrapped_merge_sort_block_merge_configINS0_14default_configEaN2at4cuda3cub6detail10OpaqueTypeILi8EEEEEPaSC_PSA_SD_jNS1_19radix_merge_compareILb0ELb0EaNS0_19identity_decomposerEEEEEvT0_T1_T2_T3_T4_SL_jT5_PKSL_NS1_7vsmem_tE,@function
_ZN7rocprim17ROCPRIM_304000_NS6detail35device_block_merge_mergepath_kernelINS1_37wrapped_merge_sort_block_merge_configINS0_14default_configEaN2at4cuda3cub6detail10OpaqueTypeILi8EEEEEPaSC_PSA_SD_jNS1_19radix_merge_compareILb0ELb0EaNS0_19identity_decomposerEEEEEvT0_T1_T2_T3_T4_SL_jT5_PKSL_NS1_7vsmem_tE: ; @_ZN7rocprim17ROCPRIM_304000_NS6detail35device_block_merge_mergepath_kernelINS1_37wrapped_merge_sort_block_merge_configINS0_14default_configEaN2at4cuda3cub6detail10OpaqueTypeILi8EEEEEPaSC_PSA_SD_jNS1_19radix_merge_compareILb0ELb0EaNS0_19identity_decomposerEEEEEvT0_T1_T2_T3_T4_SL_jT5_PKSL_NS1_7vsmem_tE
; %bb.0:
	s_load_dwordx2 s[24:25], s[0:1], 0x40
	s_load_dwordx4 s[12:15], s[0:1], 0x20
	s_add_u32 s22, s0, 64
	s_addc_u32 s23, s1, 0
	s_waitcnt lgkmcnt(0)
	s_mul_i32 s4, s25, s4
	s_add_i32 s3, s4, s3
	s_mul_i32 s3, s3, s24
	s_add_i32 s20, s3, s2
	s_cmp_ge_u32 s20, s14
	s_cbranch_scc1 .LBB42_51
; %bb.1:
	s_load_dwordx8 s[4:11], s[0:1], 0x0
	s_load_dwordx2 s[16:17], s[0:1], 0x30
	s_lshr_b32 s27, s12, 10
	s_cmp_lg_u32 s20, s27
	s_mov_b32 s21, 0
	s_cselect_b64 s[14:15], -1, 0
	s_lshl_b64 s[0:1], s[20:21], 2
	s_waitcnt lgkmcnt(0)
	s_add_u32 s0, s16, s0
	s_addc_u32 s1, s17, s1
	s_load_dwordx2 s[16:17], s[0:1], 0x0
	s_lshr_b32 s0, s13, 9
	s_and_b32 s0, s0, 0x7ffffe
	s_sub_i32 s0, 0, s0
	s_and_b32 s1, s20, s0
	s_lshl_b32 s3, s1, 10
	s_lshl_b32 s25, s20, 10
	;; [unrolled: 1-line block ×3, first 2 shown]
	s_sub_i32 s18, s25, s3
	s_add_i32 s1, s1, s13
	s_add_i32 s19, s1, s18
	s_waitcnt lgkmcnt(0)
	s_sub_i32 s18, s19, s16
	s_sub_i32 s19, s19, s17
	s_sub_i32 s1, s1, s3
	s_min_u32 s18, s12, s18
	s_addk_i32 s19, 0x400
	s_or_b32 s0, s20, s0
	s_min_u32 s3, s12, s1
	s_add_i32 s1, s1, s13
	s_cmp_eq_u32 s0, -1
	s_cselect_b32 s0, s1, s19
	s_cselect_b32 s1, s3, s17
	s_min_u32 s0, s0, s12
	s_sub_i32 s13, s1, s16
	s_sub_i32 s26, s0, s18
	s_add_u32 s0, s4, s16
	s_addc_u32 s1, s5, 0
	s_add_u32 s4, s4, s18
	s_addc_u32 s5, s5, 0
	s_cmp_lt_u32 s2, s24
	v_mov_b32_e32 v1, 0
	s_cselect_b32 s2, 12, 18
	global_load_dword v2, v1, s[22:23] offset:14
	s_add_u32 s2, s22, s2
	s_addc_u32 s3, s23, 0
	global_load_ushort v3, v1, s[2:3]
	s_mov_b32 s17, s21
	s_mov_b32 s19, s21
	s_cmp_eq_u32 s20, s27
	s_waitcnt vmcnt(1)
	v_lshrrev_b32_e32 v4, 16, v2
	v_and_b32_e32 v2, 0xffff, v2
	v_mul_lo_u32 v2, v2, v4
	s_waitcnt vmcnt(0)
	v_mul_lo_u32 v2, v2, v3
	v_add_u32_e32 v2, v2, v0
	s_cbranch_scc1 .LBB42_3
; %bb.2:
	v_subrev_co_u32_e32 v6, vcc, s13, v0
	v_mov_b32_e32 v7, v1
	v_lshl_add_u64 v[4:5], s[0:1], 0, v[0:1]
	v_lshl_add_u64 v[6:7], s[4:5], 0, v[6:7]
	v_cndmask_b32_e32 v5, v7, v5, vcc
	v_cndmask_b32_e32 v4, v6, v4, vcc
	v_mov_b32_e32 v3, v1
	v_subrev_co_u32_e32 v8, vcc, s13, v2
	v_mov_b32_e32 v9, v1
	v_lshl_add_u64 v[6:7], s[0:1], 0, v[2:3]
	v_lshl_add_u64 v[8:9], s[4:5], 0, v[8:9]
	v_cndmask_b32_e32 v7, v9, v7, vcc
	v_cndmask_b32_e32 v6, v8, v6, vcc
	global_load_ubyte v1, v[4:5], off
	global_load_ubyte v3, v[6:7], off
	s_mov_b32 s20, 0xc0c0004
	s_add_i32 s21, s26, s13
	v_mov_b32_e32 v8, s21
	s_waitcnt vmcnt(0)
	v_perm_b32 v6, v1, v3, s20
	s_cbranch_execz .LBB42_4
	s_branch .LBB42_9
.LBB42_3:
                                        ; implicit-def: $vgpr6
                                        ; implicit-def: $vgpr8
.LBB42_4:
	s_add_i32 s20, s26, s13
	v_cmp_gt_u32_e32 vcc, s20, v0
	v_mov_b32_e32 v6, 0
	s_and_saveexec_b64 s[2:3], vcc
	s_cbranch_execz .LBB42_6
; %bb.5:
	v_mov_b32_e32 v1, 0
	v_subrev_co_u32_e32 v6, vcc, s13, v0
	v_mov_b32_e32 v7, v1
	v_lshl_add_u64 v[4:5], s[0:1], 0, v[0:1]
	v_lshl_add_u64 v[6:7], s[4:5], 0, v[6:7]
	v_cndmask_b32_e32 v5, v7, v5, vcc
	v_cndmask_b32_e32 v4, v6, v4, vcc
	global_load_ubyte v6, v[4:5], off
.LBB42_6:
	s_or_b64 exec, exec, s[2:3]
	v_cmp_gt_u32_e32 vcc, s20, v2
	s_and_saveexec_b64 s[2:3], vcc
	s_cbranch_execz .LBB42_8
; %bb.7:
	v_mov_b32_e32 v3, 0
	v_lshl_add_u64 v[4:5], s[0:1], 0, v[2:3]
	v_subrev_co_u32_e32 v2, vcc, s13, v2
	v_lshl_add_u64 v[2:3], s[4:5], 0, v[2:3]
	s_nop 0
	v_cndmask_b32_e32 v3, v3, v5, vcc
	v_cndmask_b32_e32 v2, v2, v4, vcc
	global_load_ubyte v1, v[2:3], off
	s_waitcnt vmcnt(0)
	v_lshlrev_b16_e32 v1, 8, v1
	v_or_b32_e32 v1, v6, v1
	v_and_b32_e32 v6, 0xffff, v1
.LBB42_8:
	s_or_b64 exec, exec, s[2:3]
	v_mov_b32_e32 v8, s20
.LBB42_9:
	v_lshlrev_b32_e32 v7, 1, v0
	s_waitcnt vmcnt(0)
	v_lshrrev_b16_e32 v1, 8, v6
	v_min_u32_e32 v2, v8, v7
	ds_write_b8 v0, v1 offset:512
	v_sub_u32_e64 v1, v2, s26 clamp
	v_min_u32_e32 v3, s13, v2
	v_cmp_lt_u32_e32 vcc, v1, v3
	ds_write_b8 v0, v6
	s_waitcnt lgkmcnt(0)
	s_barrier
	s_and_saveexec_b64 s[0:1], vcc
	s_cbranch_execz .LBB42_13
; %bb.10:
	v_add_u32_e32 v4, s13, v2
	s_mov_b64 s[2:3], 0
.LBB42_11:                              ; =>This Inner Loop Header: Depth=1
	v_add_u32_e32 v5, v3, v1
	v_lshrrev_b32_e32 v5, 1, v5
	v_xad_u32 v9, v5, -1, v4
	ds_read_i8 v10, v5
	ds_read_i8 v9, v9
	v_add_u32_e32 v11, 1, v5
	s_waitcnt lgkmcnt(0)
	v_cmp_gt_i16_e32 vcc, v10, v9
	s_nop 1
	v_cndmask_b32_e32 v3, v3, v5, vcc
	v_cndmask_b32_e32 v1, v11, v1, vcc
	v_cmp_ge_u32_e32 vcc, v1, v3
	s_or_b64 s[2:3], vcc, s[2:3]
	s_andn2_b64 exec, exec, s[2:3]
	s_cbranch_execnz .LBB42_11
; %bb.12:
	s_or_b64 exec, exec, s[2:3]
.LBB42_13:
	s_or_b64 exec, exec, s[0:1]
	v_sub_u32_e32 v2, v2, v1
	v_add_u32_e32 v2, s13, v2
	v_cmp_ge_u32_e32 vcc, s13, v1
	v_cmp_le_u32_e64 s[0:1], v2, v8
	s_or_b64 s[0:1], vcc, s[0:1]
	v_mov_b32_e32 v9, 0
	v_mov_b32_e32 v10, 0
	s_and_saveexec_b64 s[4:5], s[0:1]
	s_cbranch_execz .LBB42_19
; %bb.14:
	v_cmp_gt_u32_e32 vcc, s13, v1
                                        ; implicit-def: $vgpr3
	s_and_saveexec_b64 s[0:1], vcc
; %bb.15:
	ds_read_u8 v3, v1
; %bb.16:
	s_or_b64 exec, exec, s[0:1]
	v_cmp_ge_u32_e64 s[0:1], v2, v8
	v_cmp_lt_u32_e64 s[2:3], v2, v8
                                        ; implicit-def: $vgpr4
	s_and_saveexec_b64 s[20:21], s[2:3]
; %bb.17:
	ds_read_u8 v4, v2
; %bb.18:
	s_or_b64 exec, exec, s[20:21]
	s_waitcnt lgkmcnt(0)
	v_cmp_le_i16_sdwa s[2:3], sext(v3), sext(v4) src0_sel:BYTE_0 src1_sel:BYTE_0
	s_and_b64 s[2:3], vcc, s[2:3]
	s_or_b64 vcc, s[0:1], s[2:3]
	v_mov_b32_e32 v5, s13
	v_cndmask_b32_e32 v10, v2, v1, vcc
	v_cndmask_b32_e32 v5, v8, v5, vcc
	v_add_u32_e32 v6, 1, v10
	v_add_u32_e32 v5, -1, v5
	v_min_u32_e32 v5, v6, v5
	ds_read_u8 v5, v5
	v_cndmask_b32_e32 v11, v4, v3, vcc
	v_cndmask_b32_e32 v1, v1, v6, vcc
	v_cndmask_b32_e32 v2, v6, v2, vcc
	v_cmp_gt_u32_e64 s[0:1], s13, v1
	s_waitcnt lgkmcnt(0)
	v_cndmask_b32_e32 v4, v5, v4, vcc
	v_cndmask_b32_e32 v3, v3, v5, vcc
	v_cmp_le_i16_sdwa s[2:3], sext(v3), sext(v4) src0_sel:BYTE_0 src1_sel:BYTE_0
	v_cmp_ge_u32_e32 vcc, v2, v8
	s_and_b64 s[0:1], s[0:1], s[2:3]
	s_or_b64 vcc, vcc, s[0:1]
	v_cndmask_b32_e32 v9, v2, v1, vcc
	v_cndmask_b32_sdwa v1, v4, v3, vcc dst_sel:BYTE_1 dst_unused:UNUSED_PAD src0_sel:DWORD src1_sel:DWORD
	s_movk_i32 s0, 0xff
	v_bitop3_b16 v1, v11, v1, s0 bitop3:0xec
	v_and_b32_e32 v6, 0xffff, v1
.LBB42_19:
	s_or_b64 exec, exec, s[4:5]
	s_lshl_b64 s[0:1], s[16:17], 3
	s_add_u32 s16, s8, s0
	s_addc_u32 s17, s9, s1
	s_lshl_b64 s[0:1], s[18:19], 3
	s_add_u32 s8, s8, s0
	v_cndmask_b32_e64 v2, 0, 1, s[14:15]
	v_mov_b32_e32 v1, 0
	s_addc_u32 s9, s9, s1
	v_cmp_gt_u32_e64 s[4:5], s13, v0
	v_cmp_ne_u32_e64 s[0:1], 1, v2
	s_andn2_b64 vcc, exec, s[14:15]
	v_cmp_le_u32_e64 s[2:3], s13, v0
	s_barrier
	s_cbranch_vccnz .LBB42_21
; %bb.20:
	v_subrev_u32_e32 v4, s13, v0
	v_lshlrev_b32_e32 v2, 3, v0
	v_mov_b32_e32 v3, v1
	v_lshlrev_b32_e32 v4, 3, v4
	v_mov_b32_e32 v5, v1
	v_lshl_add_u64 v[2:3], s[16:17], 0, v[2:3]
	v_lshl_add_u64 v[4:5], s[8:9], 0, v[4:5]
	v_cndmask_b32_e64 v3, v5, v3, s[4:5]
	v_cndmask_b32_e64 v2, v4, v2, s[4:5]
	global_load_dwordx2 v[12:13], v[2:3], off
	v_or_b32_e32 v11, 0x200, v0
	v_mov_b32_e32 v2, s9
	v_mov_b32_e32 v3, s17
	;; [unrolled: 1-line block ×4, first 2 shown]
	v_subrev_u32_e32 v4, s13, v11
	v_cmp_gt_u32_e32 vcc, s13, v11
	v_mad_u32_u24 v5, v0, 7, v0
	s_nop 0
	v_cndmask_b32_e32 v3, v2, v3, vcc
	v_min_u32_e32 v4, v11, v4
	v_cndmask_b32_e32 v2, v14, v15, vcc
	s_mov_b64 s[4:5], -1
	s_waitcnt vmcnt(0)
	ds_write_b64 v5, v[12:13]
	s_cbranch_execz .LBB42_22
	s_branch .LBB42_31
.LBB42_21:
	s_mov_b64 s[4:5], 0
                                        ; implicit-def: $vgpr11
                                        ; implicit-def: $vgpr2_vgpr3
                                        ; implicit-def: $vgpr4
.LBB42_22:
	s_and_saveexec_b64 s[4:5], s[2:3]
	s_xor_b64 s[2:3], exec, s[4:5]
	s_cbranch_execz .LBB42_26
; %bb.23:
	v_subrev_u32_e32 v2, s13, v0
	v_cmp_gt_u32_e32 vcc, s26, v2
	s_and_saveexec_b64 s[4:5], vcc
	s_cbranch_execz .LBB42_25
; %bb.24:
	v_lshlrev_b32_e32 v2, 3, v2
	global_load_dwordx2 v[2:3], v2, s[8:9]
	v_mad_u32_u24 v4, v0, 7, v0
	s_waitcnt vmcnt(0)
	ds_write_b64 v4, v[2:3]
.LBB42_25:
	s_or_b64 exec, exec, s[4:5]
.LBB42_26:
	s_andn2_saveexec_b64 s[2:3], s[2:3]
	s_cbranch_execz .LBB42_28
; %bb.27:
	v_lshlrev_b32_e32 v2, 3, v0
	global_load_dwordx2 v[2:3], v2, s[16:17]
	v_mad_u32_u24 v4, v0, 7, v0
	s_waitcnt vmcnt(0)
	ds_write_b64 v4, v[2:3]
.LBB42_28:
	s_or_b64 exec, exec, s[2:3]
	v_or_b32_e32 v11, 0x200, v0
	v_cmp_le_u32_e32 vcc, s13, v11
	s_mov_b64 s[4:5], -1
	v_mov_b64_e32 v[2:3], s[16:17]
	v_mov_b32_e32 v4, v11
	s_and_saveexec_b64 s[2:3], vcc
; %bb.29:
	v_subrev_u32_e32 v4, s13, v11
	v_cmp_gt_u32_e32 vcc, s26, v4
	v_mov_b64_e32 v[2:3], s[8:9]
	s_orn2_b64 s[4:5], vcc, exec
; %bb.30:
	s_or_b64 exec, exec, s[2:3]
.LBB42_31:
	s_and_saveexec_b64 s[2:3], s[4:5]
	s_cbranch_execz .LBB42_33
; %bb.32:
	v_mov_b32_e32 v5, 0
	v_lshl_add_u64 v[2:3], v[4:5], 3, v[2:3]
	global_load_dwordx2 v[2:3], v[2:3], off
	v_lshlrev_b32_e32 v4, 3, v11
	s_waitcnt vmcnt(0)
	ds_write_b64 v4, v[2:3]
.LBB42_33:
	s_or_b64 exec, exec, s[2:3]
	s_and_b64 vcc, exec, s[0:1]
	v_add_u32_e32 v2, s25, v7
	s_waitcnt lgkmcnt(0)
	s_barrier
	s_cbranch_vccnz .LBB42_35
; %bb.34:
	v_lshlrev_b32_e32 v3, 3, v10
	ds_read_b64 v[4:5], v3
	v_mov_b32_e32 v3, 0
	v_lshl_add_u64 v[12:13], v[2:3], 3, s[10:11]
	s_mov_b64 s[0:1], -1
	s_waitcnt lgkmcnt(0)
	global_store_dwordx2 v[12:13], v[4:5], off
	s_cbranch_execz .LBB42_36
	s_branch .LBB42_41
.LBB42_35:
	s_mov_b64 s[0:1], 0
.LBB42_36:
	v_cmp_lt_u32_e32 vcc, v7, v8
	s_and_saveexec_b64 s[2:3], vcc
	s_cbranch_execz .LBB42_38
; %bb.37:
	v_lshlrev_b32_e32 v3, 3, v10
	ds_read_b64 v[4:5], v3
	v_mov_b32_e32 v3, 0
	v_lshl_add_u64 v[10:11], v[2:3], 3, s[10:11]
	s_waitcnt lgkmcnt(0)
	global_store_dwordx2 v[10:11], v[4:5], off
.LBB42_38:
	s_or_b64 exec, exec, s[2:3]
	v_or_b32_e32 v3, 1, v7
	v_cmp_lt_u32_e32 vcc, v3, v8
	s_and_saveexec_b64 s[2:3], vcc
; %bb.39:
	v_mov_b32_e32 v3, 0
	s_or_b64 s[0:1], s[0:1], exec
; %bb.40:
	s_or_b64 exec, exec, s[2:3]
.LBB42_41:
	s_and_saveexec_b64 s[2:3], s[0:1]
	s_cbranch_execz .LBB42_43
; %bb.42:
	v_lshlrev_b32_e32 v4, 3, v9
	ds_read_b64 v[4:5], v4
	v_lshl_add_u64 v[2:3], v[2:3], 3, s[10:11]
	s_waitcnt lgkmcnt(0)
	global_store_dwordx2 v[2:3], v[4:5], off offset:8
.LBB42_43:
	s_or_b64 exec, exec, s[2:3]
	v_lshrrev_b32_e32 v2, 4, v0
	v_and_b32_e32 v2, 28, v2
	v_add_u32_e32 v2, v2, v7
	s_barrier
	s_barrier
	ds_write_b16 v2, v6
	v_lshrrev_b32_e32 v2, 5, v0
	v_or_b32_e32 v4, 0x200, v0
	s_add_u32 s0, s6, s25
	v_and_b32_e32 v5, 12, v2
	v_lshrrev_b32_e32 v2, 5, v4
	s_addc_u32 s1, s7, 0
	v_and_b32_e32 v6, 28, v2
	v_lshl_add_u64 v[2:3], s[0:1], 0, v[0:1]
	s_and_b64 vcc, exec, s[14:15]
	v_add_u32_e32 v6, v6, v0
	s_waitcnt lgkmcnt(0)
	s_cbranch_vccz .LBB42_45
; %bb.44:
	v_add_u32_e32 v1, v5, v0
	s_barrier
	ds_read_u8 v7, v1
	ds_read_u8 v1, v6 offset:512
	s_mov_b64 s[0:1], -1
	s_waitcnt lgkmcnt(1)
	global_store_byte v[2:3], v7, off
	s_cbranch_execz .LBB42_46
	s_branch .LBB42_49
.LBB42_45:
	s_mov_b64 s[0:1], 0
                                        ; implicit-def: $vgpr1
.LBB42_46:
	s_barrier
	s_waitcnt lgkmcnt(0)
	ds_read_u8 v1, v6 offset:512
	s_sub_i32 s2, s12, s25
	v_cmp_gt_u32_e32 vcc, s2, v0
	s_and_saveexec_b64 s[0:1], vcc
	s_cbranch_execz .LBB42_48
; %bb.47:
	v_add_u32_e32 v0, v5, v0
	ds_read_u8 v0, v0
	s_waitcnt lgkmcnt(0)
	global_store_byte v[2:3], v0, off
.LBB42_48:
	s_or_b64 exec, exec, s[0:1]
	v_cmp_gt_u32_e64 s[0:1], s2, v4
.LBB42_49:
	s_and_saveexec_b64 s[2:3], s[0:1]
	s_cbranch_execz .LBB42_51
; %bb.50:
	s_waitcnt lgkmcnt(0)
	global_store_byte v[2:3], v1, off offset:512
.LBB42_51:
	s_endpgm
	.section	.rodata,"a",@progbits
	.p2align	6, 0x0
	.amdhsa_kernel _ZN7rocprim17ROCPRIM_304000_NS6detail35device_block_merge_mergepath_kernelINS1_37wrapped_merge_sort_block_merge_configINS0_14default_configEaN2at4cuda3cub6detail10OpaqueTypeILi8EEEEEPaSC_PSA_SD_jNS1_19radix_merge_compareILb0ELb0EaNS0_19identity_decomposerEEEEEvT0_T1_T2_T3_T4_SL_jT5_PKSL_NS1_7vsmem_tE
		.amdhsa_group_segment_fixed_size 8208
		.amdhsa_private_segment_fixed_size 0
		.amdhsa_kernarg_size 320
		.amdhsa_user_sgpr_count 2
		.amdhsa_user_sgpr_dispatch_ptr 0
		.amdhsa_user_sgpr_queue_ptr 0
		.amdhsa_user_sgpr_kernarg_segment_ptr 1
		.amdhsa_user_sgpr_dispatch_id 0
		.amdhsa_user_sgpr_kernarg_preload_length 0
		.amdhsa_user_sgpr_kernarg_preload_offset 0
		.amdhsa_user_sgpr_private_segment_size 0
		.amdhsa_uses_dynamic_stack 0
		.amdhsa_enable_private_segment 0
		.amdhsa_system_sgpr_workgroup_id_x 1
		.amdhsa_system_sgpr_workgroup_id_y 1
		.amdhsa_system_sgpr_workgroup_id_z 1
		.amdhsa_system_sgpr_workgroup_info 0
		.amdhsa_system_vgpr_workitem_id 0
		.amdhsa_next_free_vgpr 16
		.amdhsa_next_free_sgpr 28
		.amdhsa_accum_offset 16
		.amdhsa_reserve_vcc 1
		.amdhsa_float_round_mode_32 0
		.amdhsa_float_round_mode_16_64 0
		.amdhsa_float_denorm_mode_32 3
		.amdhsa_float_denorm_mode_16_64 3
		.amdhsa_dx10_clamp 1
		.amdhsa_ieee_mode 1
		.amdhsa_fp16_overflow 0
		.amdhsa_tg_split 0
		.amdhsa_exception_fp_ieee_invalid_op 0
		.amdhsa_exception_fp_denorm_src 0
		.amdhsa_exception_fp_ieee_div_zero 0
		.amdhsa_exception_fp_ieee_overflow 0
		.amdhsa_exception_fp_ieee_underflow 0
		.amdhsa_exception_fp_ieee_inexact 0
		.amdhsa_exception_int_div_zero 0
	.end_amdhsa_kernel
	.section	.text._ZN7rocprim17ROCPRIM_304000_NS6detail35device_block_merge_mergepath_kernelINS1_37wrapped_merge_sort_block_merge_configINS0_14default_configEaN2at4cuda3cub6detail10OpaqueTypeILi8EEEEEPaSC_PSA_SD_jNS1_19radix_merge_compareILb0ELb0EaNS0_19identity_decomposerEEEEEvT0_T1_T2_T3_T4_SL_jT5_PKSL_NS1_7vsmem_tE,"axG",@progbits,_ZN7rocprim17ROCPRIM_304000_NS6detail35device_block_merge_mergepath_kernelINS1_37wrapped_merge_sort_block_merge_configINS0_14default_configEaN2at4cuda3cub6detail10OpaqueTypeILi8EEEEEPaSC_PSA_SD_jNS1_19radix_merge_compareILb0ELb0EaNS0_19identity_decomposerEEEEEvT0_T1_T2_T3_T4_SL_jT5_PKSL_NS1_7vsmem_tE,comdat
.Lfunc_end42:
	.size	_ZN7rocprim17ROCPRIM_304000_NS6detail35device_block_merge_mergepath_kernelINS1_37wrapped_merge_sort_block_merge_configINS0_14default_configEaN2at4cuda3cub6detail10OpaqueTypeILi8EEEEEPaSC_PSA_SD_jNS1_19radix_merge_compareILb0ELb0EaNS0_19identity_decomposerEEEEEvT0_T1_T2_T3_T4_SL_jT5_PKSL_NS1_7vsmem_tE, .Lfunc_end42-_ZN7rocprim17ROCPRIM_304000_NS6detail35device_block_merge_mergepath_kernelINS1_37wrapped_merge_sort_block_merge_configINS0_14default_configEaN2at4cuda3cub6detail10OpaqueTypeILi8EEEEEPaSC_PSA_SD_jNS1_19radix_merge_compareILb0ELb0EaNS0_19identity_decomposerEEEEEvT0_T1_T2_T3_T4_SL_jT5_PKSL_NS1_7vsmem_tE
                                        ; -- End function
	.set _ZN7rocprim17ROCPRIM_304000_NS6detail35device_block_merge_mergepath_kernelINS1_37wrapped_merge_sort_block_merge_configINS0_14default_configEaN2at4cuda3cub6detail10OpaqueTypeILi8EEEEEPaSC_PSA_SD_jNS1_19radix_merge_compareILb0ELb0EaNS0_19identity_decomposerEEEEEvT0_T1_T2_T3_T4_SL_jT5_PKSL_NS1_7vsmem_tE.num_vgpr, 16
	.set _ZN7rocprim17ROCPRIM_304000_NS6detail35device_block_merge_mergepath_kernelINS1_37wrapped_merge_sort_block_merge_configINS0_14default_configEaN2at4cuda3cub6detail10OpaqueTypeILi8EEEEEPaSC_PSA_SD_jNS1_19radix_merge_compareILb0ELb0EaNS0_19identity_decomposerEEEEEvT0_T1_T2_T3_T4_SL_jT5_PKSL_NS1_7vsmem_tE.num_agpr, 0
	.set _ZN7rocprim17ROCPRIM_304000_NS6detail35device_block_merge_mergepath_kernelINS1_37wrapped_merge_sort_block_merge_configINS0_14default_configEaN2at4cuda3cub6detail10OpaqueTypeILi8EEEEEPaSC_PSA_SD_jNS1_19radix_merge_compareILb0ELb0EaNS0_19identity_decomposerEEEEEvT0_T1_T2_T3_T4_SL_jT5_PKSL_NS1_7vsmem_tE.numbered_sgpr, 28
	.set _ZN7rocprim17ROCPRIM_304000_NS6detail35device_block_merge_mergepath_kernelINS1_37wrapped_merge_sort_block_merge_configINS0_14default_configEaN2at4cuda3cub6detail10OpaqueTypeILi8EEEEEPaSC_PSA_SD_jNS1_19radix_merge_compareILb0ELb0EaNS0_19identity_decomposerEEEEEvT0_T1_T2_T3_T4_SL_jT5_PKSL_NS1_7vsmem_tE.num_named_barrier, 0
	.set _ZN7rocprim17ROCPRIM_304000_NS6detail35device_block_merge_mergepath_kernelINS1_37wrapped_merge_sort_block_merge_configINS0_14default_configEaN2at4cuda3cub6detail10OpaqueTypeILi8EEEEEPaSC_PSA_SD_jNS1_19radix_merge_compareILb0ELb0EaNS0_19identity_decomposerEEEEEvT0_T1_T2_T3_T4_SL_jT5_PKSL_NS1_7vsmem_tE.private_seg_size, 0
	.set _ZN7rocprim17ROCPRIM_304000_NS6detail35device_block_merge_mergepath_kernelINS1_37wrapped_merge_sort_block_merge_configINS0_14default_configEaN2at4cuda3cub6detail10OpaqueTypeILi8EEEEEPaSC_PSA_SD_jNS1_19radix_merge_compareILb0ELb0EaNS0_19identity_decomposerEEEEEvT0_T1_T2_T3_T4_SL_jT5_PKSL_NS1_7vsmem_tE.uses_vcc, 1
	.set _ZN7rocprim17ROCPRIM_304000_NS6detail35device_block_merge_mergepath_kernelINS1_37wrapped_merge_sort_block_merge_configINS0_14default_configEaN2at4cuda3cub6detail10OpaqueTypeILi8EEEEEPaSC_PSA_SD_jNS1_19radix_merge_compareILb0ELb0EaNS0_19identity_decomposerEEEEEvT0_T1_T2_T3_T4_SL_jT5_PKSL_NS1_7vsmem_tE.uses_flat_scratch, 0
	.set _ZN7rocprim17ROCPRIM_304000_NS6detail35device_block_merge_mergepath_kernelINS1_37wrapped_merge_sort_block_merge_configINS0_14default_configEaN2at4cuda3cub6detail10OpaqueTypeILi8EEEEEPaSC_PSA_SD_jNS1_19radix_merge_compareILb0ELb0EaNS0_19identity_decomposerEEEEEvT0_T1_T2_T3_T4_SL_jT5_PKSL_NS1_7vsmem_tE.has_dyn_sized_stack, 0
	.set _ZN7rocprim17ROCPRIM_304000_NS6detail35device_block_merge_mergepath_kernelINS1_37wrapped_merge_sort_block_merge_configINS0_14default_configEaN2at4cuda3cub6detail10OpaqueTypeILi8EEEEEPaSC_PSA_SD_jNS1_19radix_merge_compareILb0ELb0EaNS0_19identity_decomposerEEEEEvT0_T1_T2_T3_T4_SL_jT5_PKSL_NS1_7vsmem_tE.has_recursion, 0
	.set _ZN7rocprim17ROCPRIM_304000_NS6detail35device_block_merge_mergepath_kernelINS1_37wrapped_merge_sort_block_merge_configINS0_14default_configEaN2at4cuda3cub6detail10OpaqueTypeILi8EEEEEPaSC_PSA_SD_jNS1_19radix_merge_compareILb0ELb0EaNS0_19identity_decomposerEEEEEvT0_T1_T2_T3_T4_SL_jT5_PKSL_NS1_7vsmem_tE.has_indirect_call, 0
	.section	.AMDGPU.csdata,"",@progbits
; Kernel info:
; codeLenInByte = 1816
; TotalNumSgprs: 34
; NumVgprs: 16
; NumAgprs: 0
; TotalNumVgprs: 16
; ScratchSize: 0
; MemoryBound: 0
; FloatMode: 240
; IeeeMode: 1
; LDSByteSize: 8208 bytes/workgroup (compile time only)
; SGPRBlocks: 4
; VGPRBlocks: 1
; NumSGPRsForWavesPerEU: 34
; NumVGPRsForWavesPerEU: 16
; AccumOffset: 16
; Occupancy: 8
; WaveLimiterHint : 1
; COMPUTE_PGM_RSRC2:SCRATCH_EN: 0
; COMPUTE_PGM_RSRC2:USER_SGPR: 2
; COMPUTE_PGM_RSRC2:TRAP_HANDLER: 0
; COMPUTE_PGM_RSRC2:TGID_X_EN: 1
; COMPUTE_PGM_RSRC2:TGID_Y_EN: 1
; COMPUTE_PGM_RSRC2:TGID_Z_EN: 1
; COMPUTE_PGM_RSRC2:TIDIG_COMP_CNT: 0
; COMPUTE_PGM_RSRC3_GFX90A:ACCUM_OFFSET: 3
; COMPUTE_PGM_RSRC3_GFX90A:TG_SPLIT: 0
	.section	.text._ZN7rocprim17ROCPRIM_304000_NS6detail33device_block_merge_oddeven_kernelINS1_37wrapped_merge_sort_block_merge_configINS0_14default_configEaN2at4cuda3cub6detail10OpaqueTypeILi8EEEEEPaSC_PSA_SD_jNS1_19radix_merge_compareILb0ELb0EaNS0_19identity_decomposerEEEEEvT0_T1_T2_T3_T4_SL_T5_,"axG",@progbits,_ZN7rocprim17ROCPRIM_304000_NS6detail33device_block_merge_oddeven_kernelINS1_37wrapped_merge_sort_block_merge_configINS0_14default_configEaN2at4cuda3cub6detail10OpaqueTypeILi8EEEEEPaSC_PSA_SD_jNS1_19radix_merge_compareILb0ELb0EaNS0_19identity_decomposerEEEEEvT0_T1_T2_T3_T4_SL_T5_,comdat
	.protected	_ZN7rocprim17ROCPRIM_304000_NS6detail33device_block_merge_oddeven_kernelINS1_37wrapped_merge_sort_block_merge_configINS0_14default_configEaN2at4cuda3cub6detail10OpaqueTypeILi8EEEEEPaSC_PSA_SD_jNS1_19radix_merge_compareILb0ELb0EaNS0_19identity_decomposerEEEEEvT0_T1_T2_T3_T4_SL_T5_ ; -- Begin function _ZN7rocprim17ROCPRIM_304000_NS6detail33device_block_merge_oddeven_kernelINS1_37wrapped_merge_sort_block_merge_configINS0_14default_configEaN2at4cuda3cub6detail10OpaqueTypeILi8EEEEEPaSC_PSA_SD_jNS1_19radix_merge_compareILb0ELb0EaNS0_19identity_decomposerEEEEEvT0_T1_T2_T3_T4_SL_T5_
	.globl	_ZN7rocprim17ROCPRIM_304000_NS6detail33device_block_merge_oddeven_kernelINS1_37wrapped_merge_sort_block_merge_configINS0_14default_configEaN2at4cuda3cub6detail10OpaqueTypeILi8EEEEEPaSC_PSA_SD_jNS1_19radix_merge_compareILb0ELb0EaNS0_19identity_decomposerEEEEEvT0_T1_T2_T3_T4_SL_T5_
	.p2align	8
	.type	_ZN7rocprim17ROCPRIM_304000_NS6detail33device_block_merge_oddeven_kernelINS1_37wrapped_merge_sort_block_merge_configINS0_14default_configEaN2at4cuda3cub6detail10OpaqueTypeILi8EEEEEPaSC_PSA_SD_jNS1_19radix_merge_compareILb0ELb0EaNS0_19identity_decomposerEEEEEvT0_T1_T2_T3_T4_SL_T5_,@function
_ZN7rocprim17ROCPRIM_304000_NS6detail33device_block_merge_oddeven_kernelINS1_37wrapped_merge_sort_block_merge_configINS0_14default_configEaN2at4cuda3cub6detail10OpaqueTypeILi8EEEEEPaSC_PSA_SD_jNS1_19radix_merge_compareILb0ELb0EaNS0_19identity_decomposerEEEEEvT0_T1_T2_T3_T4_SL_T5_: ; @_ZN7rocprim17ROCPRIM_304000_NS6detail33device_block_merge_oddeven_kernelINS1_37wrapped_merge_sort_block_merge_configINS0_14default_configEaN2at4cuda3cub6detail10OpaqueTypeILi8EEEEEPaSC_PSA_SD_jNS1_19radix_merge_compareILb0ELb0EaNS0_19identity_decomposerEEEEEvT0_T1_T2_T3_T4_SL_T5_
; %bb.0:
	s_load_dwordx2 s[16:17], s[0:1], 0x20
	s_waitcnt lgkmcnt(0)
	s_lshr_b32 s3, s16, 8
	s_cmp_eq_u32 s2, s3
	s_cselect_b64 s[6:7], -1, 0
	s_cmp_lg_u32 s2, s3
	s_cselect_b64 s[8:9], -1, 0
	s_lshl_b32 s18, s2, 8
	s_sub_i32 s3, s16, s18
	v_cmp_gt_u32_e64 s[4:5], s3, v0
	s_or_b64 s[8:9], s[8:9], s[4:5]
	s_and_saveexec_b64 s[10:11], s[8:9]
	s_cbranch_execz .LBB43_24
; %bb.1:
	s_load_dwordx8 s[8:15], s[0:1], 0x0
	s_mov_b32 s19, 0
	v_lshlrev_b32_e32 v1, 3, v0
	s_waitcnt lgkmcnt(0)
	s_add_u32 s0, s8, s18
	s_addc_u32 s1, s9, 0
	s_lshl_b64 s[20:21], s[18:19], 3
	s_add_u32 s12, s12, s20
	s_addc_u32 s13, s13, s21
	global_load_dwordx2 v[2:3], v1, s[12:13]
	global_load_sbyte v4, v0, s[0:1]
	s_lshr_b32 s0, s17, 8
	s_sub_i32 s1, 0, s0
	s_and_b32 s1, s2, s1
	s_and_b32 s0, s1, s0
	s_lshl_b32 s19, s1, 8
	s_sub_i32 s12, 0, s17
	s_cmp_eq_u32 s0, 0
	s_cselect_b64 s[0:1], -1, 0
	s_and_b64 s[2:3], s[0:1], exec
	s_cselect_b32 s12, s17, s12
	s_add_i32 s12, s12, s19
	s_mov_b64 s[2:3], -1
	s_cmp_gt_u32 s16, s12
	v_add_u32_e32 v0, s18, v0
	s_cbranch_scc1 .LBB43_9
; %bb.2:
	s_and_b64 vcc, exec, s[6:7]
	s_cbranch_vccz .LBB43_6
; %bb.3:
	v_cmp_gt_u32_e32 vcc, s16, v0
	s_and_saveexec_b64 s[2:3], vcc
	s_cbranch_execz .LBB43_5
; %bb.4:
	v_mov_b32_e32 v1, 0
	v_lshl_add_u64 v[6:7], v[0:1], 3, s[14:15]
	s_waitcnt vmcnt(0)
	global_store_byte v0, v4, s[10:11]
	global_store_dwordx2 v[6:7], v[2:3], off
.LBB43_5:
	s_or_b64 exec, exec, s[2:3]
	s_mov_b64 s[2:3], 0
.LBB43_6:
	s_andn2_b64 vcc, exec, s[2:3]
	s_cbranch_vccnz .LBB43_8
; %bb.7:
	v_mov_b32_e32 v1, 0
	v_lshl_add_u64 v[6:7], v[0:1], 3, s[14:15]
	s_waitcnt vmcnt(0)
	global_store_byte v0, v4, s[10:11]
	global_store_dwordx2 v[6:7], v[2:3], off
.LBB43_8:
	s_mov_b64 s[2:3], 0
.LBB43_9:
	s_andn2_b64 vcc, exec, s[2:3]
	s_cbranch_vccnz .LBB43_24
; %bb.10:
	s_min_u32 s13, s12, s16
	s_add_i32 s2, s13, s17
	s_min_u32 s16, s2, s16
	s_min_u32 s2, s19, s13
	s_add_i32 s19, s19, s13
	v_subrev_u32_e32 v0, s19, v0
	v_add_u32_e32 v0, s2, v0
	s_andn2_b64 vcc, exec, s[6:7]
	s_mov_b64 s[2:3], -1
	s_cbranch_vccnz .LBB43_18
; %bb.11:
	s_and_saveexec_b64 s[2:3], s[4:5]
	s_cbranch_execz .LBB43_17
; %bb.12:
	s_cmp_ge_u32 s12, s16
	v_mov_b32_e32 v1, s13
	s_cbranch_scc1 .LBB43_16
; %bb.13:
	s_mov_b64 s[4:5], 0
	v_mov_b32_e32 v5, s16
	v_mov_b32_e32 v1, s13
.LBB43_14:                              ; =>This Inner Loop Header: Depth=1
	v_add_u32_e32 v6, v1, v5
	v_lshrrev_b32_e32 v6, 1, v6
	global_load_sbyte v7, v6, s[8:9]
	v_add_u32_e32 v8, 1, v6
	s_waitcnt vmcnt(0)
	v_cmp_gt_i16_e32 vcc, v4, v7
	s_nop 1
	v_cndmask_b32_e64 v9, 0, 1, vcc
	v_cmp_le_i16_e32 vcc, v7, v4
	s_nop 1
	v_cndmask_b32_e64 v7, 0, 1, vcc
	v_cndmask_b32_e64 v7, v7, v9, s[0:1]
	v_and_b32_e32 v7, 1, v7
	v_cmp_eq_u32_e32 vcc, 1, v7
	s_nop 1
	v_cndmask_b32_e32 v5, v6, v5, vcc
	v_cndmask_b32_e32 v1, v1, v8, vcc
	v_cmp_ge_u32_e32 vcc, v1, v5
	s_or_b64 s[4:5], vcc, s[4:5]
	s_andn2_b64 exec, exec, s[4:5]
	s_cbranch_execnz .LBB43_14
; %bb.15:
	s_or_b64 exec, exec, s[4:5]
.LBB43_16:
	v_add_u32_e32 v6, v1, v0
	v_mov_b32_e32 v7, 0
	s_waitcnt vmcnt(0)
	global_store_byte v6, v4, s[10:11]
	v_lshl_add_u64 v[6:7], v[6:7], 3, s[14:15]
	global_store_dwordx2 v[6:7], v[2:3], off
.LBB43_17:
	s_or_b64 exec, exec, s[2:3]
	s_mov_b64 s[2:3], 0
.LBB43_18:
	s_andn2_b64 vcc, exec, s[2:3]
	s_cbranch_vccnz .LBB43_24
; %bb.19:
	s_cmp_ge_u32 s12, s16
	v_mov_b32_e32 v1, s13
	s_cbranch_scc1 .LBB43_23
; %bb.20:
	s_mov_b64 s[2:3], 0
	v_mov_b32_e32 v5, s16
	v_mov_b32_e32 v1, s13
.LBB43_21:                              ; =>This Inner Loop Header: Depth=1
	v_add_u32_e32 v6, v1, v5
	v_lshrrev_b32_e32 v6, 1, v6
	global_load_sbyte v7, v6, s[8:9]
	v_add_u32_e32 v8, 1, v6
	s_waitcnt vmcnt(0)
	v_cmp_gt_i16_e32 vcc, v4, v7
	s_nop 1
	v_cndmask_b32_e64 v9, 0, 1, vcc
	v_cmp_le_i16_e32 vcc, v7, v4
	s_nop 1
	v_cndmask_b32_e64 v7, 0, 1, vcc
	v_cndmask_b32_e64 v7, v7, v9, s[0:1]
	v_and_b32_e32 v7, 1, v7
	v_cmp_eq_u32_e32 vcc, 1, v7
	s_nop 1
	v_cndmask_b32_e32 v5, v6, v5, vcc
	v_cndmask_b32_e32 v1, v1, v8, vcc
	v_cmp_ge_u32_e32 vcc, v1, v5
	s_or_b64 s[2:3], vcc, s[2:3]
	s_andn2_b64 exec, exec, s[2:3]
	s_cbranch_execnz .LBB43_21
; %bb.22:
	s_or_b64 exec, exec, s[2:3]
.LBB43_23:
	v_add_u32_e32 v0, v1, v0
	v_mov_b32_e32 v1, 0
	s_waitcnt vmcnt(0)
	global_store_byte v0, v4, s[10:11]
	v_lshl_add_u64 v[0:1], v[0:1], 3, s[14:15]
	global_store_dwordx2 v[0:1], v[2:3], off
.LBB43_24:
	s_endpgm
	.section	.rodata,"a",@progbits
	.p2align	6, 0x0
	.amdhsa_kernel _ZN7rocprim17ROCPRIM_304000_NS6detail33device_block_merge_oddeven_kernelINS1_37wrapped_merge_sort_block_merge_configINS0_14default_configEaN2at4cuda3cub6detail10OpaqueTypeILi8EEEEEPaSC_PSA_SD_jNS1_19radix_merge_compareILb0ELb0EaNS0_19identity_decomposerEEEEEvT0_T1_T2_T3_T4_SL_T5_
		.amdhsa_group_segment_fixed_size 0
		.amdhsa_private_segment_fixed_size 0
		.amdhsa_kernarg_size 44
		.amdhsa_user_sgpr_count 2
		.amdhsa_user_sgpr_dispatch_ptr 0
		.amdhsa_user_sgpr_queue_ptr 0
		.amdhsa_user_sgpr_kernarg_segment_ptr 1
		.amdhsa_user_sgpr_dispatch_id 0
		.amdhsa_user_sgpr_kernarg_preload_length 0
		.amdhsa_user_sgpr_kernarg_preload_offset 0
		.amdhsa_user_sgpr_private_segment_size 0
		.amdhsa_uses_dynamic_stack 0
		.amdhsa_enable_private_segment 0
		.amdhsa_system_sgpr_workgroup_id_x 1
		.amdhsa_system_sgpr_workgroup_id_y 0
		.amdhsa_system_sgpr_workgroup_id_z 0
		.amdhsa_system_sgpr_workgroup_info 0
		.amdhsa_system_vgpr_workitem_id 0
		.amdhsa_next_free_vgpr 10
		.amdhsa_next_free_sgpr 22
		.amdhsa_accum_offset 12
		.amdhsa_reserve_vcc 1
		.amdhsa_float_round_mode_32 0
		.amdhsa_float_round_mode_16_64 0
		.amdhsa_float_denorm_mode_32 3
		.amdhsa_float_denorm_mode_16_64 3
		.amdhsa_dx10_clamp 1
		.amdhsa_ieee_mode 1
		.amdhsa_fp16_overflow 0
		.amdhsa_tg_split 0
		.amdhsa_exception_fp_ieee_invalid_op 0
		.amdhsa_exception_fp_denorm_src 0
		.amdhsa_exception_fp_ieee_div_zero 0
		.amdhsa_exception_fp_ieee_overflow 0
		.amdhsa_exception_fp_ieee_underflow 0
		.amdhsa_exception_fp_ieee_inexact 0
		.amdhsa_exception_int_div_zero 0
	.end_amdhsa_kernel
	.section	.text._ZN7rocprim17ROCPRIM_304000_NS6detail33device_block_merge_oddeven_kernelINS1_37wrapped_merge_sort_block_merge_configINS0_14default_configEaN2at4cuda3cub6detail10OpaqueTypeILi8EEEEEPaSC_PSA_SD_jNS1_19radix_merge_compareILb0ELb0EaNS0_19identity_decomposerEEEEEvT0_T1_T2_T3_T4_SL_T5_,"axG",@progbits,_ZN7rocprim17ROCPRIM_304000_NS6detail33device_block_merge_oddeven_kernelINS1_37wrapped_merge_sort_block_merge_configINS0_14default_configEaN2at4cuda3cub6detail10OpaqueTypeILi8EEEEEPaSC_PSA_SD_jNS1_19radix_merge_compareILb0ELb0EaNS0_19identity_decomposerEEEEEvT0_T1_T2_T3_T4_SL_T5_,comdat
.Lfunc_end43:
	.size	_ZN7rocprim17ROCPRIM_304000_NS6detail33device_block_merge_oddeven_kernelINS1_37wrapped_merge_sort_block_merge_configINS0_14default_configEaN2at4cuda3cub6detail10OpaqueTypeILi8EEEEEPaSC_PSA_SD_jNS1_19radix_merge_compareILb0ELb0EaNS0_19identity_decomposerEEEEEvT0_T1_T2_T3_T4_SL_T5_, .Lfunc_end43-_ZN7rocprim17ROCPRIM_304000_NS6detail33device_block_merge_oddeven_kernelINS1_37wrapped_merge_sort_block_merge_configINS0_14default_configEaN2at4cuda3cub6detail10OpaqueTypeILi8EEEEEPaSC_PSA_SD_jNS1_19radix_merge_compareILb0ELb0EaNS0_19identity_decomposerEEEEEvT0_T1_T2_T3_T4_SL_T5_
                                        ; -- End function
	.set _ZN7rocprim17ROCPRIM_304000_NS6detail33device_block_merge_oddeven_kernelINS1_37wrapped_merge_sort_block_merge_configINS0_14default_configEaN2at4cuda3cub6detail10OpaqueTypeILi8EEEEEPaSC_PSA_SD_jNS1_19radix_merge_compareILb0ELb0EaNS0_19identity_decomposerEEEEEvT0_T1_T2_T3_T4_SL_T5_.num_vgpr, 10
	.set _ZN7rocprim17ROCPRIM_304000_NS6detail33device_block_merge_oddeven_kernelINS1_37wrapped_merge_sort_block_merge_configINS0_14default_configEaN2at4cuda3cub6detail10OpaqueTypeILi8EEEEEPaSC_PSA_SD_jNS1_19radix_merge_compareILb0ELb0EaNS0_19identity_decomposerEEEEEvT0_T1_T2_T3_T4_SL_T5_.num_agpr, 0
	.set _ZN7rocprim17ROCPRIM_304000_NS6detail33device_block_merge_oddeven_kernelINS1_37wrapped_merge_sort_block_merge_configINS0_14default_configEaN2at4cuda3cub6detail10OpaqueTypeILi8EEEEEPaSC_PSA_SD_jNS1_19radix_merge_compareILb0ELb0EaNS0_19identity_decomposerEEEEEvT0_T1_T2_T3_T4_SL_T5_.numbered_sgpr, 22
	.set _ZN7rocprim17ROCPRIM_304000_NS6detail33device_block_merge_oddeven_kernelINS1_37wrapped_merge_sort_block_merge_configINS0_14default_configEaN2at4cuda3cub6detail10OpaqueTypeILi8EEEEEPaSC_PSA_SD_jNS1_19radix_merge_compareILb0ELb0EaNS0_19identity_decomposerEEEEEvT0_T1_T2_T3_T4_SL_T5_.num_named_barrier, 0
	.set _ZN7rocprim17ROCPRIM_304000_NS6detail33device_block_merge_oddeven_kernelINS1_37wrapped_merge_sort_block_merge_configINS0_14default_configEaN2at4cuda3cub6detail10OpaqueTypeILi8EEEEEPaSC_PSA_SD_jNS1_19radix_merge_compareILb0ELb0EaNS0_19identity_decomposerEEEEEvT0_T1_T2_T3_T4_SL_T5_.private_seg_size, 0
	.set _ZN7rocprim17ROCPRIM_304000_NS6detail33device_block_merge_oddeven_kernelINS1_37wrapped_merge_sort_block_merge_configINS0_14default_configEaN2at4cuda3cub6detail10OpaqueTypeILi8EEEEEPaSC_PSA_SD_jNS1_19radix_merge_compareILb0ELb0EaNS0_19identity_decomposerEEEEEvT0_T1_T2_T3_T4_SL_T5_.uses_vcc, 1
	.set _ZN7rocprim17ROCPRIM_304000_NS6detail33device_block_merge_oddeven_kernelINS1_37wrapped_merge_sort_block_merge_configINS0_14default_configEaN2at4cuda3cub6detail10OpaqueTypeILi8EEEEEPaSC_PSA_SD_jNS1_19radix_merge_compareILb0ELb0EaNS0_19identity_decomposerEEEEEvT0_T1_T2_T3_T4_SL_T5_.uses_flat_scratch, 0
	.set _ZN7rocprim17ROCPRIM_304000_NS6detail33device_block_merge_oddeven_kernelINS1_37wrapped_merge_sort_block_merge_configINS0_14default_configEaN2at4cuda3cub6detail10OpaqueTypeILi8EEEEEPaSC_PSA_SD_jNS1_19radix_merge_compareILb0ELb0EaNS0_19identity_decomposerEEEEEvT0_T1_T2_T3_T4_SL_T5_.has_dyn_sized_stack, 0
	.set _ZN7rocprim17ROCPRIM_304000_NS6detail33device_block_merge_oddeven_kernelINS1_37wrapped_merge_sort_block_merge_configINS0_14default_configEaN2at4cuda3cub6detail10OpaqueTypeILi8EEEEEPaSC_PSA_SD_jNS1_19radix_merge_compareILb0ELb0EaNS0_19identity_decomposerEEEEEvT0_T1_T2_T3_T4_SL_T5_.has_recursion, 0
	.set _ZN7rocprim17ROCPRIM_304000_NS6detail33device_block_merge_oddeven_kernelINS1_37wrapped_merge_sort_block_merge_configINS0_14default_configEaN2at4cuda3cub6detail10OpaqueTypeILi8EEEEEPaSC_PSA_SD_jNS1_19radix_merge_compareILb0ELb0EaNS0_19identity_decomposerEEEEEvT0_T1_T2_T3_T4_SL_T5_.has_indirect_call, 0
	.section	.AMDGPU.csdata,"",@progbits
; Kernel info:
; codeLenInByte = 684
; TotalNumSgprs: 28
; NumVgprs: 10
; NumAgprs: 0
; TotalNumVgprs: 10
; ScratchSize: 0
; MemoryBound: 0
; FloatMode: 240
; IeeeMode: 1
; LDSByteSize: 0 bytes/workgroup (compile time only)
; SGPRBlocks: 3
; VGPRBlocks: 1
; NumSGPRsForWavesPerEU: 28
; NumVGPRsForWavesPerEU: 10
; AccumOffset: 12
; Occupancy: 8
; WaveLimiterHint : 0
; COMPUTE_PGM_RSRC2:SCRATCH_EN: 0
; COMPUTE_PGM_RSRC2:USER_SGPR: 2
; COMPUTE_PGM_RSRC2:TRAP_HANDLER: 0
; COMPUTE_PGM_RSRC2:TGID_X_EN: 1
; COMPUTE_PGM_RSRC2:TGID_Y_EN: 0
; COMPUTE_PGM_RSRC2:TGID_Z_EN: 0
; COMPUTE_PGM_RSRC2:TIDIG_COMP_CNT: 0
; COMPUTE_PGM_RSRC3_GFX90A:ACCUM_OFFSET: 2
; COMPUTE_PGM_RSRC3_GFX90A:TG_SPLIT: 0
	.section	.text._ZN7rocprim17ROCPRIM_304000_NS6detail45device_block_merge_mergepath_partition_kernelINS1_37wrapped_merge_sort_block_merge_configINS0_14default_configEaN2at4cuda3cub6detail10OpaqueTypeILi8EEEEEPajNS1_19radix_merge_compareILb0ELb1EaNS0_19identity_decomposerEEEEEvT0_T1_jPSH_T2_SH_,"axG",@progbits,_ZN7rocprim17ROCPRIM_304000_NS6detail45device_block_merge_mergepath_partition_kernelINS1_37wrapped_merge_sort_block_merge_configINS0_14default_configEaN2at4cuda3cub6detail10OpaqueTypeILi8EEEEEPajNS1_19radix_merge_compareILb0ELb1EaNS0_19identity_decomposerEEEEEvT0_T1_jPSH_T2_SH_,comdat
	.protected	_ZN7rocprim17ROCPRIM_304000_NS6detail45device_block_merge_mergepath_partition_kernelINS1_37wrapped_merge_sort_block_merge_configINS0_14default_configEaN2at4cuda3cub6detail10OpaqueTypeILi8EEEEEPajNS1_19radix_merge_compareILb0ELb1EaNS0_19identity_decomposerEEEEEvT0_T1_jPSH_T2_SH_ ; -- Begin function _ZN7rocprim17ROCPRIM_304000_NS6detail45device_block_merge_mergepath_partition_kernelINS1_37wrapped_merge_sort_block_merge_configINS0_14default_configEaN2at4cuda3cub6detail10OpaqueTypeILi8EEEEEPajNS1_19radix_merge_compareILb0ELb1EaNS0_19identity_decomposerEEEEEvT0_T1_jPSH_T2_SH_
	.globl	_ZN7rocprim17ROCPRIM_304000_NS6detail45device_block_merge_mergepath_partition_kernelINS1_37wrapped_merge_sort_block_merge_configINS0_14default_configEaN2at4cuda3cub6detail10OpaqueTypeILi8EEEEEPajNS1_19radix_merge_compareILb0ELb1EaNS0_19identity_decomposerEEEEEvT0_T1_jPSH_T2_SH_
	.p2align	8
	.type	_ZN7rocprim17ROCPRIM_304000_NS6detail45device_block_merge_mergepath_partition_kernelINS1_37wrapped_merge_sort_block_merge_configINS0_14default_configEaN2at4cuda3cub6detail10OpaqueTypeILi8EEEEEPajNS1_19radix_merge_compareILb0ELb1EaNS0_19identity_decomposerEEEEEvT0_T1_jPSH_T2_SH_,@function
_ZN7rocprim17ROCPRIM_304000_NS6detail45device_block_merge_mergepath_partition_kernelINS1_37wrapped_merge_sort_block_merge_configINS0_14default_configEaN2at4cuda3cub6detail10OpaqueTypeILi8EEEEEPajNS1_19radix_merge_compareILb0ELb1EaNS0_19identity_decomposerEEEEEvT0_T1_jPSH_T2_SH_: ; @_ZN7rocprim17ROCPRIM_304000_NS6detail45device_block_merge_mergepath_partition_kernelINS1_37wrapped_merge_sort_block_merge_configINS0_14default_configEaN2at4cuda3cub6detail10OpaqueTypeILi8EEEEEPajNS1_19radix_merge_compareILb0ELb1EaNS0_19identity_decomposerEEEEEvT0_T1_jPSH_T2_SH_
; %bb.0:
	s_load_dwordx2 s[4:5], s[0:1], 0x8
	v_lshl_or_b32 v0, s2, 7, v0
	s_waitcnt lgkmcnt(0)
	v_cmp_gt_u32_e32 vcc, s5, v0
	s_and_saveexec_b64 s[2:3], vcc
	s_cbranch_execz .LBB44_6
; %bb.1:
	s_load_dwordx2 s[2:3], s[0:1], 0x18
	s_waitcnt lgkmcnt(0)
	s_lshr_b32 s5, s3, 9
	s_and_b32 s5, s5, 0x7ffffe
	s_add_i32 s6, s5, -1
	s_sub_i32 s5, 0, s5
	v_and_b32_e32 v1, s5, v0
	v_and_b32_e32 v2, s6, v0
	v_lshlrev_b32_e32 v1, 10, v1
	v_lshlrev_b32_e32 v3, 10, v2
	v_min_u32_e32 v2, s4, v1
	v_add_u32_e32 v1, s3, v1
	v_min_u32_e32 v4, s4, v1
	v_add_u32_e32 v1, s3, v4
	v_min_u32_e32 v1, s4, v1
	v_sub_u32_e32 v5, v1, v2
	v_min_u32_e32 v10, v5, v3
	v_sub_u32_e32 v3, v4, v2
	v_sub_u32_e32 v1, v1, v4
	v_sub_u32_e64 v1, v10, v1 clamp
	v_min_u32_e32 v11, v10, v3
	v_cmp_lt_u32_e32 vcc, v1, v11
	s_and_saveexec_b64 s[4:5], vcc
	s_cbranch_execz .LBB44_5
; %bb.2:
	s_load_dwordx2 s[6:7], s[0:1], 0x0
	v_mov_b32_e32 v5, 0
	v_mov_b32_e32 v3, v5
	s_waitcnt lgkmcnt(0)
	v_lshl_add_u64 v[6:7], s[6:7], 0, v[2:3]
	v_lshl_add_u64 v[8:9], s[6:7], 0, v[4:5]
	s_mov_b64 s[6:7], 0
.LBB44_3:                               ; =>This Inner Loop Header: Depth=1
	v_add_u32_e32 v3, v11, v1
	v_lshrrev_b32_e32 v4, 1, v3
	v_mov_b32_e32 v13, v5
	v_xad_u32 v12, v4, -1, v10
	v_lshl_add_u64 v[14:15], v[6:7], 0, v[4:5]
	v_lshl_add_u64 v[12:13], v[8:9], 0, v[12:13]
	global_load_ubyte v3, v[14:15], off
	global_load_ubyte v16, v[12:13], off
	v_add_u32_e32 v12, 1, v4
	s_waitcnt vmcnt(1)
	v_and_b32_e32 v3, s2, v3
	s_waitcnt vmcnt(0)
	v_and_b32_e32 v13, s2, v16
	v_cmp_gt_i16_sdwa vcc, sext(v3), sext(v13) src0_sel:BYTE_0 src1_sel:BYTE_0
	s_nop 1
	v_cndmask_b32_e32 v11, v11, v4, vcc
	v_cndmask_b32_e32 v1, v12, v1, vcc
	v_cmp_ge_u32_e32 vcc, v1, v11
	s_or_b64 s[6:7], vcc, s[6:7]
	s_andn2_b64 exec, exec, s[6:7]
	s_cbranch_execnz .LBB44_3
; %bb.4:
	s_or_b64 exec, exec, s[6:7]
.LBB44_5:
	s_or_b64 exec, exec, s[4:5]
	s_load_dwordx2 s[0:1], s[0:1], 0x10
	v_add_u32_e32 v2, v1, v2
	v_mov_b32_e32 v1, 0
	s_waitcnt lgkmcnt(0)
	v_lshl_add_u64 v[0:1], v[0:1], 2, s[0:1]
	global_store_dword v[0:1], v2, off
.LBB44_6:
	s_endpgm
	.section	.rodata,"a",@progbits
	.p2align	6, 0x0
	.amdhsa_kernel _ZN7rocprim17ROCPRIM_304000_NS6detail45device_block_merge_mergepath_partition_kernelINS1_37wrapped_merge_sort_block_merge_configINS0_14default_configEaN2at4cuda3cub6detail10OpaqueTypeILi8EEEEEPajNS1_19radix_merge_compareILb0ELb1EaNS0_19identity_decomposerEEEEEvT0_T1_jPSH_T2_SH_
		.amdhsa_group_segment_fixed_size 0
		.amdhsa_private_segment_fixed_size 0
		.amdhsa_kernarg_size 32
		.amdhsa_user_sgpr_count 2
		.amdhsa_user_sgpr_dispatch_ptr 0
		.amdhsa_user_sgpr_queue_ptr 0
		.amdhsa_user_sgpr_kernarg_segment_ptr 1
		.amdhsa_user_sgpr_dispatch_id 0
		.amdhsa_user_sgpr_kernarg_preload_length 0
		.amdhsa_user_sgpr_kernarg_preload_offset 0
		.amdhsa_user_sgpr_private_segment_size 0
		.amdhsa_uses_dynamic_stack 0
		.amdhsa_enable_private_segment 0
		.amdhsa_system_sgpr_workgroup_id_x 1
		.amdhsa_system_sgpr_workgroup_id_y 0
		.amdhsa_system_sgpr_workgroup_id_z 0
		.amdhsa_system_sgpr_workgroup_info 0
		.amdhsa_system_vgpr_workitem_id 0
		.amdhsa_next_free_vgpr 17
		.amdhsa_next_free_sgpr 8
		.amdhsa_accum_offset 20
		.amdhsa_reserve_vcc 1
		.amdhsa_float_round_mode_32 0
		.amdhsa_float_round_mode_16_64 0
		.amdhsa_float_denorm_mode_32 3
		.amdhsa_float_denorm_mode_16_64 3
		.amdhsa_dx10_clamp 1
		.amdhsa_ieee_mode 1
		.amdhsa_fp16_overflow 0
		.amdhsa_tg_split 0
		.amdhsa_exception_fp_ieee_invalid_op 0
		.amdhsa_exception_fp_denorm_src 0
		.amdhsa_exception_fp_ieee_div_zero 0
		.amdhsa_exception_fp_ieee_overflow 0
		.amdhsa_exception_fp_ieee_underflow 0
		.amdhsa_exception_fp_ieee_inexact 0
		.amdhsa_exception_int_div_zero 0
	.end_amdhsa_kernel
	.section	.text._ZN7rocprim17ROCPRIM_304000_NS6detail45device_block_merge_mergepath_partition_kernelINS1_37wrapped_merge_sort_block_merge_configINS0_14default_configEaN2at4cuda3cub6detail10OpaqueTypeILi8EEEEEPajNS1_19radix_merge_compareILb0ELb1EaNS0_19identity_decomposerEEEEEvT0_T1_jPSH_T2_SH_,"axG",@progbits,_ZN7rocprim17ROCPRIM_304000_NS6detail45device_block_merge_mergepath_partition_kernelINS1_37wrapped_merge_sort_block_merge_configINS0_14default_configEaN2at4cuda3cub6detail10OpaqueTypeILi8EEEEEPajNS1_19radix_merge_compareILb0ELb1EaNS0_19identity_decomposerEEEEEvT0_T1_jPSH_T2_SH_,comdat
.Lfunc_end44:
	.size	_ZN7rocprim17ROCPRIM_304000_NS6detail45device_block_merge_mergepath_partition_kernelINS1_37wrapped_merge_sort_block_merge_configINS0_14default_configEaN2at4cuda3cub6detail10OpaqueTypeILi8EEEEEPajNS1_19radix_merge_compareILb0ELb1EaNS0_19identity_decomposerEEEEEvT0_T1_jPSH_T2_SH_, .Lfunc_end44-_ZN7rocprim17ROCPRIM_304000_NS6detail45device_block_merge_mergepath_partition_kernelINS1_37wrapped_merge_sort_block_merge_configINS0_14default_configEaN2at4cuda3cub6detail10OpaqueTypeILi8EEEEEPajNS1_19radix_merge_compareILb0ELb1EaNS0_19identity_decomposerEEEEEvT0_T1_jPSH_T2_SH_
                                        ; -- End function
	.set _ZN7rocprim17ROCPRIM_304000_NS6detail45device_block_merge_mergepath_partition_kernelINS1_37wrapped_merge_sort_block_merge_configINS0_14default_configEaN2at4cuda3cub6detail10OpaqueTypeILi8EEEEEPajNS1_19radix_merge_compareILb0ELb1EaNS0_19identity_decomposerEEEEEvT0_T1_jPSH_T2_SH_.num_vgpr, 17
	.set _ZN7rocprim17ROCPRIM_304000_NS6detail45device_block_merge_mergepath_partition_kernelINS1_37wrapped_merge_sort_block_merge_configINS0_14default_configEaN2at4cuda3cub6detail10OpaqueTypeILi8EEEEEPajNS1_19radix_merge_compareILb0ELb1EaNS0_19identity_decomposerEEEEEvT0_T1_jPSH_T2_SH_.num_agpr, 0
	.set _ZN7rocprim17ROCPRIM_304000_NS6detail45device_block_merge_mergepath_partition_kernelINS1_37wrapped_merge_sort_block_merge_configINS0_14default_configEaN2at4cuda3cub6detail10OpaqueTypeILi8EEEEEPajNS1_19radix_merge_compareILb0ELb1EaNS0_19identity_decomposerEEEEEvT0_T1_jPSH_T2_SH_.numbered_sgpr, 8
	.set _ZN7rocprim17ROCPRIM_304000_NS6detail45device_block_merge_mergepath_partition_kernelINS1_37wrapped_merge_sort_block_merge_configINS0_14default_configEaN2at4cuda3cub6detail10OpaqueTypeILi8EEEEEPajNS1_19radix_merge_compareILb0ELb1EaNS0_19identity_decomposerEEEEEvT0_T1_jPSH_T2_SH_.num_named_barrier, 0
	.set _ZN7rocprim17ROCPRIM_304000_NS6detail45device_block_merge_mergepath_partition_kernelINS1_37wrapped_merge_sort_block_merge_configINS0_14default_configEaN2at4cuda3cub6detail10OpaqueTypeILi8EEEEEPajNS1_19radix_merge_compareILb0ELb1EaNS0_19identity_decomposerEEEEEvT0_T1_jPSH_T2_SH_.private_seg_size, 0
	.set _ZN7rocprim17ROCPRIM_304000_NS6detail45device_block_merge_mergepath_partition_kernelINS1_37wrapped_merge_sort_block_merge_configINS0_14default_configEaN2at4cuda3cub6detail10OpaqueTypeILi8EEEEEPajNS1_19radix_merge_compareILb0ELb1EaNS0_19identity_decomposerEEEEEvT0_T1_jPSH_T2_SH_.uses_vcc, 1
	.set _ZN7rocprim17ROCPRIM_304000_NS6detail45device_block_merge_mergepath_partition_kernelINS1_37wrapped_merge_sort_block_merge_configINS0_14default_configEaN2at4cuda3cub6detail10OpaqueTypeILi8EEEEEPajNS1_19radix_merge_compareILb0ELb1EaNS0_19identity_decomposerEEEEEvT0_T1_jPSH_T2_SH_.uses_flat_scratch, 0
	.set _ZN7rocprim17ROCPRIM_304000_NS6detail45device_block_merge_mergepath_partition_kernelINS1_37wrapped_merge_sort_block_merge_configINS0_14default_configEaN2at4cuda3cub6detail10OpaqueTypeILi8EEEEEPajNS1_19radix_merge_compareILb0ELb1EaNS0_19identity_decomposerEEEEEvT0_T1_jPSH_T2_SH_.has_dyn_sized_stack, 0
	.set _ZN7rocprim17ROCPRIM_304000_NS6detail45device_block_merge_mergepath_partition_kernelINS1_37wrapped_merge_sort_block_merge_configINS0_14default_configEaN2at4cuda3cub6detail10OpaqueTypeILi8EEEEEPajNS1_19radix_merge_compareILb0ELb1EaNS0_19identity_decomposerEEEEEvT0_T1_jPSH_T2_SH_.has_recursion, 0
	.set _ZN7rocprim17ROCPRIM_304000_NS6detail45device_block_merge_mergepath_partition_kernelINS1_37wrapped_merge_sort_block_merge_configINS0_14default_configEaN2at4cuda3cub6detail10OpaqueTypeILi8EEEEEPajNS1_19radix_merge_compareILb0ELb1EaNS0_19identity_decomposerEEEEEvT0_T1_jPSH_T2_SH_.has_indirect_call, 0
	.section	.AMDGPU.csdata,"",@progbits
; Kernel info:
; codeLenInByte = 336
; TotalNumSgprs: 14
; NumVgprs: 17
; NumAgprs: 0
; TotalNumVgprs: 17
; ScratchSize: 0
; MemoryBound: 0
; FloatMode: 240
; IeeeMode: 1
; LDSByteSize: 0 bytes/workgroup (compile time only)
; SGPRBlocks: 1
; VGPRBlocks: 2
; NumSGPRsForWavesPerEU: 14
; NumVGPRsForWavesPerEU: 17
; AccumOffset: 20
; Occupancy: 8
; WaveLimiterHint : 0
; COMPUTE_PGM_RSRC2:SCRATCH_EN: 0
; COMPUTE_PGM_RSRC2:USER_SGPR: 2
; COMPUTE_PGM_RSRC2:TRAP_HANDLER: 0
; COMPUTE_PGM_RSRC2:TGID_X_EN: 1
; COMPUTE_PGM_RSRC2:TGID_Y_EN: 0
; COMPUTE_PGM_RSRC2:TGID_Z_EN: 0
; COMPUTE_PGM_RSRC2:TIDIG_COMP_CNT: 0
; COMPUTE_PGM_RSRC3_GFX90A:ACCUM_OFFSET: 4
; COMPUTE_PGM_RSRC3_GFX90A:TG_SPLIT: 0
	.section	.text._ZN7rocprim17ROCPRIM_304000_NS6detail35device_block_merge_mergepath_kernelINS1_37wrapped_merge_sort_block_merge_configINS0_14default_configEaN2at4cuda3cub6detail10OpaqueTypeILi8EEEEEPaSC_PSA_SD_jNS1_19radix_merge_compareILb0ELb1EaNS0_19identity_decomposerEEEEEvT0_T1_T2_T3_T4_SL_jT5_PKSL_NS1_7vsmem_tE,"axG",@progbits,_ZN7rocprim17ROCPRIM_304000_NS6detail35device_block_merge_mergepath_kernelINS1_37wrapped_merge_sort_block_merge_configINS0_14default_configEaN2at4cuda3cub6detail10OpaqueTypeILi8EEEEEPaSC_PSA_SD_jNS1_19radix_merge_compareILb0ELb1EaNS0_19identity_decomposerEEEEEvT0_T1_T2_T3_T4_SL_jT5_PKSL_NS1_7vsmem_tE,comdat
	.protected	_ZN7rocprim17ROCPRIM_304000_NS6detail35device_block_merge_mergepath_kernelINS1_37wrapped_merge_sort_block_merge_configINS0_14default_configEaN2at4cuda3cub6detail10OpaqueTypeILi8EEEEEPaSC_PSA_SD_jNS1_19radix_merge_compareILb0ELb1EaNS0_19identity_decomposerEEEEEvT0_T1_T2_T3_T4_SL_jT5_PKSL_NS1_7vsmem_tE ; -- Begin function _ZN7rocprim17ROCPRIM_304000_NS6detail35device_block_merge_mergepath_kernelINS1_37wrapped_merge_sort_block_merge_configINS0_14default_configEaN2at4cuda3cub6detail10OpaqueTypeILi8EEEEEPaSC_PSA_SD_jNS1_19radix_merge_compareILb0ELb1EaNS0_19identity_decomposerEEEEEvT0_T1_T2_T3_T4_SL_jT5_PKSL_NS1_7vsmem_tE
	.globl	_ZN7rocprim17ROCPRIM_304000_NS6detail35device_block_merge_mergepath_kernelINS1_37wrapped_merge_sort_block_merge_configINS0_14default_configEaN2at4cuda3cub6detail10OpaqueTypeILi8EEEEEPaSC_PSA_SD_jNS1_19radix_merge_compareILb0ELb1EaNS0_19identity_decomposerEEEEEvT0_T1_T2_T3_T4_SL_jT5_PKSL_NS1_7vsmem_tE
	.p2align	8
	.type	_ZN7rocprim17ROCPRIM_304000_NS6detail35device_block_merge_mergepath_kernelINS1_37wrapped_merge_sort_block_merge_configINS0_14default_configEaN2at4cuda3cub6detail10OpaqueTypeILi8EEEEEPaSC_PSA_SD_jNS1_19radix_merge_compareILb0ELb1EaNS0_19identity_decomposerEEEEEvT0_T1_T2_T3_T4_SL_jT5_PKSL_NS1_7vsmem_tE,@function
_ZN7rocprim17ROCPRIM_304000_NS6detail35device_block_merge_mergepath_kernelINS1_37wrapped_merge_sort_block_merge_configINS0_14default_configEaN2at4cuda3cub6detail10OpaqueTypeILi8EEEEEPaSC_PSA_SD_jNS1_19radix_merge_compareILb0ELb1EaNS0_19identity_decomposerEEEEEvT0_T1_T2_T3_T4_SL_jT5_PKSL_NS1_7vsmem_tE: ; @_ZN7rocprim17ROCPRIM_304000_NS6detail35device_block_merge_mergepath_kernelINS1_37wrapped_merge_sort_block_merge_configINS0_14default_configEaN2at4cuda3cub6detail10OpaqueTypeILi8EEEEEPaSC_PSA_SD_jNS1_19radix_merge_compareILb0ELb1EaNS0_19identity_decomposerEEEEEvT0_T1_T2_T3_T4_SL_jT5_PKSL_NS1_7vsmem_tE
; %bb.0:
	s_load_dwordx2 s[26:27], s[0:1], 0x40
	s_load_dwordx4 s[12:15], s[0:1], 0x20
	s_add_u32 s24, s0, 64
	s_addc_u32 s25, s1, 0
	s_waitcnt lgkmcnt(0)
	s_mul_i32 s4, s27, s4
	s_add_i32 s3, s4, s3
	s_mul_i32 s3, s3, s26
	s_add_i32 s22, s3, s2
	s_cmp_ge_u32 s22, s14
	s_cbranch_scc1 .LBB45_51
; %bb.1:
	s_load_dwordx8 s[4:11], s[0:1], 0x0
	s_load_dwordx2 s[18:19], s[0:1], 0x30
	s_lshr_b32 s14, s12, 10
	s_cmp_lg_u32 s22, s14
	s_mov_b32 s23, 0
	s_cselect_b64 s[16:17], -1, 0
	s_lshl_b64 s[0:1], s[22:23], 2
	s_waitcnt lgkmcnt(0)
	s_add_u32 s0, s18, s0
	s_addc_u32 s1, s19, s1
	s_load_dwordx2 s[18:19], s[0:1], 0x0
	s_lshr_b32 s0, s13, 9
	s_and_b32 s0, s0, 0x7ffffe
	s_sub_i32 s0, 0, s0
	s_and_b32 s1, s22, s0
	s_lshl_b32 s3, s1, 10
	s_lshl_b32 s27, s22, 10
	;; [unrolled: 1-line block ×3, first 2 shown]
	s_sub_i32 s20, s27, s3
	s_add_i32 s1, s1, s13
	s_add_i32 s21, s1, s20
	s_waitcnt lgkmcnt(0)
	s_sub_i32 s20, s21, s18
	s_sub_i32 s21, s21, s19
	s_sub_i32 s1, s1, s3
	s_min_u32 s20, s12, s20
	s_addk_i32 s21, 0x400
	s_or_b32 s0, s22, s0
	s_min_u32 s3, s12, s1
	s_add_i32 s1, s1, s13
	s_cmp_eq_u32 s0, -1
	s_cselect_b32 s0, s1, s21
	s_cselect_b32 s1, s3, s19
	s_min_u32 s0, s0, s12
	s_sub_i32 s13, s1, s18
	s_sub_i32 s28, s0, s20
	s_add_u32 s0, s4, s18
	s_addc_u32 s1, s5, 0
	s_add_u32 s4, s4, s20
	s_addc_u32 s5, s5, 0
	s_cmp_lt_u32 s2, s26
	v_mov_b32_e32 v1, 0
	s_cselect_b32 s2, 12, 18
	global_load_dword v2, v1, s[24:25] offset:14
	s_add_u32 s2, s24, s2
	s_addc_u32 s3, s25, 0
	global_load_ushort v3, v1, s[2:3]
	s_mov_b32 s19, s23
	s_mov_b32 s21, s23
	s_cmp_eq_u32 s22, s14
	s_waitcnt vmcnt(1)
	v_lshrrev_b32_e32 v4, 16, v2
	v_and_b32_e32 v2, 0xffff, v2
	v_mul_lo_u32 v2, v2, v4
	s_waitcnt vmcnt(0)
	v_mul_lo_u32 v2, v2, v3
	v_add_u32_e32 v2, v2, v0
	s_cbranch_scc1 .LBB45_3
; %bb.2:
	v_subrev_co_u32_e32 v6, vcc, s13, v0
	v_mov_b32_e32 v7, v1
	v_lshl_add_u64 v[4:5], s[0:1], 0, v[0:1]
	v_lshl_add_u64 v[6:7], s[4:5], 0, v[6:7]
	v_cndmask_b32_e32 v5, v7, v5, vcc
	v_cndmask_b32_e32 v4, v6, v4, vcc
	v_mov_b32_e32 v3, v1
	v_subrev_co_u32_e32 v8, vcc, s13, v2
	v_mov_b32_e32 v9, v1
	v_lshl_add_u64 v[6:7], s[0:1], 0, v[2:3]
	v_lshl_add_u64 v[8:9], s[4:5], 0, v[8:9]
	v_cndmask_b32_e32 v7, v9, v7, vcc
	v_cndmask_b32_e32 v6, v8, v6, vcc
	global_load_ubyte v1, v[4:5], off
	global_load_ubyte v3, v[6:7], off
	s_mov_b32 s14, 0xc0c0004
	s_add_i32 s22, s28, s13
	v_mov_b32_e32 v8, s22
	s_waitcnt vmcnt(0)
	v_perm_b32 v6, v1, v3, s14
	s_cbranch_execz .LBB45_4
	s_branch .LBB45_9
.LBB45_3:
                                        ; implicit-def: $vgpr6
                                        ; implicit-def: $vgpr8
.LBB45_4:
	s_add_i32 s14, s28, s13
	v_cmp_gt_u32_e32 vcc, s14, v0
	v_mov_b32_e32 v6, 0
	s_and_saveexec_b64 s[2:3], vcc
	s_cbranch_execz .LBB45_6
; %bb.5:
	v_mov_b32_e32 v1, 0
	v_subrev_co_u32_e32 v6, vcc, s13, v0
	v_mov_b32_e32 v7, v1
	v_lshl_add_u64 v[4:5], s[0:1], 0, v[0:1]
	v_lshl_add_u64 v[6:7], s[4:5], 0, v[6:7]
	v_cndmask_b32_e32 v5, v7, v5, vcc
	v_cndmask_b32_e32 v4, v6, v4, vcc
	global_load_ubyte v6, v[4:5], off
.LBB45_6:
	s_or_b64 exec, exec, s[2:3]
	v_cmp_gt_u32_e32 vcc, s14, v2
	s_and_saveexec_b64 s[2:3], vcc
	s_cbranch_execz .LBB45_8
; %bb.7:
	v_mov_b32_e32 v3, 0
	v_lshl_add_u64 v[4:5], s[0:1], 0, v[2:3]
	v_subrev_co_u32_e32 v2, vcc, s13, v2
	v_lshl_add_u64 v[2:3], s[4:5], 0, v[2:3]
	s_nop 0
	v_cndmask_b32_e32 v3, v3, v5, vcc
	v_cndmask_b32_e32 v2, v2, v4, vcc
	global_load_ubyte v1, v[2:3], off
	s_waitcnt vmcnt(0)
	v_lshlrev_b16_e32 v1, 8, v1
	v_or_b32_e32 v1, v6, v1
	v_and_b32_e32 v6, 0xffff, v1
.LBB45_8:
	s_or_b64 exec, exec, s[2:3]
	v_mov_b32_e32 v8, s14
.LBB45_9:
	v_lshlrev_b32_e32 v7, 1, v0
	s_waitcnt vmcnt(0)
	v_lshrrev_b16_e32 v1, 8, v6
	v_min_u32_e32 v2, v8, v7
	ds_write_b8 v0, v1 offset:512
	v_sub_u32_e64 v1, v2, s28 clamp
	v_min_u32_e32 v3, s13, v2
	v_cmp_lt_u32_e32 vcc, v1, v3
	ds_write_b8 v0, v6
	s_waitcnt lgkmcnt(0)
	s_barrier
	s_and_saveexec_b64 s[0:1], vcc
	s_cbranch_execz .LBB45_13
; %bb.10:
	v_add_u32_e32 v4, s13, v2
	s_mov_b64 s[2:3], 0
.LBB45_11:                              ; =>This Inner Loop Header: Depth=1
	v_add_u32_e32 v5, v3, v1
	v_lshrrev_b32_e32 v5, 1, v5
	v_xad_u32 v9, v5, -1, v4
	ds_read_u8 v10, v5
	ds_read_u8 v9, v9
	v_add_u32_e32 v11, 1, v5
	s_waitcnt lgkmcnt(1)
	v_and_b32_e32 v10, s15, v10
	s_waitcnt lgkmcnt(0)
	v_and_b32_e32 v9, s15, v9
	v_cmp_gt_i16_sdwa vcc, sext(v10), sext(v9) src0_sel:BYTE_0 src1_sel:BYTE_0
	s_nop 1
	v_cndmask_b32_e32 v3, v3, v5, vcc
	v_cndmask_b32_e32 v1, v11, v1, vcc
	v_cmp_ge_u32_e32 vcc, v1, v3
	s_or_b64 s[2:3], vcc, s[2:3]
	s_andn2_b64 exec, exec, s[2:3]
	s_cbranch_execnz .LBB45_11
; %bb.12:
	s_or_b64 exec, exec, s[2:3]
.LBB45_13:
	s_or_b64 exec, exec, s[0:1]
	v_sub_u32_e32 v2, v2, v1
	v_add_u32_e32 v2, s13, v2
	v_cmp_ge_u32_e32 vcc, s13, v1
	v_cmp_le_u32_e64 s[0:1], v2, v8
	s_or_b64 s[0:1], vcc, s[0:1]
	v_mov_b32_e32 v9, 0
	v_mov_b32_e32 v10, 0
	s_and_saveexec_b64 s[4:5], s[0:1]
	s_cbranch_execz .LBB45_19
; %bb.14:
	v_cmp_gt_u32_e32 vcc, s13, v1
                                        ; implicit-def: $vgpr3
	s_and_saveexec_b64 s[0:1], vcc
; %bb.15:
	ds_read_u8 v3, v1
; %bb.16:
	s_or_b64 exec, exec, s[0:1]
	v_cmp_ge_u32_e64 s[0:1], v2, v8
	v_cmp_lt_u32_e64 s[2:3], v2, v8
                                        ; implicit-def: $vgpr4
	s_and_saveexec_b64 s[22:23], s[2:3]
; %bb.17:
	ds_read_u8 v4, v2
; %bb.18:
	s_or_b64 exec, exec, s[22:23]
	s_waitcnt lgkmcnt(0)
	v_and_b32_e32 v5, s15, v4
	v_and_b32_e32 v6, s15, v3
	v_cmp_le_i16_sdwa s[2:3], sext(v6), sext(v5) src0_sel:BYTE_0 src1_sel:BYTE_0
	s_and_b64 s[2:3], vcc, s[2:3]
	s_or_b64 vcc, s[0:1], s[2:3]
	v_mov_b32_e32 v5, s13
	v_cndmask_b32_e32 v10, v2, v1, vcc
	v_cndmask_b32_e32 v5, v8, v5, vcc
	v_add_u32_e32 v6, 1, v10
	v_add_u32_e32 v5, -1, v5
	v_min_u32_e32 v5, v6, v5
	ds_read_u8 v5, v5
	v_cndmask_b32_e32 v11, v4, v3, vcc
	v_cndmask_b32_e32 v2, v6, v2, vcc
	;; [unrolled: 1-line block ×3, first 2 shown]
	v_cmp_gt_u32_e64 s[0:1], s13, v1
	s_waitcnt lgkmcnt(0)
	v_cndmask_b32_e32 v4, v5, v4, vcc
	v_cndmask_b32_e32 v3, v3, v5, vcc
	v_and_b32_e32 v5, s15, v4
	v_and_b32_e32 v6, s15, v3
	v_cmp_le_i16_sdwa s[2:3], sext(v6), sext(v5) src0_sel:BYTE_0 src1_sel:BYTE_0
	v_cmp_ge_u32_e32 vcc, v2, v8
	s_and_b64 s[0:1], s[0:1], s[2:3]
	s_or_b64 vcc, vcc, s[0:1]
	v_cndmask_b32_e32 v9, v2, v1, vcc
	v_cndmask_b32_sdwa v1, v4, v3, vcc dst_sel:BYTE_1 dst_unused:UNUSED_PAD src0_sel:DWORD src1_sel:DWORD
	s_movk_i32 s0, 0xff
	v_bitop3_b16 v1, v11, v1, s0 bitop3:0xec
	v_and_b32_e32 v6, 0xffff, v1
.LBB45_19:
	s_or_b64 exec, exec, s[4:5]
	s_lshl_b64 s[0:1], s[18:19], 3
	s_add_u32 s14, s8, s0
	s_addc_u32 s15, s9, s1
	s_lshl_b64 s[0:1], s[20:21], 3
	s_add_u32 s8, s8, s0
	v_cndmask_b32_e64 v2, 0, 1, s[16:17]
	v_mov_b32_e32 v1, 0
	s_addc_u32 s9, s9, s1
	v_cmp_gt_u32_e64 s[4:5], s13, v0
	v_cmp_ne_u32_e64 s[0:1], 1, v2
	s_andn2_b64 vcc, exec, s[16:17]
	v_cmp_le_u32_e64 s[2:3], s13, v0
	s_barrier
	s_cbranch_vccnz .LBB45_21
; %bb.20:
	v_subrev_u32_e32 v4, s13, v0
	v_lshlrev_b32_e32 v2, 3, v0
	v_mov_b32_e32 v3, v1
	v_lshlrev_b32_e32 v4, 3, v4
	v_mov_b32_e32 v5, v1
	v_lshl_add_u64 v[2:3], s[14:15], 0, v[2:3]
	v_lshl_add_u64 v[4:5], s[8:9], 0, v[4:5]
	v_cndmask_b32_e64 v3, v5, v3, s[4:5]
	v_cndmask_b32_e64 v2, v4, v2, s[4:5]
	global_load_dwordx2 v[12:13], v[2:3], off
	v_or_b32_e32 v11, 0x200, v0
	v_mov_b32_e32 v2, s9
	v_mov_b32_e32 v3, s15
	v_mov_b32_e32 v14, s8
	v_mov_b32_e32 v15, s14
	v_subrev_u32_e32 v4, s13, v11
	v_cmp_gt_u32_e32 vcc, s13, v11
	v_mad_u32_u24 v5, v0, 7, v0
	s_nop 0
	v_cndmask_b32_e32 v3, v2, v3, vcc
	v_min_u32_e32 v4, v11, v4
	v_cndmask_b32_e32 v2, v14, v15, vcc
	s_mov_b64 s[4:5], -1
	s_waitcnt vmcnt(0)
	ds_write_b64 v5, v[12:13]
	s_cbranch_execz .LBB45_22
	s_branch .LBB45_31
.LBB45_21:
	s_mov_b64 s[4:5], 0
                                        ; implicit-def: $vgpr11
                                        ; implicit-def: $vgpr2_vgpr3
                                        ; implicit-def: $vgpr4
.LBB45_22:
	s_and_saveexec_b64 s[4:5], s[2:3]
	s_xor_b64 s[2:3], exec, s[4:5]
	s_cbranch_execz .LBB45_26
; %bb.23:
	v_subrev_u32_e32 v2, s13, v0
	v_cmp_gt_u32_e32 vcc, s28, v2
	s_and_saveexec_b64 s[4:5], vcc
	s_cbranch_execz .LBB45_25
; %bb.24:
	v_lshlrev_b32_e32 v2, 3, v2
	global_load_dwordx2 v[2:3], v2, s[8:9]
	v_mad_u32_u24 v4, v0, 7, v0
	s_waitcnt vmcnt(0)
	ds_write_b64 v4, v[2:3]
.LBB45_25:
	s_or_b64 exec, exec, s[4:5]
.LBB45_26:
	s_andn2_saveexec_b64 s[2:3], s[2:3]
	s_cbranch_execz .LBB45_28
; %bb.27:
	v_lshlrev_b32_e32 v2, 3, v0
	global_load_dwordx2 v[2:3], v2, s[14:15]
	v_mad_u32_u24 v4, v0, 7, v0
	s_waitcnt vmcnt(0)
	ds_write_b64 v4, v[2:3]
.LBB45_28:
	s_or_b64 exec, exec, s[2:3]
	v_or_b32_e32 v11, 0x200, v0
	v_cmp_le_u32_e32 vcc, s13, v11
	s_mov_b64 s[4:5], -1
	v_mov_b64_e32 v[2:3], s[14:15]
	v_mov_b32_e32 v4, v11
	s_and_saveexec_b64 s[2:3], vcc
; %bb.29:
	v_subrev_u32_e32 v4, s13, v11
	v_cmp_gt_u32_e32 vcc, s28, v4
	v_mov_b64_e32 v[2:3], s[8:9]
	s_orn2_b64 s[4:5], vcc, exec
; %bb.30:
	s_or_b64 exec, exec, s[2:3]
.LBB45_31:
	s_and_saveexec_b64 s[2:3], s[4:5]
	s_cbranch_execz .LBB45_33
; %bb.32:
	v_mov_b32_e32 v5, 0
	v_lshl_add_u64 v[2:3], v[4:5], 3, v[2:3]
	global_load_dwordx2 v[2:3], v[2:3], off
	v_lshlrev_b32_e32 v4, 3, v11
	s_waitcnt vmcnt(0)
	ds_write_b64 v4, v[2:3]
.LBB45_33:
	s_or_b64 exec, exec, s[2:3]
	s_and_b64 vcc, exec, s[0:1]
	v_add_u32_e32 v2, s27, v7
	s_waitcnt lgkmcnt(0)
	s_barrier
	s_cbranch_vccnz .LBB45_35
; %bb.34:
	v_lshlrev_b32_e32 v3, 3, v10
	ds_read_b64 v[4:5], v3
	v_mov_b32_e32 v3, 0
	v_lshl_add_u64 v[12:13], v[2:3], 3, s[10:11]
	s_mov_b64 s[0:1], -1
	s_waitcnt lgkmcnt(0)
	global_store_dwordx2 v[12:13], v[4:5], off
	s_cbranch_execz .LBB45_36
	s_branch .LBB45_41
.LBB45_35:
	s_mov_b64 s[0:1], 0
.LBB45_36:
	v_cmp_lt_u32_e32 vcc, v7, v8
	s_and_saveexec_b64 s[2:3], vcc
	s_cbranch_execz .LBB45_38
; %bb.37:
	v_lshlrev_b32_e32 v3, 3, v10
	ds_read_b64 v[4:5], v3
	v_mov_b32_e32 v3, 0
	v_lshl_add_u64 v[10:11], v[2:3], 3, s[10:11]
	s_waitcnt lgkmcnt(0)
	global_store_dwordx2 v[10:11], v[4:5], off
.LBB45_38:
	s_or_b64 exec, exec, s[2:3]
	v_or_b32_e32 v3, 1, v7
	v_cmp_lt_u32_e32 vcc, v3, v8
	s_and_saveexec_b64 s[2:3], vcc
; %bb.39:
	v_mov_b32_e32 v3, 0
	s_or_b64 s[0:1], s[0:1], exec
; %bb.40:
	s_or_b64 exec, exec, s[2:3]
.LBB45_41:
	s_and_saveexec_b64 s[2:3], s[0:1]
	s_cbranch_execz .LBB45_43
; %bb.42:
	v_lshlrev_b32_e32 v4, 3, v9
	ds_read_b64 v[4:5], v4
	v_lshl_add_u64 v[2:3], v[2:3], 3, s[10:11]
	s_waitcnt lgkmcnt(0)
	global_store_dwordx2 v[2:3], v[4:5], off offset:8
.LBB45_43:
	s_or_b64 exec, exec, s[2:3]
	v_lshrrev_b32_e32 v2, 4, v0
	v_and_b32_e32 v2, 28, v2
	v_add_u32_e32 v2, v2, v7
	s_barrier
	s_barrier
	ds_write_b16 v2, v6
	v_lshrrev_b32_e32 v2, 5, v0
	v_or_b32_e32 v4, 0x200, v0
	s_add_u32 s0, s6, s27
	v_and_b32_e32 v5, 12, v2
	v_lshrrev_b32_e32 v2, 5, v4
	s_addc_u32 s1, s7, 0
	v_and_b32_e32 v6, 28, v2
	v_lshl_add_u64 v[2:3], s[0:1], 0, v[0:1]
	s_and_b64 vcc, exec, s[16:17]
	v_add_u32_e32 v6, v6, v0
	s_waitcnt lgkmcnt(0)
	s_cbranch_vccz .LBB45_45
; %bb.44:
	v_add_u32_e32 v1, v5, v0
	s_barrier
	ds_read_u8 v7, v1
	ds_read_u8 v1, v6 offset:512
	s_mov_b64 s[0:1], -1
	s_waitcnt lgkmcnt(1)
	global_store_byte v[2:3], v7, off
	s_cbranch_execz .LBB45_46
	s_branch .LBB45_49
.LBB45_45:
	s_mov_b64 s[0:1], 0
                                        ; implicit-def: $vgpr1
.LBB45_46:
	s_barrier
	s_waitcnt lgkmcnt(0)
	ds_read_u8 v1, v6 offset:512
	s_sub_i32 s2, s12, s27
	v_cmp_gt_u32_e32 vcc, s2, v0
	s_and_saveexec_b64 s[0:1], vcc
	s_cbranch_execz .LBB45_48
; %bb.47:
	v_add_u32_e32 v0, v5, v0
	ds_read_u8 v0, v0
	s_waitcnt lgkmcnt(0)
	global_store_byte v[2:3], v0, off
.LBB45_48:
	s_or_b64 exec, exec, s[0:1]
	v_cmp_gt_u32_e64 s[0:1], s2, v4
.LBB45_49:
	s_and_saveexec_b64 s[2:3], s[0:1]
	s_cbranch_execz .LBB45_51
; %bb.50:
	s_waitcnt lgkmcnt(0)
	global_store_byte v[2:3], v1, off offset:512
.LBB45_51:
	s_endpgm
	.section	.rodata,"a",@progbits
	.p2align	6, 0x0
	.amdhsa_kernel _ZN7rocprim17ROCPRIM_304000_NS6detail35device_block_merge_mergepath_kernelINS1_37wrapped_merge_sort_block_merge_configINS0_14default_configEaN2at4cuda3cub6detail10OpaqueTypeILi8EEEEEPaSC_PSA_SD_jNS1_19radix_merge_compareILb0ELb1EaNS0_19identity_decomposerEEEEEvT0_T1_T2_T3_T4_SL_jT5_PKSL_NS1_7vsmem_tE
		.amdhsa_group_segment_fixed_size 8208
		.amdhsa_private_segment_fixed_size 0
		.amdhsa_kernarg_size 320
		.amdhsa_user_sgpr_count 2
		.amdhsa_user_sgpr_dispatch_ptr 0
		.amdhsa_user_sgpr_queue_ptr 0
		.amdhsa_user_sgpr_kernarg_segment_ptr 1
		.amdhsa_user_sgpr_dispatch_id 0
		.amdhsa_user_sgpr_kernarg_preload_length 0
		.amdhsa_user_sgpr_kernarg_preload_offset 0
		.amdhsa_user_sgpr_private_segment_size 0
		.amdhsa_uses_dynamic_stack 0
		.amdhsa_enable_private_segment 0
		.amdhsa_system_sgpr_workgroup_id_x 1
		.amdhsa_system_sgpr_workgroup_id_y 1
		.amdhsa_system_sgpr_workgroup_id_z 1
		.amdhsa_system_sgpr_workgroup_info 0
		.amdhsa_system_vgpr_workitem_id 0
		.amdhsa_next_free_vgpr 16
		.amdhsa_next_free_sgpr 29
		.amdhsa_accum_offset 16
		.amdhsa_reserve_vcc 1
		.amdhsa_float_round_mode_32 0
		.amdhsa_float_round_mode_16_64 0
		.amdhsa_float_denorm_mode_32 3
		.amdhsa_float_denorm_mode_16_64 3
		.amdhsa_dx10_clamp 1
		.amdhsa_ieee_mode 1
		.amdhsa_fp16_overflow 0
		.amdhsa_tg_split 0
		.amdhsa_exception_fp_ieee_invalid_op 0
		.amdhsa_exception_fp_denorm_src 0
		.amdhsa_exception_fp_ieee_div_zero 0
		.amdhsa_exception_fp_ieee_overflow 0
		.amdhsa_exception_fp_ieee_underflow 0
		.amdhsa_exception_fp_ieee_inexact 0
		.amdhsa_exception_int_div_zero 0
	.end_amdhsa_kernel
	.section	.text._ZN7rocprim17ROCPRIM_304000_NS6detail35device_block_merge_mergepath_kernelINS1_37wrapped_merge_sort_block_merge_configINS0_14default_configEaN2at4cuda3cub6detail10OpaqueTypeILi8EEEEEPaSC_PSA_SD_jNS1_19radix_merge_compareILb0ELb1EaNS0_19identity_decomposerEEEEEvT0_T1_T2_T3_T4_SL_jT5_PKSL_NS1_7vsmem_tE,"axG",@progbits,_ZN7rocprim17ROCPRIM_304000_NS6detail35device_block_merge_mergepath_kernelINS1_37wrapped_merge_sort_block_merge_configINS0_14default_configEaN2at4cuda3cub6detail10OpaqueTypeILi8EEEEEPaSC_PSA_SD_jNS1_19radix_merge_compareILb0ELb1EaNS0_19identity_decomposerEEEEEvT0_T1_T2_T3_T4_SL_jT5_PKSL_NS1_7vsmem_tE,comdat
.Lfunc_end45:
	.size	_ZN7rocprim17ROCPRIM_304000_NS6detail35device_block_merge_mergepath_kernelINS1_37wrapped_merge_sort_block_merge_configINS0_14default_configEaN2at4cuda3cub6detail10OpaqueTypeILi8EEEEEPaSC_PSA_SD_jNS1_19radix_merge_compareILb0ELb1EaNS0_19identity_decomposerEEEEEvT0_T1_T2_T3_T4_SL_jT5_PKSL_NS1_7vsmem_tE, .Lfunc_end45-_ZN7rocprim17ROCPRIM_304000_NS6detail35device_block_merge_mergepath_kernelINS1_37wrapped_merge_sort_block_merge_configINS0_14default_configEaN2at4cuda3cub6detail10OpaqueTypeILi8EEEEEPaSC_PSA_SD_jNS1_19radix_merge_compareILb0ELb1EaNS0_19identity_decomposerEEEEEvT0_T1_T2_T3_T4_SL_jT5_PKSL_NS1_7vsmem_tE
                                        ; -- End function
	.set _ZN7rocprim17ROCPRIM_304000_NS6detail35device_block_merge_mergepath_kernelINS1_37wrapped_merge_sort_block_merge_configINS0_14default_configEaN2at4cuda3cub6detail10OpaqueTypeILi8EEEEEPaSC_PSA_SD_jNS1_19radix_merge_compareILb0ELb1EaNS0_19identity_decomposerEEEEEvT0_T1_T2_T3_T4_SL_jT5_PKSL_NS1_7vsmem_tE.num_vgpr, 16
	.set _ZN7rocprim17ROCPRIM_304000_NS6detail35device_block_merge_mergepath_kernelINS1_37wrapped_merge_sort_block_merge_configINS0_14default_configEaN2at4cuda3cub6detail10OpaqueTypeILi8EEEEEPaSC_PSA_SD_jNS1_19radix_merge_compareILb0ELb1EaNS0_19identity_decomposerEEEEEvT0_T1_T2_T3_T4_SL_jT5_PKSL_NS1_7vsmem_tE.num_agpr, 0
	.set _ZN7rocprim17ROCPRIM_304000_NS6detail35device_block_merge_mergepath_kernelINS1_37wrapped_merge_sort_block_merge_configINS0_14default_configEaN2at4cuda3cub6detail10OpaqueTypeILi8EEEEEPaSC_PSA_SD_jNS1_19radix_merge_compareILb0ELb1EaNS0_19identity_decomposerEEEEEvT0_T1_T2_T3_T4_SL_jT5_PKSL_NS1_7vsmem_tE.numbered_sgpr, 29
	.set _ZN7rocprim17ROCPRIM_304000_NS6detail35device_block_merge_mergepath_kernelINS1_37wrapped_merge_sort_block_merge_configINS0_14default_configEaN2at4cuda3cub6detail10OpaqueTypeILi8EEEEEPaSC_PSA_SD_jNS1_19radix_merge_compareILb0ELb1EaNS0_19identity_decomposerEEEEEvT0_T1_T2_T3_T4_SL_jT5_PKSL_NS1_7vsmem_tE.num_named_barrier, 0
	.set _ZN7rocprim17ROCPRIM_304000_NS6detail35device_block_merge_mergepath_kernelINS1_37wrapped_merge_sort_block_merge_configINS0_14default_configEaN2at4cuda3cub6detail10OpaqueTypeILi8EEEEEPaSC_PSA_SD_jNS1_19radix_merge_compareILb0ELb1EaNS0_19identity_decomposerEEEEEvT0_T1_T2_T3_T4_SL_jT5_PKSL_NS1_7vsmem_tE.private_seg_size, 0
	.set _ZN7rocprim17ROCPRIM_304000_NS6detail35device_block_merge_mergepath_kernelINS1_37wrapped_merge_sort_block_merge_configINS0_14default_configEaN2at4cuda3cub6detail10OpaqueTypeILi8EEEEEPaSC_PSA_SD_jNS1_19radix_merge_compareILb0ELb1EaNS0_19identity_decomposerEEEEEvT0_T1_T2_T3_T4_SL_jT5_PKSL_NS1_7vsmem_tE.uses_vcc, 1
	.set _ZN7rocprim17ROCPRIM_304000_NS6detail35device_block_merge_mergepath_kernelINS1_37wrapped_merge_sort_block_merge_configINS0_14default_configEaN2at4cuda3cub6detail10OpaqueTypeILi8EEEEEPaSC_PSA_SD_jNS1_19radix_merge_compareILb0ELb1EaNS0_19identity_decomposerEEEEEvT0_T1_T2_T3_T4_SL_jT5_PKSL_NS1_7vsmem_tE.uses_flat_scratch, 0
	.set _ZN7rocprim17ROCPRIM_304000_NS6detail35device_block_merge_mergepath_kernelINS1_37wrapped_merge_sort_block_merge_configINS0_14default_configEaN2at4cuda3cub6detail10OpaqueTypeILi8EEEEEPaSC_PSA_SD_jNS1_19radix_merge_compareILb0ELb1EaNS0_19identity_decomposerEEEEEvT0_T1_T2_T3_T4_SL_jT5_PKSL_NS1_7vsmem_tE.has_dyn_sized_stack, 0
	.set _ZN7rocprim17ROCPRIM_304000_NS6detail35device_block_merge_mergepath_kernelINS1_37wrapped_merge_sort_block_merge_configINS0_14default_configEaN2at4cuda3cub6detail10OpaqueTypeILi8EEEEEPaSC_PSA_SD_jNS1_19radix_merge_compareILb0ELb1EaNS0_19identity_decomposerEEEEEvT0_T1_T2_T3_T4_SL_jT5_PKSL_NS1_7vsmem_tE.has_recursion, 0
	.set _ZN7rocprim17ROCPRIM_304000_NS6detail35device_block_merge_mergepath_kernelINS1_37wrapped_merge_sort_block_merge_configINS0_14default_configEaN2at4cuda3cub6detail10OpaqueTypeILi8EEEEEPaSC_PSA_SD_jNS1_19radix_merge_compareILb0ELb1EaNS0_19identity_decomposerEEEEEvT0_T1_T2_T3_T4_SL_jT5_PKSL_NS1_7vsmem_tE.has_indirect_call, 0
	.section	.AMDGPU.csdata,"",@progbits
; Kernel info:
; codeLenInByte = 1848
; TotalNumSgprs: 35
; NumVgprs: 16
; NumAgprs: 0
; TotalNumVgprs: 16
; ScratchSize: 0
; MemoryBound: 0
; FloatMode: 240
; IeeeMode: 1
; LDSByteSize: 8208 bytes/workgroup (compile time only)
; SGPRBlocks: 4
; VGPRBlocks: 1
; NumSGPRsForWavesPerEU: 35
; NumVGPRsForWavesPerEU: 16
; AccumOffset: 16
; Occupancy: 8
; WaveLimiterHint : 1
; COMPUTE_PGM_RSRC2:SCRATCH_EN: 0
; COMPUTE_PGM_RSRC2:USER_SGPR: 2
; COMPUTE_PGM_RSRC2:TRAP_HANDLER: 0
; COMPUTE_PGM_RSRC2:TGID_X_EN: 1
; COMPUTE_PGM_RSRC2:TGID_Y_EN: 1
; COMPUTE_PGM_RSRC2:TGID_Z_EN: 1
; COMPUTE_PGM_RSRC2:TIDIG_COMP_CNT: 0
; COMPUTE_PGM_RSRC3_GFX90A:ACCUM_OFFSET: 3
; COMPUTE_PGM_RSRC3_GFX90A:TG_SPLIT: 0
	.section	.text._ZN7rocprim17ROCPRIM_304000_NS6detail33device_block_merge_oddeven_kernelINS1_37wrapped_merge_sort_block_merge_configINS0_14default_configEaN2at4cuda3cub6detail10OpaqueTypeILi8EEEEEPaSC_PSA_SD_jNS1_19radix_merge_compareILb0ELb1EaNS0_19identity_decomposerEEEEEvT0_T1_T2_T3_T4_SL_T5_,"axG",@progbits,_ZN7rocprim17ROCPRIM_304000_NS6detail33device_block_merge_oddeven_kernelINS1_37wrapped_merge_sort_block_merge_configINS0_14default_configEaN2at4cuda3cub6detail10OpaqueTypeILi8EEEEEPaSC_PSA_SD_jNS1_19radix_merge_compareILb0ELb1EaNS0_19identity_decomposerEEEEEvT0_T1_T2_T3_T4_SL_T5_,comdat
	.protected	_ZN7rocprim17ROCPRIM_304000_NS6detail33device_block_merge_oddeven_kernelINS1_37wrapped_merge_sort_block_merge_configINS0_14default_configEaN2at4cuda3cub6detail10OpaqueTypeILi8EEEEEPaSC_PSA_SD_jNS1_19radix_merge_compareILb0ELb1EaNS0_19identity_decomposerEEEEEvT0_T1_T2_T3_T4_SL_T5_ ; -- Begin function _ZN7rocprim17ROCPRIM_304000_NS6detail33device_block_merge_oddeven_kernelINS1_37wrapped_merge_sort_block_merge_configINS0_14default_configEaN2at4cuda3cub6detail10OpaqueTypeILi8EEEEEPaSC_PSA_SD_jNS1_19radix_merge_compareILb0ELb1EaNS0_19identity_decomposerEEEEEvT0_T1_T2_T3_T4_SL_T5_
	.globl	_ZN7rocprim17ROCPRIM_304000_NS6detail33device_block_merge_oddeven_kernelINS1_37wrapped_merge_sort_block_merge_configINS0_14default_configEaN2at4cuda3cub6detail10OpaqueTypeILi8EEEEEPaSC_PSA_SD_jNS1_19radix_merge_compareILb0ELb1EaNS0_19identity_decomposerEEEEEvT0_T1_T2_T3_T4_SL_T5_
	.p2align	8
	.type	_ZN7rocprim17ROCPRIM_304000_NS6detail33device_block_merge_oddeven_kernelINS1_37wrapped_merge_sort_block_merge_configINS0_14default_configEaN2at4cuda3cub6detail10OpaqueTypeILi8EEEEEPaSC_PSA_SD_jNS1_19radix_merge_compareILb0ELb1EaNS0_19identity_decomposerEEEEEvT0_T1_T2_T3_T4_SL_T5_,@function
_ZN7rocprim17ROCPRIM_304000_NS6detail33device_block_merge_oddeven_kernelINS1_37wrapped_merge_sort_block_merge_configINS0_14default_configEaN2at4cuda3cub6detail10OpaqueTypeILi8EEEEEPaSC_PSA_SD_jNS1_19radix_merge_compareILb0ELb1EaNS0_19identity_decomposerEEEEEvT0_T1_T2_T3_T4_SL_T5_: ; @_ZN7rocprim17ROCPRIM_304000_NS6detail33device_block_merge_oddeven_kernelINS1_37wrapped_merge_sort_block_merge_configINS0_14default_configEaN2at4cuda3cub6detail10OpaqueTypeILi8EEEEEPaSC_PSA_SD_jNS1_19radix_merge_compareILb0ELb1EaNS0_19identity_decomposerEEEEEvT0_T1_T2_T3_T4_SL_T5_
; %bb.0:
	s_load_dwordx4 s[16:19], s[0:1], 0x20
	s_waitcnt lgkmcnt(0)
	s_lshr_b32 s3, s16, 8
	s_cmp_eq_u32 s2, s3
	s_cselect_b64 s[6:7], -1, 0
	s_cmp_lg_u32 s2, s3
	s_cselect_b64 s[8:9], -1, 0
	s_lshl_b32 s20, s2, 8
	s_sub_i32 s3, s16, s20
	v_cmp_gt_u32_e64 s[4:5], s3, v0
	s_or_b64 s[8:9], s[8:9], s[4:5]
	s_and_saveexec_b64 s[10:11], s[8:9]
	s_cbranch_execz .LBB46_24
; %bb.1:
	s_load_dwordx8 s[8:15], s[0:1], 0x0
	s_mov_b32 s21, 0
	v_lshlrev_b32_e32 v1, 3, v0
	s_waitcnt lgkmcnt(0)
	s_add_u32 s0, s8, s20
	s_addc_u32 s1, s9, 0
	s_lshl_b64 s[22:23], s[20:21], 3
	s_add_u32 s12, s12, s22
	s_addc_u32 s13, s13, s23
	global_load_dwordx2 v[2:3], v1, s[12:13]
	global_load_ubyte v4, v0, s[0:1]
	s_lshr_b32 s0, s17, 8
	s_sub_i32 s1, 0, s0
	s_and_b32 s1, s2, s1
	s_and_b32 s0, s1, s0
	s_lshl_b32 s19, s1, 8
	s_sub_i32 s12, 0, s17
	s_cmp_eq_u32 s0, 0
	s_cselect_b64 s[0:1], -1, 0
	s_and_b64 s[2:3], s[0:1], exec
	s_cselect_b32 s12, s17, s12
	s_add_i32 s12, s12, s19
	s_mov_b64 s[2:3], -1
	s_cmp_gt_u32 s16, s12
	v_add_u32_e32 v0, s20, v0
	s_cbranch_scc1 .LBB46_9
; %bb.2:
	s_and_b64 vcc, exec, s[6:7]
	s_cbranch_vccz .LBB46_6
; %bb.3:
	v_cmp_gt_u32_e32 vcc, s16, v0
	s_and_saveexec_b64 s[2:3], vcc
	s_cbranch_execz .LBB46_5
; %bb.4:
	v_mov_b32_e32 v1, 0
	v_lshl_add_u64 v[6:7], v[0:1], 3, s[14:15]
	s_waitcnt vmcnt(0)
	global_store_byte v0, v4, s[10:11]
	global_store_dwordx2 v[6:7], v[2:3], off
.LBB46_5:
	s_or_b64 exec, exec, s[2:3]
	s_mov_b64 s[2:3], 0
.LBB46_6:
	s_andn2_b64 vcc, exec, s[2:3]
	s_cbranch_vccnz .LBB46_8
; %bb.7:
	v_mov_b32_e32 v1, 0
	v_lshl_add_u64 v[6:7], v[0:1], 3, s[14:15]
	s_waitcnt vmcnt(0)
	global_store_byte v0, v4, s[10:11]
	global_store_dwordx2 v[6:7], v[2:3], off
.LBB46_8:
	s_mov_b64 s[2:3], 0
.LBB46_9:
	s_andn2_b64 vcc, exec, s[2:3]
	s_cbranch_vccnz .LBB46_24
; %bb.10:
	s_min_u32 s13, s12, s16
	s_add_i32 s2, s13, s17
	s_min_u32 s16, s2, s16
	s_min_u32 s2, s19, s13
	s_add_i32 s19, s19, s13
	v_subrev_u32_e32 v0, s19, v0
	v_add_u32_e32 v0, s2, v0
	s_waitcnt vmcnt(0)
	v_and_b32_e32 v1, s18, v4
	s_mov_b64 s[2:3], -1
	s_and_b64 vcc, exec, s[6:7]
	s_cbranch_vccz .LBB46_18
; %bb.11:
	s_and_saveexec_b64 s[2:3], s[4:5]
	s_cbranch_execz .LBB46_17
; %bb.12:
	s_cmp_ge_u32 s12, s16
	v_mov_b32_e32 v5, s13
	s_cbranch_scc1 .LBB46_16
; %bb.13:
	s_mov_b64 s[4:5], 0
	v_mov_b32_e32 v6, s16
	v_mov_b32_e32 v5, s13
.LBB46_14:                              ; =>This Inner Loop Header: Depth=1
	v_add_u32_e32 v7, v5, v6
	v_lshrrev_b32_e32 v7, 1, v7
	global_load_ubyte v8, v7, s[8:9]
	v_add_u32_e32 v9, 1, v7
	s_waitcnt vmcnt(0)
	v_and_b32_e32 v8, s18, v8
	v_cmp_gt_i16_sdwa s[6:7], sext(v1), sext(v8) src0_sel:BYTE_0 src1_sel:BYTE_0
	s_nop 1
	v_cndmask_b32_e64 v10, 0, 1, s[6:7]
	v_cmp_le_i16_sdwa s[6:7], sext(v8), sext(v1) src0_sel:BYTE_0 src1_sel:BYTE_0
	s_nop 1
	v_cndmask_b32_e64 v8, 0, 1, s[6:7]
	v_cndmask_b32_e64 v8, v8, v10, s[0:1]
	v_and_b32_e32 v8, 1, v8
	v_cmp_eq_u32_e32 vcc, 1, v8
	s_nop 1
	v_cndmask_b32_e32 v6, v7, v6, vcc
	v_cndmask_b32_e32 v5, v5, v9, vcc
	v_cmp_ge_u32_e32 vcc, v5, v6
	s_or_b64 s[4:5], vcc, s[4:5]
	s_andn2_b64 exec, exec, s[4:5]
	s_cbranch_execnz .LBB46_14
; %bb.15:
	s_or_b64 exec, exec, s[4:5]
.LBB46_16:
	v_add_u32_e32 v6, v5, v0
	v_mov_b32_e32 v7, 0
	global_store_byte v6, v4, s[10:11]
	v_lshl_add_u64 v[6:7], v[6:7], 3, s[14:15]
	global_store_dwordx2 v[6:7], v[2:3], off
.LBB46_17:
	s_or_b64 exec, exec, s[2:3]
	s_mov_b64 s[2:3], 0
.LBB46_18:
	s_andn2_b64 vcc, exec, s[2:3]
	s_cbranch_vccnz .LBB46_24
; %bb.19:
	s_cmp_ge_u32 s12, s16
	v_mov_b32_e32 v5, s13
	s_cbranch_scc1 .LBB46_23
; %bb.20:
	s_mov_b64 s[2:3], 0
	v_mov_b32_e32 v6, s16
	v_mov_b32_e32 v5, s13
.LBB46_21:                              ; =>This Inner Loop Header: Depth=1
	v_add_u32_e32 v7, v5, v6
	v_lshrrev_b32_e32 v7, 1, v7
	global_load_ubyte v8, v7, s[8:9]
	v_add_u32_e32 v9, 1, v7
	s_waitcnt vmcnt(0)
	v_and_b32_e32 v8, s18, v8
	v_cmp_gt_i16_sdwa s[4:5], sext(v1), sext(v8) src0_sel:BYTE_0 src1_sel:BYTE_0
	s_nop 1
	v_cndmask_b32_e64 v10, 0, 1, s[4:5]
	v_cmp_le_i16_sdwa s[4:5], sext(v8), sext(v1) src0_sel:BYTE_0 src1_sel:BYTE_0
	s_nop 1
	v_cndmask_b32_e64 v8, 0, 1, s[4:5]
	v_cndmask_b32_e64 v8, v8, v10, s[0:1]
	v_and_b32_e32 v8, 1, v8
	v_cmp_eq_u32_e32 vcc, 1, v8
	s_nop 1
	v_cndmask_b32_e32 v6, v7, v6, vcc
	v_cndmask_b32_e32 v5, v5, v9, vcc
	v_cmp_ge_u32_e32 vcc, v5, v6
	s_or_b64 s[2:3], vcc, s[2:3]
	s_andn2_b64 exec, exec, s[2:3]
	s_cbranch_execnz .LBB46_21
; %bb.22:
	s_or_b64 exec, exec, s[2:3]
.LBB46_23:
	v_add_u32_e32 v0, v5, v0
	v_mov_b32_e32 v1, 0
	global_store_byte v0, v4, s[10:11]
	v_lshl_add_u64 v[0:1], v[0:1], 3, s[14:15]
	global_store_dwordx2 v[0:1], v[2:3], off
.LBB46_24:
	s_endpgm
	.section	.rodata,"a",@progbits
	.p2align	6, 0x0
	.amdhsa_kernel _ZN7rocprim17ROCPRIM_304000_NS6detail33device_block_merge_oddeven_kernelINS1_37wrapped_merge_sort_block_merge_configINS0_14default_configEaN2at4cuda3cub6detail10OpaqueTypeILi8EEEEEPaSC_PSA_SD_jNS1_19radix_merge_compareILb0ELb1EaNS0_19identity_decomposerEEEEEvT0_T1_T2_T3_T4_SL_T5_
		.amdhsa_group_segment_fixed_size 0
		.amdhsa_private_segment_fixed_size 0
		.amdhsa_kernarg_size 44
		.amdhsa_user_sgpr_count 2
		.amdhsa_user_sgpr_dispatch_ptr 0
		.amdhsa_user_sgpr_queue_ptr 0
		.amdhsa_user_sgpr_kernarg_segment_ptr 1
		.amdhsa_user_sgpr_dispatch_id 0
		.amdhsa_user_sgpr_kernarg_preload_length 0
		.amdhsa_user_sgpr_kernarg_preload_offset 0
		.amdhsa_user_sgpr_private_segment_size 0
		.amdhsa_uses_dynamic_stack 0
		.amdhsa_enable_private_segment 0
		.amdhsa_system_sgpr_workgroup_id_x 1
		.amdhsa_system_sgpr_workgroup_id_y 0
		.amdhsa_system_sgpr_workgroup_id_z 0
		.amdhsa_system_sgpr_workgroup_info 0
		.amdhsa_system_vgpr_workitem_id 0
		.amdhsa_next_free_vgpr 11
		.amdhsa_next_free_sgpr 24
		.amdhsa_accum_offset 12
		.amdhsa_reserve_vcc 1
		.amdhsa_float_round_mode_32 0
		.amdhsa_float_round_mode_16_64 0
		.amdhsa_float_denorm_mode_32 3
		.amdhsa_float_denorm_mode_16_64 3
		.amdhsa_dx10_clamp 1
		.amdhsa_ieee_mode 1
		.amdhsa_fp16_overflow 0
		.amdhsa_tg_split 0
		.amdhsa_exception_fp_ieee_invalid_op 0
		.amdhsa_exception_fp_denorm_src 0
		.amdhsa_exception_fp_ieee_div_zero 0
		.amdhsa_exception_fp_ieee_overflow 0
		.amdhsa_exception_fp_ieee_underflow 0
		.amdhsa_exception_fp_ieee_inexact 0
		.amdhsa_exception_int_div_zero 0
	.end_amdhsa_kernel
	.section	.text._ZN7rocprim17ROCPRIM_304000_NS6detail33device_block_merge_oddeven_kernelINS1_37wrapped_merge_sort_block_merge_configINS0_14default_configEaN2at4cuda3cub6detail10OpaqueTypeILi8EEEEEPaSC_PSA_SD_jNS1_19radix_merge_compareILb0ELb1EaNS0_19identity_decomposerEEEEEvT0_T1_T2_T3_T4_SL_T5_,"axG",@progbits,_ZN7rocprim17ROCPRIM_304000_NS6detail33device_block_merge_oddeven_kernelINS1_37wrapped_merge_sort_block_merge_configINS0_14default_configEaN2at4cuda3cub6detail10OpaqueTypeILi8EEEEEPaSC_PSA_SD_jNS1_19radix_merge_compareILb0ELb1EaNS0_19identity_decomposerEEEEEvT0_T1_T2_T3_T4_SL_T5_,comdat
.Lfunc_end46:
	.size	_ZN7rocprim17ROCPRIM_304000_NS6detail33device_block_merge_oddeven_kernelINS1_37wrapped_merge_sort_block_merge_configINS0_14default_configEaN2at4cuda3cub6detail10OpaqueTypeILi8EEEEEPaSC_PSA_SD_jNS1_19radix_merge_compareILb0ELb1EaNS0_19identity_decomposerEEEEEvT0_T1_T2_T3_T4_SL_T5_, .Lfunc_end46-_ZN7rocprim17ROCPRIM_304000_NS6detail33device_block_merge_oddeven_kernelINS1_37wrapped_merge_sort_block_merge_configINS0_14default_configEaN2at4cuda3cub6detail10OpaqueTypeILi8EEEEEPaSC_PSA_SD_jNS1_19radix_merge_compareILb0ELb1EaNS0_19identity_decomposerEEEEEvT0_T1_T2_T3_T4_SL_T5_
                                        ; -- End function
	.set _ZN7rocprim17ROCPRIM_304000_NS6detail33device_block_merge_oddeven_kernelINS1_37wrapped_merge_sort_block_merge_configINS0_14default_configEaN2at4cuda3cub6detail10OpaqueTypeILi8EEEEEPaSC_PSA_SD_jNS1_19radix_merge_compareILb0ELb1EaNS0_19identity_decomposerEEEEEvT0_T1_T2_T3_T4_SL_T5_.num_vgpr, 11
	.set _ZN7rocprim17ROCPRIM_304000_NS6detail33device_block_merge_oddeven_kernelINS1_37wrapped_merge_sort_block_merge_configINS0_14default_configEaN2at4cuda3cub6detail10OpaqueTypeILi8EEEEEPaSC_PSA_SD_jNS1_19radix_merge_compareILb0ELb1EaNS0_19identity_decomposerEEEEEvT0_T1_T2_T3_T4_SL_T5_.num_agpr, 0
	.set _ZN7rocprim17ROCPRIM_304000_NS6detail33device_block_merge_oddeven_kernelINS1_37wrapped_merge_sort_block_merge_configINS0_14default_configEaN2at4cuda3cub6detail10OpaqueTypeILi8EEEEEPaSC_PSA_SD_jNS1_19radix_merge_compareILb0ELb1EaNS0_19identity_decomposerEEEEEvT0_T1_T2_T3_T4_SL_T5_.numbered_sgpr, 24
	.set _ZN7rocprim17ROCPRIM_304000_NS6detail33device_block_merge_oddeven_kernelINS1_37wrapped_merge_sort_block_merge_configINS0_14default_configEaN2at4cuda3cub6detail10OpaqueTypeILi8EEEEEPaSC_PSA_SD_jNS1_19radix_merge_compareILb0ELb1EaNS0_19identity_decomposerEEEEEvT0_T1_T2_T3_T4_SL_T5_.num_named_barrier, 0
	.set _ZN7rocprim17ROCPRIM_304000_NS6detail33device_block_merge_oddeven_kernelINS1_37wrapped_merge_sort_block_merge_configINS0_14default_configEaN2at4cuda3cub6detail10OpaqueTypeILi8EEEEEPaSC_PSA_SD_jNS1_19radix_merge_compareILb0ELb1EaNS0_19identity_decomposerEEEEEvT0_T1_T2_T3_T4_SL_T5_.private_seg_size, 0
	.set _ZN7rocprim17ROCPRIM_304000_NS6detail33device_block_merge_oddeven_kernelINS1_37wrapped_merge_sort_block_merge_configINS0_14default_configEaN2at4cuda3cub6detail10OpaqueTypeILi8EEEEEPaSC_PSA_SD_jNS1_19radix_merge_compareILb0ELb1EaNS0_19identity_decomposerEEEEEvT0_T1_T2_T3_T4_SL_T5_.uses_vcc, 1
	.set _ZN7rocprim17ROCPRIM_304000_NS6detail33device_block_merge_oddeven_kernelINS1_37wrapped_merge_sort_block_merge_configINS0_14default_configEaN2at4cuda3cub6detail10OpaqueTypeILi8EEEEEPaSC_PSA_SD_jNS1_19radix_merge_compareILb0ELb1EaNS0_19identity_decomposerEEEEEvT0_T1_T2_T3_T4_SL_T5_.uses_flat_scratch, 0
	.set _ZN7rocprim17ROCPRIM_304000_NS6detail33device_block_merge_oddeven_kernelINS1_37wrapped_merge_sort_block_merge_configINS0_14default_configEaN2at4cuda3cub6detail10OpaqueTypeILi8EEEEEPaSC_PSA_SD_jNS1_19radix_merge_compareILb0ELb1EaNS0_19identity_decomposerEEEEEvT0_T1_T2_T3_T4_SL_T5_.has_dyn_sized_stack, 0
	.set _ZN7rocprim17ROCPRIM_304000_NS6detail33device_block_merge_oddeven_kernelINS1_37wrapped_merge_sort_block_merge_configINS0_14default_configEaN2at4cuda3cub6detail10OpaqueTypeILi8EEEEEPaSC_PSA_SD_jNS1_19radix_merge_compareILb0ELb1EaNS0_19identity_decomposerEEEEEvT0_T1_T2_T3_T4_SL_T5_.has_recursion, 0
	.set _ZN7rocprim17ROCPRIM_304000_NS6detail33device_block_merge_oddeven_kernelINS1_37wrapped_merge_sort_block_merge_configINS0_14default_configEaN2at4cuda3cub6detail10OpaqueTypeILi8EEEEEPaSC_PSA_SD_jNS1_19radix_merge_compareILb0ELb1EaNS0_19identity_decomposerEEEEEvT0_T1_T2_T3_T4_SL_T5_.has_indirect_call, 0
	.section	.AMDGPU.csdata,"",@progbits
; Kernel info:
; codeLenInByte = 708
; TotalNumSgprs: 30
; NumVgprs: 11
; NumAgprs: 0
; TotalNumVgprs: 11
; ScratchSize: 0
; MemoryBound: 0
; FloatMode: 240
; IeeeMode: 1
; LDSByteSize: 0 bytes/workgroup (compile time only)
; SGPRBlocks: 3
; VGPRBlocks: 1
; NumSGPRsForWavesPerEU: 30
; NumVGPRsForWavesPerEU: 11
; AccumOffset: 12
; Occupancy: 8
; WaveLimiterHint : 0
; COMPUTE_PGM_RSRC2:SCRATCH_EN: 0
; COMPUTE_PGM_RSRC2:USER_SGPR: 2
; COMPUTE_PGM_RSRC2:TRAP_HANDLER: 0
; COMPUTE_PGM_RSRC2:TGID_X_EN: 1
; COMPUTE_PGM_RSRC2:TGID_Y_EN: 0
; COMPUTE_PGM_RSRC2:TGID_Z_EN: 0
; COMPUTE_PGM_RSRC2:TIDIG_COMP_CNT: 0
; COMPUTE_PGM_RSRC3_GFX90A:ACCUM_OFFSET: 2
; COMPUTE_PGM_RSRC3_GFX90A:TG_SPLIT: 0
	.section	.text._ZN7rocprim17ROCPRIM_304000_NS6detail26onesweep_histograms_kernelINS1_34wrapped_radix_sort_onesweep_configINS0_14default_configEaN2at4cuda3cub6detail10OpaqueTypeILi8EEEEELb0EPKamNS0_19identity_decomposerEEEvT1_PT2_SG_SG_T3_jj,"axG",@progbits,_ZN7rocprim17ROCPRIM_304000_NS6detail26onesweep_histograms_kernelINS1_34wrapped_radix_sort_onesweep_configINS0_14default_configEaN2at4cuda3cub6detail10OpaqueTypeILi8EEEEELb0EPKamNS0_19identity_decomposerEEEvT1_PT2_SG_SG_T3_jj,comdat
	.protected	_ZN7rocprim17ROCPRIM_304000_NS6detail26onesweep_histograms_kernelINS1_34wrapped_radix_sort_onesweep_configINS0_14default_configEaN2at4cuda3cub6detail10OpaqueTypeILi8EEEEELb0EPKamNS0_19identity_decomposerEEEvT1_PT2_SG_SG_T3_jj ; -- Begin function _ZN7rocprim17ROCPRIM_304000_NS6detail26onesweep_histograms_kernelINS1_34wrapped_radix_sort_onesweep_configINS0_14default_configEaN2at4cuda3cub6detail10OpaqueTypeILi8EEEEELb0EPKamNS0_19identity_decomposerEEEvT1_PT2_SG_SG_T3_jj
	.globl	_ZN7rocprim17ROCPRIM_304000_NS6detail26onesweep_histograms_kernelINS1_34wrapped_radix_sort_onesweep_configINS0_14default_configEaN2at4cuda3cub6detail10OpaqueTypeILi8EEEEELb0EPKamNS0_19identity_decomposerEEEvT1_PT2_SG_SG_T3_jj
	.p2align	8
	.type	_ZN7rocprim17ROCPRIM_304000_NS6detail26onesweep_histograms_kernelINS1_34wrapped_radix_sort_onesweep_configINS0_14default_configEaN2at4cuda3cub6detail10OpaqueTypeILi8EEEEELb0EPKamNS0_19identity_decomposerEEEvT1_PT2_SG_SG_T3_jj,@function
_ZN7rocprim17ROCPRIM_304000_NS6detail26onesweep_histograms_kernelINS1_34wrapped_radix_sort_onesweep_configINS0_14default_configEaN2at4cuda3cub6detail10OpaqueTypeILi8EEEEELb0EPKamNS0_19identity_decomposerEEEvT1_PT2_SG_SG_T3_jj: ; @_ZN7rocprim17ROCPRIM_304000_NS6detail26onesweep_histograms_kernelINS1_34wrapped_radix_sort_onesweep_configINS0_14default_configEaN2at4cuda3cub6detail10OpaqueTypeILi8EEEEELb0EPKamNS0_19identity_decomposerEEEvT1_PT2_SG_SG_T3_jj
; %bb.0:
	s_load_dwordx8 s[8:15], s[0:1], 0x0
	s_load_dwordx2 s[16:17], s[0:1], 0x24
	v_mov_b32_e32 v1, 0
	v_mov_b32_e32 v2, s2
	;; [unrolled: 1-line block ×3, first 2 shown]
	s_mul_hi_u32 s0, s2, 0xc00
	s_mulk_i32 s2, 0xc00
	s_waitcnt lgkmcnt(0)
	v_cmp_le_u64_e32 vcc, s[14:15], v[2:3]
	s_add_u32 s18, s8, s2
	s_addc_u32 s19, s9, s0
	s_mov_b64 s[0:1], -1
	s_cbranch_vccz .LBB47_50
; %bb.1:
	s_mul_i32 s0, s14, 0xfffff400
	s_add_i32 s12, s0, s12
	v_lshl_add_u64 v[2:3], s[18:19], 0, v[0:1]
	v_cmp_gt_u32_e64 s[4:5], s12, v0
	v_mov_b32_e32 v8, 0
	v_mov_b32_e32 v6, 0
	;; [unrolled: 1-line block ×4, first 2 shown]
	s_and_saveexec_b64 s[0:1], s[4:5]
	s_cbranch_execz .LBB47_3
; %bb.2:
	global_load_ubyte v8, v[2:3], off
	v_mov_b32_e32 v6, 0
	v_mov_b32_e32 v5, 0
	;; [unrolled: 1-line block ×3, first 2 shown]
.LBB47_3:
	s_or_b64 exec, exec, s[0:1]
	v_or_b32_e32 v7, 0x200, v0
	v_cmp_gt_u32_e32 vcc, s12, v7
	v_mov_b32_e32 v7, v1
	s_and_saveexec_b64 s[0:1], vcc
	s_cbranch_execz .LBB47_5
; %bb.4:
	global_load_ubyte v7, v[2:3], off offset:512
.LBB47_5:
	s_or_b64 exec, exec, s[0:1]
	v_or_b32_e32 v9, 0x400, v0
	v_cmp_gt_u32_e64 s[0:1], s12, v9
	s_and_saveexec_b64 s[2:3], s[0:1]
	s_cbranch_execz .LBB47_7
; %bb.6:
	global_load_ubyte v1, v[2:3], off offset:1024
.LBB47_7:
	s_or_b64 exec, exec, s[2:3]
	v_or_b32_e32 v9, 0x600, v0
	v_cmp_gt_u32_e64 s[2:3], s12, v9
	s_and_saveexec_b64 s[6:7], s[2:3]
	;; [unrolled: 8-line block ×4, first 2 shown]
	s_cbranch_execz .LBB47_13
; %bb.12:
	global_load_ubyte v4, v[2:3], off offset:2560
.LBB47_13:
	s_or_b64 exec, exec, s[12:13]
	s_mov_b32 s12, 0
	s_mov_b32 s13, 1
	v_lshlrev_b32_e32 v2, 2, v0
	s_mov_b64 s[14:15], 0
	v_mov_b32_e32 v3, 0
	s_mov_b32 s20, s12
	s_branch .LBB47_15
.LBB47_14:                              ;   in Loop: Header=BB47_15 Depth=1
	s_or_b64 exec, exec, s[24:25]
	s_add_i32 s20, s20, 2
	v_cmp_eq_u32_e64 s[22:23], 2, s20
	s_or_b64 s[14:15], s[22:23], s[14:15]
	v_add_u32_e32 v2, 0x1000, v2
	s_andn2_b64 exec, exec, s[14:15]
	s_cbranch_execz .LBB47_19
.LBB47_15:                              ; =>This Inner Loop Header: Depth=1
	s_mov_b32 s21, s20
	s_or_b64 s[24:25], s[20:21], s[12:13]
	v_cmp_le_u32_e64 s[22:23], s25, 1
	v_cmp_le_u32_e64 s[26:27], s24, 1
	s_and_saveexec_b64 s[24:25], s[26:27]
; %bb.16:                               ;   in Loop: Header=BB47_15 Depth=1
	ds_write_b32 v2, v3
; %bb.17:                               ;   in Loop: Header=BB47_15 Depth=1
	s_or_b64 exec, exec, s[24:25]
	s_and_saveexec_b64 s[24:25], s[22:23]
	s_cbranch_execz .LBB47_14
; %bb.18:                               ;   in Loop: Header=BB47_15 Depth=1
	ds_write_b32 v2, v3 offset:2048
	s_branch .LBB47_14
.LBB47_19:
	s_or_b64 exec, exec, s[14:15]
	s_cmp_gt_u32 s17, s16
	s_cselect_b64 s[12:13], -1, 0
	s_cmp_le_u32 s17, s16
	s_waitcnt lgkmcnt(0)
	s_barrier
	s_cbranch_scc1 .LBB47_44
; %bb.20:
	v_and_b32_e32 v2, 3, v0
	v_lshlrev_b32_e32 v2, 2, v2
	s_sub_i32 s20, s17, s16
	s_waitcnt vmcnt(0)
	v_xor_b32_e32 v3, 0x80, v8
	v_mov_b32_e32 v8, 1
	s_mov_b32 s21, s20
	v_mov_b32_e32 v9, v2
	s_mov_b32 s22, s16
	s_branch .LBB47_22
.LBB47_21:                              ;   in Loop: Header=BB47_22 Depth=1
	s_or_b64 exec, exec, s[14:15]
	s_add_i32 s22, s22, 8
	s_add_i32 s21, s21, -8
	s_cmp_ge_u32 s22, s17
	v_add_u32_e32 v9, 0x1000, v9
	s_cbranch_scc1 .LBB47_24
.LBB47_22:                              ; =>This Inner Loop Header: Depth=1
	s_and_saveexec_b64 s[14:15], s[4:5]
	s_cbranch_execz .LBB47_21
; %bb.23:                               ;   in Loop: Header=BB47_22 Depth=1
	s_min_u32 s23, s21, 8
	v_lshrrev_b32_sdwa v10, s22, v3 dst_sel:DWORD dst_unused:UNUSED_PAD src0_sel:DWORD src1_sel:BYTE_0
	v_bfe_u32 v10, v10, 0, s23
	v_lshl_add_u32 v10, v10, 4, v9
	ds_add_u32 v10, v8
	s_branch .LBB47_21
.LBB47_24:
	v_xor_b32_e32 v3, 0x80, v7
	v_mov_b32_e32 v7, 1
	s_mov_b32 s14, s20
	v_mov_b32_e32 v8, v2
	s_mov_b32 s15, s16
	s_branch .LBB47_26
.LBB47_25:                              ;   in Loop: Header=BB47_26 Depth=1
	s_or_b64 exec, exec, s[4:5]
	s_add_i32 s15, s15, 8
	s_add_i32 s14, s14, -8
	s_cmp_lt_u32 s15, s17
	v_add_u32_e32 v8, 0x1000, v8
	s_cbranch_scc0 .LBB47_28
.LBB47_26:                              ; =>This Inner Loop Header: Depth=1
	s_and_saveexec_b64 s[4:5], vcc
	s_cbranch_execz .LBB47_25
; %bb.27:                               ;   in Loop: Header=BB47_26 Depth=1
	s_min_u32 s21, s14, 8
	v_lshrrev_b32_sdwa v9, s15, v3 dst_sel:DWORD dst_unused:UNUSED_PAD src0_sel:DWORD src1_sel:BYTE_0
	v_bfe_u32 v9, v9, 0, s21
	v_lshl_add_u32 v9, v9, 4, v8
	ds_add_u32 v9, v7
	s_branch .LBB47_25
.LBB47_28:
	v_xor_b32_e32 v1, 0x80, v1
	v_mov_b32_e32 v3, 1
	s_mov_b32 s14, s20
	v_mov_b32_e32 v7, v2
	s_mov_b32 s15, s16
	s_branch .LBB47_30
.LBB47_29:                              ;   in Loop: Header=BB47_30 Depth=1
	s_or_b64 exec, exec, s[4:5]
	s_add_i32 s15, s15, 8
	s_add_i32 s14, s14, -8
	s_cmp_lt_u32 s15, s17
	v_add_u32_e32 v7, 0x1000, v7
	s_cbranch_scc0 .LBB47_32
.LBB47_30:                              ; =>This Inner Loop Header: Depth=1
	s_and_saveexec_b64 s[4:5], s[0:1]
	s_cbranch_execz .LBB47_29
; %bb.31:                               ;   in Loop: Header=BB47_30 Depth=1
	s_min_u32 s21, s14, 8
	v_lshrrev_b32_sdwa v8, s15, v1 dst_sel:DWORD dst_unused:UNUSED_PAD src0_sel:DWORD src1_sel:BYTE_0
	v_bfe_u32 v8, v8, 0, s21
	v_lshl_add_u32 v8, v8, 4, v7
	ds_add_u32 v8, v3
	s_branch .LBB47_29
.LBB47_32:
	v_xor_b32_e32 v1, 0x80, v6
	v_mov_b32_e32 v3, 1
	s_mov_b32 s4, s20
	v_mov_b32_e32 v6, v2
	s_mov_b32 s5, s16
	s_branch .LBB47_34
.LBB47_33:                              ;   in Loop: Header=BB47_34 Depth=1
	s_or_b64 exec, exec, s[0:1]
	s_add_i32 s5, s5, 8
	s_add_i32 s4, s4, -8
	s_cmp_lt_u32 s5, s17
	v_add_u32_e32 v6, 0x1000, v6
	s_cbranch_scc0 .LBB47_36
.LBB47_34:                              ; =>This Inner Loop Header: Depth=1
	s_and_saveexec_b64 s[0:1], s[2:3]
	s_cbranch_execz .LBB47_33
; %bb.35:                               ;   in Loop: Header=BB47_34 Depth=1
	s_min_u32 s14, s4, 8
	v_lshrrev_b32_sdwa v7, s5, v1 dst_sel:DWORD dst_unused:UNUSED_PAD src0_sel:DWORD src1_sel:BYTE_0
	v_bfe_u32 v7, v7, 0, s14
	v_lshl_add_u32 v7, v7, 4, v6
	ds_add_u32 v7, v3
	s_branch .LBB47_33
.LBB47_36:
	;; [unrolled: 24-line block ×3, first 2 shown]
	v_xor_b32_e32 v1, 0x80, v4
	v_mov_b32_e32 v3, 1
	s_mov_b32 s2, s16
	s_branch .LBB47_42
.LBB47_41:                              ;   in Loop: Header=BB47_42 Depth=1
	s_or_b64 exec, exec, s[0:1]
	s_add_i32 s2, s2, 8
	s_add_i32 s20, s20, -8
	s_cmp_lt_u32 s2, s17
	v_add_u32_e32 v2, 0x1000, v2
	s_cbranch_scc0 .LBB47_44
.LBB47_42:                              ; =>This Inner Loop Header: Depth=1
	s_and_saveexec_b64 s[0:1], s[8:9]
	s_cbranch_execz .LBB47_41
; %bb.43:                               ;   in Loop: Header=BB47_42 Depth=1
	s_min_u32 s3, s20, 8
	v_lshrrev_b32_sdwa v4, s2, v1 dst_sel:DWORD dst_unused:UNUSED_PAD src0_sel:DWORD src1_sel:BYTE_0
	v_bfe_u32 v4, v4, 0, s3
	v_lshl_add_u32 v4, v4, 4, v2
	ds_add_u32 v4, v3
	s_branch .LBB47_41
.LBB47_44:
	s_and_b64 vcc, exec, s[12:13]
	s_waitcnt lgkmcnt(0)
	s_barrier
	s_cbranch_vccz .LBB47_49
; %bb.45:
	s_movk_i32 s0, 0x100
	v_cmp_gt_u32_e32 vcc, s0, v0
	s_waitcnt vmcnt(0)
	v_lshlrev_b32_e32 v1, 4, v0
	v_mov_b32_e32 v3, 0
	v_mov_b32_e32 v2, v0
	s_mov_b32 s2, s16
	s_branch .LBB47_47
.LBB47_46:                              ;   in Loop: Header=BB47_47 Depth=1
	s_or_b64 exec, exec, s[0:1]
	s_add_i32 s2, s2, 8
	v_add_u32_e32 v2, 0x100, v2
	s_cmp_lt_u32 s2, s17
	v_add_u32_e32 v1, 0x1000, v1
	s_cbranch_scc0 .LBB47_49
.LBB47_47:                              ; =>This Inner Loop Header: Depth=1
	s_and_saveexec_b64 s[0:1], vcc
	s_cbranch_execz .LBB47_46
; %bb.48:                               ;   in Loop: Header=BB47_47 Depth=1
	ds_read2_b32 v[4:5], v1 offset1:1
	ds_read2_b32 v[6:7], v1 offset0:2 offset1:3
	v_lshl_add_u64 v[8:9], v[2:3], 3, s[10:11]
	s_waitcnt lgkmcnt(1)
	v_add_u32_e32 v4, v5, v4
	s_waitcnt lgkmcnt(0)
	v_add3_u32 v4, v4, v6, v7
	v_mov_b32_e32 v5, v3
	global_atomic_add_x2 v[8:9], v[4:5], off
	s_branch .LBB47_46
.LBB47_49:
	s_mov_b64 s[0:1], 0
.LBB47_50:
	s_and_b64 vcc, exec, s[0:1]
	s_cbranch_vccz .LBB47_86
; %bb.51:
	global_load_ubyte v1, v0, s[18:19]
	global_load_ubyte v4, v0, s[18:19] offset:512
	global_load_ubyte v5, v0, s[18:19] offset:1024
	;; [unrolled: 1-line block ×5, first 2 shown]
	s_cmp_eq_u32 s16, 0
	s_cselect_b64 s[2:3], -1, 0
	s_cmp_eq_u32 s17, 8
	s_cselect_b64 s[4:5], -1, 0
	s_mov_b32 s0, 0
	s_and_b64 s[4:5], s[2:3], s[4:5]
	s_mov_b32 s1, 1
	v_mov_b32_e32 v2, 0
	s_mov_b64 s[2:3], -1
	s_and_b64 vcc, exec, s[4:5]
	v_lshlrev_b32_e32 v9, 2, v0
	s_cbranch_vccnz .LBB47_77
; %bb.52:
	v_lshlrev_b32_e32 v3, 2, v0
	s_mov_b64 s[2:3], 0
	s_mov_b32 s4, s0
	s_branch .LBB47_54
.LBB47_53:                              ;   in Loop: Header=BB47_54 Depth=1
	s_or_b64 exec, exec, s[8:9]
	s_add_i32 s4, s4, 2
	v_cmp_eq_u32_e64 s[6:7], 2, s4
	s_or_b64 s[2:3], s[6:7], s[2:3]
	v_add_u32_e32 v3, 0x1000, v3
	s_andn2_b64 exec, exec, s[2:3]
	s_cbranch_execz .LBB47_58
.LBB47_54:                              ; =>This Inner Loop Header: Depth=1
	s_mov_b32 s5, s4
	s_or_b64 s[8:9], s[4:5], s[0:1]
	v_cmp_le_u32_e64 s[6:7], s9, 1
	v_cmp_le_u32_e64 s[12:13], s8, 1
	s_and_saveexec_b64 s[8:9], s[12:13]
; %bb.55:                               ;   in Loop: Header=BB47_54 Depth=1
	ds_write_b32 v3, v2
; %bb.56:                               ;   in Loop: Header=BB47_54 Depth=1
	s_or_b64 exec, exec, s[8:9]
	s_and_saveexec_b64 s[8:9], s[6:7]
	s_cbranch_execz .LBB47_53
; %bb.57:                               ;   in Loop: Header=BB47_54 Depth=1
	ds_write_b32 v3, v2 offset:2048
	s_branch .LBB47_53
.LBB47_58:
	s_or_b64 exec, exec, s[2:3]
	s_cmp_gt_u32 s17, s16
	s_cselect_b64 s[0:1], -1, 0
	s_cmp_le_u32 s17, s16
	s_waitcnt lgkmcnt(0)
	s_barrier
	s_cbranch_scc1 .LBB47_71
; %bb.59:
	v_and_b32_e32 v2, 3, v0
	v_lshlrev_b32_e32 v2, 2, v2
	s_sub_i32 s2, s17, s16
	s_waitcnt vmcnt(5)
	v_xor_b32_e32 v3, 0x80, v1
	v_mov_b32_e32 v10, 1
	s_mov_b32 s3, s2
	v_mov_b32_e32 v11, v2
	s_mov_b32 s4, s16
.LBB47_60:                              ; =>This Inner Loop Header: Depth=1
	s_min_u32 s5, s3, 8
	v_lshrrev_b32_sdwa v12, s4, v3 dst_sel:DWORD dst_unused:UNUSED_PAD src0_sel:DWORD src1_sel:BYTE_0
	v_bfe_u32 v12, v12, 0, s5
	v_lshl_add_u32 v12, v12, 4, v11
	ds_add_u32 v12, v10
	s_add_i32 s4, s4, 8
	s_add_i32 s3, s3, -8
	s_cmp_ge_u32 s4, s17
	v_add_u32_e32 v11, 0x1000, v11
	s_cbranch_scc0 .LBB47_60
; %bb.61:
	s_waitcnt vmcnt(4)
	v_xor_b32_e32 v3, 0x80, v4
	v_mov_b32_e32 v10, 1
	s_mov_b32 s3, s2
	v_mov_b32_e32 v11, v2
	s_mov_b32 s4, s16
.LBB47_62:                              ; =>This Inner Loop Header: Depth=1
	s_min_u32 s5, s3, 8
	v_lshrrev_b32_sdwa v12, s4, v3 dst_sel:DWORD dst_unused:UNUSED_PAD src0_sel:DWORD src1_sel:BYTE_0
	v_bfe_u32 v12, v12, 0, s5
	v_lshl_add_u32 v12, v12, 4, v11
	ds_add_u32 v12, v10
	s_add_i32 s4, s4, 8
	s_add_i32 s3, s3, -8
	s_cmp_lt_u32 s4, s17
	v_add_u32_e32 v11, 0x1000, v11
	s_cbranch_scc1 .LBB47_62
; %bb.63:
	s_waitcnt vmcnt(3)
	v_xor_b32_e32 v3, 0x80, v5
	v_mov_b32_e32 v10, 1
	s_mov_b32 s3, s2
	v_mov_b32_e32 v11, v2
	s_mov_b32 s4, s16
.LBB47_64:                              ; =>This Inner Loop Header: Depth=1
	s_min_u32 s5, s3, 8
	v_lshrrev_b32_sdwa v12, s4, v3 dst_sel:DWORD dst_unused:UNUSED_PAD src0_sel:DWORD src1_sel:BYTE_0
	v_bfe_u32 v12, v12, 0, s5
	v_lshl_add_u32 v12, v12, 4, v11
	ds_add_u32 v12, v10
	s_add_i32 s4, s4, 8
	s_add_i32 s3, s3, -8
	s_cmp_lt_u32 s4, s17
	v_add_u32_e32 v11, 0x1000, v11
	s_cbranch_scc1 .LBB47_64
	;; [unrolled: 18-line block ×4, first 2 shown]
; %bb.69:
	s_waitcnt vmcnt(0)
	v_xor_b32_e32 v3, 0x80, v8
	v_mov_b32_e32 v10, 1
	s_mov_b32 s3, s16
.LBB47_70:                              ; =>This Inner Loop Header: Depth=1
	s_min_u32 s4, s2, 8
	v_lshrrev_b32_sdwa v11, s3, v3 dst_sel:DWORD dst_unused:UNUSED_PAD src0_sel:DWORD src1_sel:BYTE_0
	v_bfe_u32 v11, v11, 0, s4
	v_lshl_add_u32 v11, v11, 4, v2
	ds_add_u32 v11, v10
	s_add_i32 s3, s3, 8
	s_add_i32 s2, s2, -8
	s_cmp_lt_u32 s3, s17
	v_add_u32_e32 v2, 0x1000, v2
	s_cbranch_scc1 .LBB47_70
.LBB47_71:
	s_and_b64 vcc, exec, s[0:1]
	s_waitcnt lgkmcnt(0)
	s_barrier
	s_cbranch_vccz .LBB47_76
; %bb.72:
	s_movk_i32 s0, 0x100
	v_cmp_gt_u32_e32 vcc, s0, v0
	v_lshlrev_b32_e32 v10, 4, v0
	v_mov_b32_e32 v3, 0
	v_mov_b32_e32 v2, v0
	s_branch .LBB47_74
.LBB47_73:                              ;   in Loop: Header=BB47_74 Depth=1
	s_or_b64 exec, exec, s[0:1]
	s_add_i32 s16, s16, 8
	v_add_u32_e32 v2, 0x100, v2
	s_cmp_ge_u32 s16, s17
	v_add_u32_e32 v10, 0x1000, v10
	s_cbranch_scc1 .LBB47_76
.LBB47_74:                              ; =>This Inner Loop Header: Depth=1
	s_and_saveexec_b64 s[0:1], vcc
	s_cbranch_execz .LBB47_73
; %bb.75:                               ;   in Loop: Header=BB47_74 Depth=1
	ds_read2_b32 v[12:13], v10 offset1:1
	ds_read2_b32 v[14:15], v10 offset0:2 offset1:3
	v_lshl_add_u64 v[16:17], v[2:3], 3, s[10:11]
	s_waitcnt lgkmcnt(1)
	v_add_u32_e32 v11, v13, v12
	s_waitcnt lgkmcnt(0)
	v_add3_u32 v12, v11, v14, v15
	v_mov_b32_e32 v13, v3
	global_atomic_add_x2 v[16:17], v[12:13], off
	s_branch .LBB47_73
.LBB47_76:
	s_mov_b64 s[2:3], 0
.LBB47_77:
	s_and_b64 vcc, exec, s[2:3]
	s_cbranch_vccz .LBB47_86
; %bb.78:
	s_mov_b32 s0, 0
	s_mov_b32 s1, 1
	s_mov_b64 s[2:3], 0
	v_mov_b32_e32 v2, 0
	s_mov_b32 s4, s0
	s_branch .LBB47_80
.LBB47_79:                              ;   in Loop: Header=BB47_80 Depth=1
	s_or_b64 exec, exec, s[8:9]
	s_add_i32 s4, s4, 2
	v_cmp_eq_u32_e64 s[6:7], 2, s4
	s_or_b64 s[2:3], s[6:7], s[2:3]
	v_add_u32_e32 v9, 0x1000, v9
	s_andn2_b64 exec, exec, s[2:3]
	s_cbranch_execz .LBB47_84
.LBB47_80:                              ; =>This Inner Loop Header: Depth=1
	s_mov_b32 s5, s4
	s_or_b64 s[8:9], s[4:5], s[0:1]
	v_cmp_le_u32_e64 s[6:7], s9, 1
	v_cmp_le_u32_e64 s[12:13], s8, 1
	s_and_saveexec_b64 s[8:9], s[12:13]
; %bb.81:                               ;   in Loop: Header=BB47_80 Depth=1
	ds_write_b32 v9, v2
; %bb.82:                               ;   in Loop: Header=BB47_80 Depth=1
	s_or_b64 exec, exec, s[8:9]
	s_and_saveexec_b64 s[8:9], s[6:7]
	s_cbranch_execz .LBB47_79
; %bb.83:                               ;   in Loop: Header=BB47_80 Depth=1
	ds_write_b32 v9, v2 offset:2048
	s_branch .LBB47_79
.LBB47_84:
	s_or_b64 exec, exec, s[2:3]
	s_waitcnt vmcnt(5)
	v_xor_b32_e32 v1, 0x80, v1
	s_waitcnt vmcnt(3)
	v_xor_b32_e32 v3, 0x80, v5
	;; [unrolled: 2-line block ×3, first 2 shown]
	v_and_b32_e32 v7, 3, v0
	v_and_b32_e32 v1, 0xff, v1
	v_lshlrev_b32_e32 v7, 2, v7
	v_xor_b32_e32 v2, 0x80, v4
	v_xor_b32_e32 v4, 0x80, v6
	s_waitcnt vmcnt(0)
	v_xor_b32_e32 v6, 0x80, v8
	v_lshl_or_b32 v1, v1, 4, v7
	v_mov_b32_e32 v8, 1
	s_waitcnt lgkmcnt(0)
	s_barrier
	ds_add_u32 v1, v8
	v_and_b32_e32 v1, 0xff, v2
	v_lshl_or_b32 v1, v1, 4, v7
	ds_add_u32 v1, v8
	v_and_b32_e32 v1, 0xff, v3
	v_lshl_or_b32 v1, v1, 4, v7
	;; [unrolled: 3-line block ×5, first 2 shown]
	ds_add_u32 v1, v8
	s_movk_i32 s0, 0x100
	v_cmp_gt_u32_e32 vcc, s0, v0
	s_waitcnt lgkmcnt(0)
	s_barrier
	s_and_saveexec_b64 s[0:1], vcc
	s_cbranch_execz .LBB47_86
; %bb.85:
	v_lshlrev_b32_e32 v1, 4, v0
	ds_read2_b32 v[2:3], v1 offset1:1
	ds_read2_b32 v[4:5], v1 offset0:2 offset1:3
	v_lshlrev_b32_e32 v6, 3, v0
	v_mov_b32_e32 v1, 0
	s_waitcnt lgkmcnt(1)
	v_add_u32_e32 v0, v3, v2
	s_waitcnt lgkmcnt(0)
	v_add3_u32 v0, v0, v4, v5
	global_atomic_add_x2 v6, v[0:1], s[10:11]
.LBB47_86:
	s_endpgm
	.section	.rodata,"a",@progbits
	.p2align	6, 0x0
	.amdhsa_kernel _ZN7rocprim17ROCPRIM_304000_NS6detail26onesweep_histograms_kernelINS1_34wrapped_radix_sort_onesweep_configINS0_14default_configEaN2at4cuda3cub6detail10OpaqueTypeILi8EEEEELb0EPKamNS0_19identity_decomposerEEEvT1_PT2_SG_SG_T3_jj
		.amdhsa_group_segment_fixed_size 4096
		.amdhsa_private_segment_fixed_size 0
		.amdhsa_kernarg_size 44
		.amdhsa_user_sgpr_count 2
		.amdhsa_user_sgpr_dispatch_ptr 0
		.amdhsa_user_sgpr_queue_ptr 0
		.amdhsa_user_sgpr_kernarg_segment_ptr 1
		.amdhsa_user_sgpr_dispatch_id 0
		.amdhsa_user_sgpr_kernarg_preload_length 0
		.amdhsa_user_sgpr_kernarg_preload_offset 0
		.amdhsa_user_sgpr_private_segment_size 0
		.amdhsa_uses_dynamic_stack 0
		.amdhsa_enable_private_segment 0
		.amdhsa_system_sgpr_workgroup_id_x 1
		.amdhsa_system_sgpr_workgroup_id_y 0
		.amdhsa_system_sgpr_workgroup_id_z 0
		.amdhsa_system_sgpr_workgroup_info 0
		.amdhsa_system_vgpr_workitem_id 0
		.amdhsa_next_free_vgpr 18
		.amdhsa_next_free_sgpr 28
		.amdhsa_accum_offset 20
		.amdhsa_reserve_vcc 1
		.amdhsa_float_round_mode_32 0
		.amdhsa_float_round_mode_16_64 0
		.amdhsa_float_denorm_mode_32 3
		.amdhsa_float_denorm_mode_16_64 3
		.amdhsa_dx10_clamp 1
		.amdhsa_ieee_mode 1
		.amdhsa_fp16_overflow 0
		.amdhsa_tg_split 0
		.amdhsa_exception_fp_ieee_invalid_op 0
		.amdhsa_exception_fp_denorm_src 0
		.amdhsa_exception_fp_ieee_div_zero 0
		.amdhsa_exception_fp_ieee_overflow 0
		.amdhsa_exception_fp_ieee_underflow 0
		.amdhsa_exception_fp_ieee_inexact 0
		.amdhsa_exception_int_div_zero 0
	.end_amdhsa_kernel
	.section	.text._ZN7rocprim17ROCPRIM_304000_NS6detail26onesweep_histograms_kernelINS1_34wrapped_radix_sort_onesweep_configINS0_14default_configEaN2at4cuda3cub6detail10OpaqueTypeILi8EEEEELb0EPKamNS0_19identity_decomposerEEEvT1_PT2_SG_SG_T3_jj,"axG",@progbits,_ZN7rocprim17ROCPRIM_304000_NS6detail26onesweep_histograms_kernelINS1_34wrapped_radix_sort_onesweep_configINS0_14default_configEaN2at4cuda3cub6detail10OpaqueTypeILi8EEEEELb0EPKamNS0_19identity_decomposerEEEvT1_PT2_SG_SG_T3_jj,comdat
.Lfunc_end47:
	.size	_ZN7rocprim17ROCPRIM_304000_NS6detail26onesweep_histograms_kernelINS1_34wrapped_radix_sort_onesweep_configINS0_14default_configEaN2at4cuda3cub6detail10OpaqueTypeILi8EEEEELb0EPKamNS0_19identity_decomposerEEEvT1_PT2_SG_SG_T3_jj, .Lfunc_end47-_ZN7rocprim17ROCPRIM_304000_NS6detail26onesweep_histograms_kernelINS1_34wrapped_radix_sort_onesweep_configINS0_14default_configEaN2at4cuda3cub6detail10OpaqueTypeILi8EEEEELb0EPKamNS0_19identity_decomposerEEEvT1_PT2_SG_SG_T3_jj
                                        ; -- End function
	.set _ZN7rocprim17ROCPRIM_304000_NS6detail26onesweep_histograms_kernelINS1_34wrapped_radix_sort_onesweep_configINS0_14default_configEaN2at4cuda3cub6detail10OpaqueTypeILi8EEEEELb0EPKamNS0_19identity_decomposerEEEvT1_PT2_SG_SG_T3_jj.num_vgpr, 18
	.set _ZN7rocprim17ROCPRIM_304000_NS6detail26onesweep_histograms_kernelINS1_34wrapped_radix_sort_onesweep_configINS0_14default_configEaN2at4cuda3cub6detail10OpaqueTypeILi8EEEEELb0EPKamNS0_19identity_decomposerEEEvT1_PT2_SG_SG_T3_jj.num_agpr, 0
	.set _ZN7rocprim17ROCPRIM_304000_NS6detail26onesweep_histograms_kernelINS1_34wrapped_radix_sort_onesweep_configINS0_14default_configEaN2at4cuda3cub6detail10OpaqueTypeILi8EEEEELb0EPKamNS0_19identity_decomposerEEEvT1_PT2_SG_SG_T3_jj.numbered_sgpr, 28
	.set _ZN7rocprim17ROCPRIM_304000_NS6detail26onesweep_histograms_kernelINS1_34wrapped_radix_sort_onesweep_configINS0_14default_configEaN2at4cuda3cub6detail10OpaqueTypeILi8EEEEELb0EPKamNS0_19identity_decomposerEEEvT1_PT2_SG_SG_T3_jj.num_named_barrier, 0
	.set _ZN7rocprim17ROCPRIM_304000_NS6detail26onesweep_histograms_kernelINS1_34wrapped_radix_sort_onesweep_configINS0_14default_configEaN2at4cuda3cub6detail10OpaqueTypeILi8EEEEELb0EPKamNS0_19identity_decomposerEEEvT1_PT2_SG_SG_T3_jj.private_seg_size, 0
	.set _ZN7rocprim17ROCPRIM_304000_NS6detail26onesweep_histograms_kernelINS1_34wrapped_radix_sort_onesweep_configINS0_14default_configEaN2at4cuda3cub6detail10OpaqueTypeILi8EEEEELb0EPKamNS0_19identity_decomposerEEEvT1_PT2_SG_SG_T3_jj.uses_vcc, 1
	.set _ZN7rocprim17ROCPRIM_304000_NS6detail26onesweep_histograms_kernelINS1_34wrapped_radix_sort_onesweep_configINS0_14default_configEaN2at4cuda3cub6detail10OpaqueTypeILi8EEEEELb0EPKamNS0_19identity_decomposerEEEvT1_PT2_SG_SG_T3_jj.uses_flat_scratch, 0
	.set _ZN7rocprim17ROCPRIM_304000_NS6detail26onesweep_histograms_kernelINS1_34wrapped_radix_sort_onesweep_configINS0_14default_configEaN2at4cuda3cub6detail10OpaqueTypeILi8EEEEELb0EPKamNS0_19identity_decomposerEEEvT1_PT2_SG_SG_T3_jj.has_dyn_sized_stack, 0
	.set _ZN7rocprim17ROCPRIM_304000_NS6detail26onesweep_histograms_kernelINS1_34wrapped_radix_sort_onesweep_configINS0_14default_configEaN2at4cuda3cub6detail10OpaqueTypeILi8EEEEELb0EPKamNS0_19identity_decomposerEEEvT1_PT2_SG_SG_T3_jj.has_recursion, 0
	.set _ZN7rocprim17ROCPRIM_304000_NS6detail26onesweep_histograms_kernelINS1_34wrapped_radix_sort_onesweep_configINS0_14default_configEaN2at4cuda3cub6detail10OpaqueTypeILi8EEEEELb0EPKamNS0_19identity_decomposerEEEvT1_PT2_SG_SG_T3_jj.has_indirect_call, 0
	.section	.AMDGPU.csdata,"",@progbits
; Kernel info:
; codeLenInByte = 2620
; TotalNumSgprs: 34
; NumVgprs: 18
; NumAgprs: 0
; TotalNumVgprs: 18
; ScratchSize: 0
; MemoryBound: 0
; FloatMode: 240
; IeeeMode: 1
; LDSByteSize: 4096 bytes/workgroup (compile time only)
; SGPRBlocks: 4
; VGPRBlocks: 2
; NumSGPRsForWavesPerEU: 34
; NumVGPRsForWavesPerEU: 18
; AccumOffset: 20
; Occupancy: 8
; WaveLimiterHint : 1
; COMPUTE_PGM_RSRC2:SCRATCH_EN: 0
; COMPUTE_PGM_RSRC2:USER_SGPR: 2
; COMPUTE_PGM_RSRC2:TRAP_HANDLER: 0
; COMPUTE_PGM_RSRC2:TGID_X_EN: 1
; COMPUTE_PGM_RSRC2:TGID_Y_EN: 0
; COMPUTE_PGM_RSRC2:TGID_Z_EN: 0
; COMPUTE_PGM_RSRC2:TIDIG_COMP_CNT: 0
; COMPUTE_PGM_RSRC3_GFX90A:ACCUM_OFFSET: 4
; COMPUTE_PGM_RSRC3_GFX90A:TG_SPLIT: 0
	.section	.text._ZN7rocprim17ROCPRIM_304000_NS6detail25onesweep_iteration_kernelINS1_34wrapped_radix_sort_onesweep_configINS0_14default_configEaN2at4cuda3cub6detail10OpaqueTypeILi8EEEEELb0EPKaPaPKSA_PSA_mNS0_19identity_decomposerEEEvT1_T2_T3_T4_jPT5_SO_PNS1_23onesweep_lookback_stateET6_jjj,"axG",@progbits,_ZN7rocprim17ROCPRIM_304000_NS6detail25onesweep_iteration_kernelINS1_34wrapped_radix_sort_onesweep_configINS0_14default_configEaN2at4cuda3cub6detail10OpaqueTypeILi8EEEEELb0EPKaPaPKSA_PSA_mNS0_19identity_decomposerEEEvT1_T2_T3_T4_jPT5_SO_PNS1_23onesweep_lookback_stateET6_jjj,comdat
	.protected	_ZN7rocprim17ROCPRIM_304000_NS6detail25onesweep_iteration_kernelINS1_34wrapped_radix_sort_onesweep_configINS0_14default_configEaN2at4cuda3cub6detail10OpaqueTypeILi8EEEEELb0EPKaPaPKSA_PSA_mNS0_19identity_decomposerEEEvT1_T2_T3_T4_jPT5_SO_PNS1_23onesweep_lookback_stateET6_jjj ; -- Begin function _ZN7rocprim17ROCPRIM_304000_NS6detail25onesweep_iteration_kernelINS1_34wrapped_radix_sort_onesweep_configINS0_14default_configEaN2at4cuda3cub6detail10OpaqueTypeILi8EEEEELb0EPKaPaPKSA_PSA_mNS0_19identity_decomposerEEEvT1_T2_T3_T4_jPT5_SO_PNS1_23onesweep_lookback_stateET6_jjj
	.globl	_ZN7rocprim17ROCPRIM_304000_NS6detail25onesweep_iteration_kernelINS1_34wrapped_radix_sort_onesweep_configINS0_14default_configEaN2at4cuda3cub6detail10OpaqueTypeILi8EEEEELb0EPKaPaPKSA_PSA_mNS0_19identity_decomposerEEEvT1_T2_T3_T4_jPT5_SO_PNS1_23onesweep_lookback_stateET6_jjj
	.p2align	8
	.type	_ZN7rocprim17ROCPRIM_304000_NS6detail25onesweep_iteration_kernelINS1_34wrapped_radix_sort_onesweep_configINS0_14default_configEaN2at4cuda3cub6detail10OpaqueTypeILi8EEEEELb0EPKaPaPKSA_PSA_mNS0_19identity_decomposerEEEvT1_T2_T3_T4_jPT5_SO_PNS1_23onesweep_lookback_stateET6_jjj,@function
_ZN7rocprim17ROCPRIM_304000_NS6detail25onesweep_iteration_kernelINS1_34wrapped_radix_sort_onesweep_configINS0_14default_configEaN2at4cuda3cub6detail10OpaqueTypeILi8EEEEELb0EPKaPaPKSA_PSA_mNS0_19identity_decomposerEEEvT1_T2_T3_T4_jPT5_SO_PNS1_23onesweep_lookback_stateET6_jjj: ; @_ZN7rocprim17ROCPRIM_304000_NS6detail25onesweep_iteration_kernelINS1_34wrapped_radix_sort_onesweep_configINS0_14default_configEaN2at4cuda3cub6detail10OpaqueTypeILi8EEEEELb0EPKaPaPKSA_PSA_mNS0_19identity_decomposerEEEvT1_T2_T3_T4_jPT5_SO_PNS1_23onesweep_lookback_stateET6_jjj
; %bb.0:
	s_load_dwordx4 s[44:47], s[0:1], 0x44
	s_load_dwordx8 s[36:43], s[0:1], 0x0
	s_load_dwordx4 s[28:31], s[0:1], 0x28
	s_load_dwordx2 s[48:49], s[0:1], 0x38
	s_mov_b64 s[4:5], -1
	s_waitcnt lgkmcnt(0)
	s_cmp_ge_u32 s2, s46
	s_mul_i32 s34, s2, 0xc00
	v_mbcnt_lo_u32_b32 v1, -1, 0
	s_cbranch_scc0 .LBB48_96
; %bb.1:
	s_load_dword s3, s[0:1], 0x20
	s_mul_i32 s33, s46, 0xfffff400
	v_and_b32_e32 v3, 0x1c0, v0
	v_mbcnt_hi_u32_b32 v6, -1, v1
	v_mul_u32_u24_e32 v4, 6, v3
	s_waitcnt lgkmcnt(0)
	s_add_i32 s33, s33, s3
	s_add_u32 s4, s36, s34
	s_addc_u32 s5, s37, 0
	v_mov_b32_e32 v7, 0
	v_lshl_add_u64 v[8:9], s[4:5], 0, v[6:7]
	v_mov_b32_e32 v5, v7
	v_or_b32_e32 v10, v6, v4
	s_mov_b32 s35, 0
	v_lshl_add_u64 v[8:9], v[8:9], 0, v[4:5]
	v_cmp_gt_u32_e32 vcc, s33, v10
	v_mov_b32_e32 v7, 0x7f
	v_mov_b32_e32 v5, 0x7f
	;; [unrolled: 1-line block ×6, first 2 shown]
	s_and_saveexec_b64 s[4:5], vcc
	s_cbranch_execz .LBB48_3
; %bb.2:
	global_load_ubyte v5, v[8:9], off
	v_mov_b32_e32 v7, 0x7f
	v_mov_b32_e32 v14, 0x7f
	;; [unrolled: 1-line block ×5, first 2 shown]
.LBB48_3:
	s_or_b64 exec, exec, s[4:5]
	v_add_u32_e32 v2, 64, v10
	v_cmp_gt_u32_e64 s[26:27], s33, v2
	s_and_saveexec_b64 s[4:5], s[26:27]
	s_cbranch_execz .LBB48_5
; %bb.4:
	global_load_ubyte v14, v[8:9], off offset:64
.LBB48_5:
	s_or_b64 exec, exec, s[4:5]
	v_add_u32_e32 v2, 0x80, v10
	v_cmp_gt_u32_e64 s[4:5], s33, v2
	s_and_saveexec_b64 s[6:7], s[4:5]
	s_cbranch_execz .LBB48_7
; %bb.6:
	global_load_ubyte v19, v[8:9], off offset:128
.LBB48_7:
	;; [unrolled: 8-line block ×4, first 2 shown]
	s_or_b64 exec, exec, s[10:11]
	v_add_u32_e32 v10, 0x140, v10
	v_and_b32_e32 v2, 0x3ff, v0
	v_cmp_gt_u32_e64 s[10:11], s33, v10
	s_and_saveexec_b64 s[12:13], s[10:11]
	s_cbranch_execz .LBB48_13
; %bb.12:
	global_load_ubyte v7, v[8:9], off offset:320
.LBB48_13:
	s_or_b64 exec, exec, s[12:13]
	s_load_dword s12, s[0:1], 0x5c
	s_load_dword s3, s[0:1], 0x50
	s_add_u32 s13, s0, 0x50
	s_addc_u32 s14, s1, 0
	v_mov_b32_e32 v9, 0
	s_waitcnt lgkmcnt(0)
	s_lshr_b32 s15, s12, 16
	s_cmp_lt_u32 s2, s3
	s_cselect_b32 s12, 12, 18
	s_add_u32 s12, s13, s12
	s_addc_u32 s13, s14, 0
	global_load_ushort v13, v9, s[12:13]
	s_waitcnt vmcnt(1)
	v_xor_b32_e32 v5, 0xffffff80, v5
	v_lshrrev_b32_sdwa v17, s44, v5 dst_sel:DWORD dst_unused:UNUSED_PAD src0_sel:DWORD src1_sel:BYTE_0
	s_lshl_b32 s12, -1, s45
	v_bfe_u32 v8, v0, 10, 10
	v_bfe_u32 v11, v0, 20, 10
	v_bitop3_b32 v21, v17, s12, v17 bitop3:0x30
	v_mad_u32_u24 v18, v11, s15, v8
	v_and_b32_e32 v8, 1, v21
	v_lshlrev_b32_e32 v11, 30, v21
	v_mov_b32_e32 v10, v9
	v_mov_b32_e32 v22, v9
	s_not_b32 s50, s12
	v_lshlrev_b32_e32 v17, 29, v21
	v_lshlrev_b32_e32 v23, 28, v21
	v_lshl_add_u64 v[32:33], v[8:9], 0, -1
	v_cmp_ne_u32_e64 s[12:13], 0, v8
	v_not_b32_e32 v8, v11
	v_mov_b32_e32 v16, v9
	v_mov_b32_e32 v24, v9
	v_lshlrev_b32_e32 v25, 27, v21
	v_cmp_gt_i64_e64 s[14:15], 0, v[10:11]
	v_not_b32_e32 v10, v17
	v_cmp_gt_i64_e64 s[18:19], 0, v[22:23]
	v_xor_b32_e32 v22, s13, v33
	v_ashrrev_i32_e32 v8, 31, v8
	v_cmp_gt_i64_e64 s[16:17], 0, v[16:17]
	v_not_b32_e32 v11, v23
	v_cmp_gt_i64_e64 s[20:21], 0, v[24:25]
	v_xor_b32_e32 v23, s12, v32
	v_ashrrev_i32_e32 v10, 31, v10
	v_and_b32_e32 v22, exec_hi, v22
	v_xor_b32_e32 v24, s15, v8
	v_mov_b32_e32 v26, v9
	v_lshlrev_b32_e32 v27, 26, v21
	v_not_b32_e32 v16, v25
	v_ashrrev_i32_e32 v11, 31, v11
	v_and_b32_e32 v23, exec_lo, v23
	v_xor_b32_e32 v8, s14, v8
	v_xor_b32_e32 v25, s17, v10
	v_and_b32_e32 v22, v22, v24
	v_lshlrev_b32_e32 v29, 25, v21
	v_cmp_gt_i64_e64 s[22:23], 0, v[26:27]
	v_not_b32_e32 v17, v27
	v_ashrrev_i32_e32 v16, 31, v16
	v_xor_b32_e32 v10, s16, v10
	v_xor_b32_e32 v26, s19, v11
	v_and_b32_e32 v8, v23, v8
	v_and_b32_e32 v22, v22, v25
	v_mov_b32_e32 v28, v9
	v_mul_u32_u24_e32 v34, 36, v21
	v_lshlrev_b32_e32 v31, 24, v21
	v_not_b32_e32 v21, v29
	v_ashrrev_i32_e32 v17, 31, v17
	v_xor_b32_e32 v27, s21, v16
	v_and_b32_e32 v8, v8, v10
	v_and_b32_e32 v10, v22, v26
	v_cmp_gt_i64_e64 s[24:25], 0, v[28:29]
	v_ashrrev_i32_e32 v21, 31, v21
	v_xor_b32_e32 v11, s18, v11
	v_xor_b32_e32 v28, s23, v17
	v_and_b32_e32 v10, v10, v27
	v_xor_b32_e32 v16, s20, v16
	v_xor_b32_e32 v29, s25, v21
	v_and_b32_e32 v8, v8, v11
	v_and_b32_e32 v10, v10, v28
	v_and_b32_e32 v8, v8, v16
	v_and_b32_e32 v16, v10, v29
	v_xor_b32_e32 v17, s22, v17
	v_mov_b32_e32 v30, v9
	v_xor_b32_e32 v21, s24, v21
	v_and_b32_e32 v8, v8, v17
	v_and_b32_e32 v8, v8, v21
	v_mul_u32_u24_e32 v12, 20, v2
	ds_write2_b32 v12, v9, v9 offset0:8 offset1:9
	ds_write2_b32 v12, v9, v9 offset0:10 offset1:11
	ds_write_b32 v12, v9 offset:48
	s_waitcnt lgkmcnt(0)
	s_barrier
	s_waitcnt vmcnt(0)
	; wave barrier
	v_mad_u64_u32 v[10:11], s[12:13], v18, v13, v[2:3]
	v_lshrrev_b32_e32 v10, 4, v10
	v_and_b32_e32 v22, 0xffffffc, v10
	v_not_b32_e32 v10, v31
	v_cmp_gt_i64_e64 s[12:13], 0, v[30:31]
	v_ashrrev_i32_e32 v10, 31, v10
	v_add_u32_e32 v17, v22, v34
	v_xor_b32_e32 v11, s13, v10
	v_xor_b32_e32 v10, s12, v10
	v_and_b32_e32 v10, v8, v10
	v_and_b32_e32 v11, v16, v11
	v_mbcnt_lo_u32_b32 v8, v10, 0
	v_mbcnt_hi_u32_b32 v13, v11, v8
	v_cmp_eq_u32_e64 s[12:13], 0, v13
	v_cmp_ne_u64_e64 s[14:15], 0, v[10:11]
	s_and_b64 s[14:15], s[14:15], s[12:13]
	s_and_saveexec_b64 s[12:13], s[14:15]
; %bb.14:
	v_bcnt_u32_b32 v8, v10, 0
	v_bcnt_u32_b32 v8, v11, v8
	ds_write_b32 v17, v8 offset:32
; %bb.15:
	s_or_b64 exec, exec, s[12:13]
	v_xor_b32_e32 v14, 0xffffff80, v14
	v_lshrrev_b32_sdwa v8, s44, v14 dst_sel:DWORD dst_unused:UNUSED_PAD src0_sel:DWORD src1_sel:BYTE_0
	v_and_b32_e32 v18, s50, v8
	v_mad_u32_u24 v8, v18, 36, v22
	; wave barrier
	ds_read_b32 v16, v8 offset:32
	v_and_b32_e32 v8, 1, v18
	v_lshl_add_u64 v[10:11], v[8:9], 0, -1
	v_cmp_ne_u32_e64 s[12:13], 0, v8
	v_mul_u32_u24_e32 v21, 36, v18
	s_nop 0
	v_xor_b32_e32 v10, s12, v10
	v_xor_b32_e32 v8, s13, v11
	v_and_b32_e32 v23, exec_lo, v10
	v_lshlrev_b32_e32 v11, 30, v18
	v_mov_b32_e32 v10, v9
	v_cmp_gt_i64_e64 s[12:13], 0, v[10:11]
	v_not_b32_e32 v10, v11
	v_ashrrev_i32_e32 v10, 31, v10
	v_and_b32_e32 v8, exec_hi, v8
	v_xor_b32_e32 v11, s13, v10
	v_xor_b32_e32 v10, s12, v10
	v_and_b32_e32 v8, v8, v11
	v_and_b32_e32 v23, v23, v10
	v_lshlrev_b32_e32 v11, 29, v18
	v_mov_b32_e32 v10, v9
	v_cmp_gt_i64_e64 s[12:13], 0, v[10:11]
	v_not_b32_e32 v10, v11
	v_ashrrev_i32_e32 v10, 31, v10
	v_xor_b32_e32 v11, s13, v10
	v_xor_b32_e32 v10, s12, v10
	v_and_b32_e32 v8, v8, v11
	v_and_b32_e32 v23, v23, v10
	v_lshlrev_b32_e32 v11, 28, v18
	v_mov_b32_e32 v10, v9
	v_cmp_gt_i64_e64 s[12:13], 0, v[10:11]
	v_not_b32_e32 v10, v11
	v_ashrrev_i32_e32 v10, 31, v10
	;; [unrolled: 9-line block ×5, first 2 shown]
	v_xor_b32_e32 v11, s13, v10
	v_xor_b32_e32 v10, s12, v10
	v_and_b32_e32 v8, v8, v11
	v_lshlrev_b32_e32 v11, 24, v18
	v_and_b32_e32 v23, v23, v10
	v_mov_b32_e32 v10, v9
	v_not_b32_e32 v9, v11
	v_cmp_gt_i64_e64 s[12:13], 0, v[10:11]
	v_ashrrev_i32_e32 v9, 31, v9
	; wave barrier
	s_nop 0
	v_xor_b32_e32 v10, s13, v9
	v_xor_b32_e32 v11, s12, v9
	v_and_b32_e32 v9, v8, v10
	v_and_b32_e32 v8, v23, v11
	v_mbcnt_lo_u32_b32 v10, v8, 0
	v_mbcnt_hi_u32_b32 v18, v9, v10
	v_cmp_eq_u32_e64 s[12:13], 0, v18
	v_cmp_ne_u64_e64 s[14:15], 0, v[8:9]
	s_and_b64 s[14:15], s[14:15], s[12:13]
	v_add_u32_e32 v23, v22, v21
	s_and_saveexec_b64 s[12:13], s[14:15]
	s_cbranch_execz .LBB48_17
; %bb.16:
	v_bcnt_u32_b32 v8, v8, 0
	v_bcnt_u32_b32 v8, v9, v8
	s_waitcnt lgkmcnt(0)
	v_add_u32_e32 v8, v16, v8
	ds_write_b32 v23, v8 offset:32
.LBB48_17:
	s_or_b64 exec, exec, s[12:13]
	v_xor_b32_e32 v19, 0xffffff80, v19
	v_lshrrev_b32_sdwa v8, s44, v19 dst_sel:DWORD dst_unused:UNUSED_PAD src0_sel:DWORD src1_sel:BYTE_0
	v_and_b32_e32 v24, s50, v8
	v_mad_u32_u24 v8, v24, 36, v22
	; wave barrier
	ds_read_b32 v21, v8 offset:32
	v_and_b32_e32 v8, 1, v24
	v_mov_b32_e32 v9, 0
	v_lshl_add_u64 v[10:11], v[8:9], 0, -1
	v_cmp_ne_u32_e64 s[12:13], 0, v8
	v_mul_u32_u24_e32 v25, 36, v24
	s_nop 0
	v_xor_b32_e32 v10, s12, v10
	v_xor_b32_e32 v8, s13, v11
	v_and_b32_e32 v26, exec_lo, v10
	v_lshlrev_b32_e32 v11, 30, v24
	v_mov_b32_e32 v10, v9
	v_cmp_gt_i64_e64 s[12:13], 0, v[10:11]
	v_not_b32_e32 v10, v11
	v_ashrrev_i32_e32 v10, 31, v10
	v_and_b32_e32 v8, exec_hi, v8
	v_xor_b32_e32 v11, s13, v10
	v_xor_b32_e32 v10, s12, v10
	v_and_b32_e32 v8, v8, v11
	v_and_b32_e32 v26, v26, v10
	v_lshlrev_b32_e32 v11, 29, v24
	v_mov_b32_e32 v10, v9
	v_cmp_gt_i64_e64 s[12:13], 0, v[10:11]
	v_not_b32_e32 v10, v11
	v_ashrrev_i32_e32 v10, 31, v10
	v_xor_b32_e32 v11, s13, v10
	v_xor_b32_e32 v10, s12, v10
	v_and_b32_e32 v8, v8, v11
	v_and_b32_e32 v26, v26, v10
	v_lshlrev_b32_e32 v11, 28, v24
	v_mov_b32_e32 v10, v9
	v_cmp_gt_i64_e64 s[12:13], 0, v[10:11]
	v_not_b32_e32 v10, v11
	v_ashrrev_i32_e32 v10, 31, v10
	;; [unrolled: 9-line block ×6, first 2 shown]
	v_xor_b32_e32 v11, s13, v10
	v_xor_b32_e32 v10, s12, v10
	v_and_b32_e32 v10, v26, v10
	v_and_b32_e32 v11, v8, v11
	v_mbcnt_lo_u32_b32 v8, v10, 0
	v_mbcnt_hi_u32_b32 v24, v11, v8
	v_cmp_eq_u32_e64 s[12:13], 0, v24
	v_cmp_ne_u64_e64 s[14:15], 0, v[10:11]
	s_and_b64 s[14:15], s[14:15], s[12:13]
	v_add_u32_e32 v26, v22, v25
	; wave barrier
	s_and_saveexec_b64 s[12:13], s[14:15]
	s_cbranch_execz .LBB48_19
; %bb.18:
	v_bcnt_u32_b32 v8, v10, 0
	v_bcnt_u32_b32 v8, v11, v8
	s_waitcnt lgkmcnt(0)
	v_add_u32_e32 v8, v21, v8
	ds_write_b32 v26, v8 offset:32
.LBB48_19:
	s_or_b64 exec, exec, s[12:13]
	v_xor_b32_e32 v20, 0xffffff80, v20
	v_lshrrev_b32_sdwa v8, s44, v20 dst_sel:DWORD dst_unused:UNUSED_PAD src0_sel:DWORD src1_sel:BYTE_0
	v_and_b32_e32 v27, s50, v8
	v_mad_u32_u24 v8, v27, 36, v22
	; wave barrier
	ds_read_b32 v25, v8 offset:32
	v_and_b32_e32 v8, 1, v27
	v_lshl_add_u64 v[10:11], v[8:9], 0, -1
	v_cmp_ne_u32_e64 s[12:13], 0, v8
	v_mul_u32_u24_e32 v28, 36, v27
	s_nop 0
	v_xor_b32_e32 v10, s12, v10
	v_xor_b32_e32 v8, s13, v11
	v_and_b32_e32 v29, exec_lo, v10
	v_lshlrev_b32_e32 v11, 30, v27
	v_mov_b32_e32 v10, v9
	v_cmp_gt_i64_e64 s[12:13], 0, v[10:11]
	v_not_b32_e32 v10, v11
	v_ashrrev_i32_e32 v10, 31, v10
	v_and_b32_e32 v8, exec_hi, v8
	v_xor_b32_e32 v11, s13, v10
	v_xor_b32_e32 v10, s12, v10
	v_and_b32_e32 v8, v8, v11
	v_and_b32_e32 v29, v29, v10
	v_lshlrev_b32_e32 v11, 29, v27
	v_mov_b32_e32 v10, v9
	v_cmp_gt_i64_e64 s[12:13], 0, v[10:11]
	v_not_b32_e32 v10, v11
	v_ashrrev_i32_e32 v10, 31, v10
	v_xor_b32_e32 v11, s13, v10
	v_xor_b32_e32 v10, s12, v10
	v_and_b32_e32 v8, v8, v11
	v_and_b32_e32 v29, v29, v10
	v_lshlrev_b32_e32 v11, 28, v27
	v_mov_b32_e32 v10, v9
	v_cmp_gt_i64_e64 s[12:13], 0, v[10:11]
	v_not_b32_e32 v10, v11
	v_ashrrev_i32_e32 v10, 31, v10
	;; [unrolled: 9-line block ×5, first 2 shown]
	v_xor_b32_e32 v11, s13, v10
	v_xor_b32_e32 v10, s12, v10
	v_and_b32_e32 v8, v8, v11
	v_lshlrev_b32_e32 v11, 24, v27
	v_and_b32_e32 v29, v29, v10
	v_mov_b32_e32 v10, v9
	v_not_b32_e32 v9, v11
	v_cmp_gt_i64_e64 s[12:13], 0, v[10:11]
	v_ashrrev_i32_e32 v9, 31, v9
	v_add_u32_e32 v27, v22, v28
	v_xor_b32_e32 v10, s13, v9
	v_xor_b32_e32 v11, s12, v9
	v_and_b32_e32 v9, v8, v10
	v_and_b32_e32 v8, v29, v11
	v_mbcnt_lo_u32_b32 v10, v8, 0
	v_mbcnt_hi_u32_b32 v29, v9, v10
	v_cmp_eq_u32_e64 s[12:13], 0, v29
	v_cmp_ne_u64_e64 s[14:15], 0, v[8:9]
	s_and_b64 s[14:15], s[14:15], s[12:13]
	; wave barrier
	s_and_saveexec_b64 s[12:13], s[14:15]
	s_cbranch_execz .LBB48_21
; %bb.20:
	v_bcnt_u32_b32 v8, v8, 0
	v_bcnt_u32_b32 v8, v9, v8
	s_waitcnt lgkmcnt(0)
	v_add_u32_e32 v8, v25, v8
	ds_write_b32 v27, v8 offset:32
.LBB48_21:
	s_or_b64 exec, exec, s[12:13]
	v_xor_b32_e32 v15, 0xffffff80, v15
	v_lshrrev_b32_sdwa v8, s44, v15 dst_sel:DWORD dst_unused:UNUSED_PAD src0_sel:DWORD src1_sel:BYTE_0
	v_and_b32_e32 v28, s50, v8
	v_mad_u32_u24 v8, v28, 36, v22
	; wave barrier
	ds_read_b32 v30, v8 offset:32
	v_and_b32_e32 v8, 1, v28
	v_mov_b32_e32 v9, 0
	v_lshl_add_u64 v[10:11], v[8:9], 0, -1
	v_cmp_ne_u32_e64 s[12:13], 0, v8
	v_mul_u32_u24_e32 v32, 36, v28
	s_nop 0
	v_xor_b32_e32 v10, s12, v10
	v_xor_b32_e32 v8, s13, v11
	v_and_b32_e32 v31, exec_lo, v10
	v_lshlrev_b32_e32 v11, 30, v28
	v_mov_b32_e32 v10, v9
	v_cmp_gt_i64_e64 s[12:13], 0, v[10:11]
	v_not_b32_e32 v10, v11
	v_ashrrev_i32_e32 v10, 31, v10
	v_and_b32_e32 v8, exec_hi, v8
	v_xor_b32_e32 v11, s13, v10
	v_xor_b32_e32 v10, s12, v10
	v_and_b32_e32 v8, v8, v11
	v_and_b32_e32 v31, v31, v10
	v_lshlrev_b32_e32 v11, 29, v28
	v_mov_b32_e32 v10, v9
	v_cmp_gt_i64_e64 s[12:13], 0, v[10:11]
	v_not_b32_e32 v10, v11
	v_ashrrev_i32_e32 v10, 31, v10
	v_xor_b32_e32 v11, s13, v10
	v_xor_b32_e32 v10, s12, v10
	v_and_b32_e32 v8, v8, v11
	v_and_b32_e32 v31, v31, v10
	v_lshlrev_b32_e32 v11, 28, v28
	v_mov_b32_e32 v10, v9
	v_cmp_gt_i64_e64 s[12:13], 0, v[10:11]
	v_not_b32_e32 v10, v11
	v_ashrrev_i32_e32 v10, 31, v10
	;; [unrolled: 9-line block ×6, first 2 shown]
	v_xor_b32_e32 v11, s13, v10
	v_xor_b32_e32 v10, s12, v10
	v_and_b32_e32 v10, v31, v10
	v_and_b32_e32 v11, v8, v11
	v_mbcnt_lo_u32_b32 v8, v10, 0
	v_mbcnt_hi_u32_b32 v31, v11, v8
	v_cmp_eq_u32_e64 s[12:13], 0, v31
	v_cmp_ne_u64_e64 s[14:15], 0, v[10:11]
	s_and_b64 s[14:15], s[14:15], s[12:13]
	v_add_u32_e32 v28, v22, v32
	; wave barrier
	s_and_saveexec_b64 s[12:13], s[14:15]
	s_cbranch_execz .LBB48_23
; %bb.22:
	v_bcnt_u32_b32 v8, v10, 0
	v_bcnt_u32_b32 v8, v11, v8
	s_waitcnt lgkmcnt(0)
	v_add_u32_e32 v8, v30, v8
	ds_write_b32 v28, v8 offset:32
.LBB48_23:
	s_or_b64 exec, exec, s[12:13]
	v_xor_b32_e32 v7, 0xffffff80, v7
	v_lshrrev_b32_sdwa v8, s44, v7 dst_sel:DWORD dst_unused:UNUSED_PAD src0_sel:DWORD src1_sel:BYTE_0
	v_and_b32_e32 v33, s50, v8
	v_mad_u32_u24 v8, v33, 36, v22
	; wave barrier
	ds_read_b32 v32, v8 offset:32
	v_and_b32_e32 v8, 1, v33
	v_lshl_add_u64 v[10:11], v[8:9], 0, -1
	v_cmp_ne_u32_e64 s[12:13], 0, v8
	v_mul_u32_u24_e32 v34, 36, v33
	v_add_u32_e32 v22, v22, v34
	v_xor_b32_e32 v10, s12, v10
	v_xor_b32_e32 v8, s13, v11
	v_and_b32_e32 v35, exec_lo, v10
	v_lshlrev_b32_e32 v11, 30, v33
	v_mov_b32_e32 v10, v9
	v_cmp_gt_i64_e64 s[12:13], 0, v[10:11]
	v_not_b32_e32 v10, v11
	v_ashrrev_i32_e32 v10, 31, v10
	v_and_b32_e32 v8, exec_hi, v8
	v_xor_b32_e32 v11, s13, v10
	v_xor_b32_e32 v10, s12, v10
	v_and_b32_e32 v8, v8, v11
	v_and_b32_e32 v35, v35, v10
	v_lshlrev_b32_e32 v11, 29, v33
	v_mov_b32_e32 v10, v9
	v_cmp_gt_i64_e64 s[12:13], 0, v[10:11]
	v_not_b32_e32 v10, v11
	v_ashrrev_i32_e32 v10, 31, v10
	v_xor_b32_e32 v11, s13, v10
	v_xor_b32_e32 v10, s12, v10
	v_and_b32_e32 v8, v8, v11
	v_and_b32_e32 v35, v35, v10
	v_lshlrev_b32_e32 v11, 28, v33
	v_mov_b32_e32 v10, v9
	v_cmp_gt_i64_e64 s[12:13], 0, v[10:11]
	v_not_b32_e32 v10, v11
	v_ashrrev_i32_e32 v10, 31, v10
	v_xor_b32_e32 v11, s13, v10
	v_xor_b32_e32 v10, s12, v10
	v_and_b32_e32 v8, v8, v11
	v_and_b32_e32 v35, v35, v10
	v_lshlrev_b32_e32 v11, 27, v33
	v_mov_b32_e32 v10, v9
	v_cmp_gt_i64_e64 s[12:13], 0, v[10:11]
	v_not_b32_e32 v10, v11
	v_ashrrev_i32_e32 v10, 31, v10
	v_xor_b32_e32 v11, s13, v10
	v_xor_b32_e32 v10, s12, v10
	v_and_b32_e32 v8, v8, v11
	v_and_b32_e32 v35, v35, v10
	v_lshlrev_b32_e32 v11, 26, v33
	v_mov_b32_e32 v10, v9
	v_cmp_gt_i64_e64 s[12:13], 0, v[10:11]
	v_not_b32_e32 v10, v11
	v_ashrrev_i32_e32 v10, 31, v10
	v_xor_b32_e32 v11, s13, v10
	v_xor_b32_e32 v10, s12, v10
	v_and_b32_e32 v8, v8, v11
	v_and_b32_e32 v35, v35, v10
	v_lshlrev_b32_e32 v11, 25, v33
	v_mov_b32_e32 v10, v9
	v_cmp_gt_i64_e64 s[12:13], 0, v[10:11]
	v_not_b32_e32 v10, v11
	v_ashrrev_i32_e32 v10, 31, v10
	v_xor_b32_e32 v11, s13, v10
	v_xor_b32_e32 v10, s12, v10
	v_and_b32_e32 v8, v8, v11
	v_lshlrev_b32_e32 v11, 24, v33
	v_and_b32_e32 v35, v35, v10
	v_mov_b32_e32 v10, v9
	v_not_b32_e32 v9, v11
	v_cmp_gt_i64_e64 s[12:13], 0, v[10:11]
	v_ashrrev_i32_e32 v9, 31, v9
	s_nop 0
	v_xor_b32_e32 v10, s13, v9
	v_xor_b32_e32 v11, s12, v9
	v_and_b32_e32 v9, v8, v10
	v_and_b32_e32 v8, v35, v11
	v_mbcnt_lo_u32_b32 v10, v8, 0
	v_mbcnt_hi_u32_b32 v33, v9, v10
	v_cmp_eq_u32_e64 s[12:13], 0, v33
	v_cmp_ne_u64_e64 s[14:15], 0, v[8:9]
	s_and_b64 s[14:15], s[14:15], s[12:13]
	; wave barrier
	s_and_saveexec_b64 s[12:13], s[14:15]
	s_cbranch_execz .LBB48_25
; %bb.24:
	v_bcnt_u32_b32 v8, v8, 0
	v_bcnt_u32_b32 v8, v9, v8
	s_waitcnt lgkmcnt(0)
	v_add_u32_e32 v8, v32, v8
	ds_write_b32 v22, v8 offset:32
.LBB48_25:
	s_or_b64 exec, exec, s[12:13]
	; wave barrier
	s_waitcnt lgkmcnt(0)
	s_barrier
	ds_read2_b32 v[10:11], v12 offset0:8 offset1:9
	ds_read2_b32 v[8:9], v12 offset0:10 offset1:11
	ds_read_b32 v34, v12 offset:48
	v_min_u32_e32 v3, 0x1c0, v3
	v_or_b32_e32 v3, 63, v3
	s_waitcnt lgkmcnt(1)
	v_add3_u32 v35, v11, v10, v8
	s_waitcnt lgkmcnt(0)
	v_add3_u32 v34, v35, v9, v34
	v_and_b32_e32 v35, 15, v6
	v_cmp_ne_u32_e64 s[12:13], 0, v35
	v_mov_b32_dpp v36, v34 row_shr:1 row_mask:0xf bank_mask:0xf
	s_nop 0
	v_cndmask_b32_e64 v36, 0, v36, s[12:13]
	v_add_u32_e32 v34, v36, v34
	v_cmp_lt_u32_e64 s[12:13], 1, v35
	s_nop 0
	v_mov_b32_dpp v36, v34 row_shr:2 row_mask:0xf bank_mask:0xf
	v_cndmask_b32_e64 v36, 0, v36, s[12:13]
	v_add_u32_e32 v34, v34, v36
	v_cmp_lt_u32_e64 s[12:13], 3, v35
	s_nop 0
	v_mov_b32_dpp v36, v34 row_shr:4 row_mask:0xf bank_mask:0xf
	;; [unrolled: 5-line block ×3, first 2 shown]
	v_cndmask_b32_e64 v35, 0, v36, s[12:13]
	v_add_u32_e32 v34, v34, v35
	v_bfe_i32 v36, v6, 4, 1
	v_cmp_lt_u32_e64 s[12:13], 31, v6
	v_mov_b32_dpp v35, v34 row_bcast:15 row_mask:0xf bank_mask:0xf
	v_and_b32_e32 v35, v36, v35
	v_add_u32_e32 v34, v34, v35
	s_nop 1
	v_mov_b32_dpp v35, v34 row_bcast:31 row_mask:0xf bank_mask:0xf
	v_cndmask_b32_e64 v35, 0, v35, s[12:13]
	v_add_u32_e32 v34, v34, v35
	v_lshrrev_b32_e32 v35, 6, v2
	v_cmp_eq_u32_e64 s[12:13], v2, v3
	s_and_saveexec_b64 s[14:15], s[12:13]
; %bb.26:
	v_lshlrev_b32_e32 v3, 2, v35
	ds_write_b32 v3, v34
; %bb.27:
	s_or_b64 exec, exec, s[14:15]
	v_cmp_gt_u32_e64 s[12:13], 8, v2
	s_waitcnt lgkmcnt(0)
	s_barrier
	s_and_saveexec_b64 s[14:15], s[12:13]
	s_cbranch_execz .LBB48_29
; %bb.28:
	v_lshlrev_b32_e32 v3, 2, v2
	ds_read_b32 v36, v3
	v_and_b32_e32 v37, 7, v6
	v_cmp_ne_u32_e64 s[12:13], 0, v37
	s_waitcnt lgkmcnt(0)
	v_mov_b32_dpp v38, v36 row_shr:1 row_mask:0xf bank_mask:0xf
	v_cndmask_b32_e64 v38, 0, v38, s[12:13]
	v_add_u32_e32 v36, v38, v36
	v_cmp_lt_u32_e64 s[12:13], 1, v37
	s_nop 0
	v_mov_b32_dpp v38, v36 row_shr:2 row_mask:0xf bank_mask:0xf
	v_cndmask_b32_e64 v38, 0, v38, s[12:13]
	v_add_u32_e32 v36, v36, v38
	v_cmp_lt_u32_e64 s[12:13], 3, v37
	s_nop 0
	v_mov_b32_dpp v38, v36 row_shr:4 row_mask:0xf bank_mask:0xf
	v_cndmask_b32_e64 v37, 0, v38, s[12:13]
	v_add_u32_e32 v36, v36, v37
	ds_write_b32 v3, v36
.LBB48_29:
	s_or_b64 exec, exec, s[14:15]
	v_cmp_lt_u32_e64 s[12:13], 63, v2
	v_mov_b32_e32 v3, 0
	s_waitcnt lgkmcnt(0)
	s_barrier
	s_and_saveexec_b64 s[14:15], s[12:13]
; %bb.30:
	v_lshl_add_u32 v3, v35, 2, -4
	ds_read_b32 v3, v3
; %bb.31:
	s_or_b64 exec, exec, s[14:15]
	v_add_u32_e32 v35, -1, v6
	v_and_b32_e32 v36, 64, v6
	v_cmp_lt_i32_e64 s[12:13], v35, v36
	s_waitcnt lgkmcnt(0)
	v_add_u32_e32 v34, v3, v34
	s_movk_i32 s16, 0x100
	v_cndmask_b32_e64 v35, v35, v6, s[12:13]
	v_lshlrev_b32_e32 v35, 2, v35
	ds_bpermute_b32 v34, v35, v34
	v_cmp_eq_u32_e64 s[12:13], 0, v6
	v_cmp_gt_u32_e64 s[14:15], s16, v2
	s_waitcnt lgkmcnt(0)
	v_cndmask_b32_e64 v3, v34, v3, s[12:13]
	v_cmp_ne_u32_e64 s[12:13], 0, v2
	s_nop 1
	v_cndmask_b32_e64 v3, 0, v3, s[12:13]
	v_add_u32_e32 v10, v3, v10
	v_add_u32_e32 v11, v10, v11
	;; [unrolled: 1-line block ×4, first 2 shown]
	ds_write2_b32 v12, v3, v10 offset0:8 offset1:9
	ds_write2_b32 v12, v11, v8 offset0:10 offset1:11
	ds_write_b32 v12, v9 offset:48
	s_waitcnt lgkmcnt(0)
	s_barrier
	ds_read_b32 v3, v17 offset:32
	ds_read_b32 v11, v23 offset:32
	;; [unrolled: 1-line block ×6, first 2 shown]
	s_movk_i32 s12, 0xff
	v_cmp_lt_u32_e64 s[12:13], s12, v2
	v_mov_b64_e32 v[8:9], 0
                                        ; implicit-def: $vgpr10
	s_and_saveexec_b64 s[18:19], s[14:15]
	s_cbranch_execz .LBB48_35
; %bb.32:
	v_mul_u32_u24_e32 v8, 36, v2
	ds_read_b32 v8, v8 offset:32
	v_add_u32_e32 v10, 1, v2
	v_cmp_ne_u32_e64 s[16:17], s16, v10
	v_mov_b32_e32 v9, 0xc00
	s_and_saveexec_b64 s[20:21], s[16:17]
; %bb.33:
	v_mul_u32_u24_e32 v9, 36, v10
	ds_read_b32 v9, v9 offset:32
; %bb.34:
	s_or_b64 exec, exec, s[20:21]
	s_waitcnt lgkmcnt(0)
	v_sub_u32_e32 v10, v9, v8
	v_mov_b32_e32 v9, 0
.LBB48_35:
	s_or_b64 exec, exec, s[18:19]
	s_waitcnt lgkmcnt(5)
	v_add_u32_e32 v28, v3, v13
	v_mov_b32_e32 v13, 0
	s_waitcnt lgkmcnt(4)
	v_add3_u32 v27, v18, v16, v11
	s_waitcnt lgkmcnt(3)
	v_add3_u32 v26, v24, v21, v12
	;; [unrolled: 2-line block ×5, first 2 shown]
	v_mov_b32_e32 v3, v13
	v_lshlrev_b32_e32 v11, 3, v2
	s_barrier
	ds_write_b8 v28, v5 offset:2048
	ds_write_b8 v27, v14 offset:2048
	;; [unrolled: 1-line block ×6, first 2 shown]
	s_waitcnt lgkmcnt(0)
	s_barrier
	s_and_saveexec_b64 s[16:17], s[14:15]
	s_cbranch_execz .LBB48_45
; %bb.36:
	v_lshl_add_u32 v12, s2, 8, v2
	v_lshl_add_u64 v[14:15], v[12:13], 2, s[48:49]
	v_or_b32_e32 v5, 2.0, v10
	global_store_dword v[14:15], v5, off sc1
	s_mov_b64 s[18:19], 0
	s_brev_b32 s24, -4
	s_mov_b32 s25, s2
	v_mov_b32_e32 v5, 0
                                        ; implicit-def: $sgpr14_sgpr15
	s_branch .LBB48_39
.LBB48_37:                              ;   in Loop: Header=BB48_39 Depth=1
	s_or_b64 exec, exec, s[22:23]
.LBB48_38:                              ;   in Loop: Header=BB48_39 Depth=1
	s_or_b64 exec, exec, s[20:21]
	v_and_b32_e32 v12, 0x3fffffff, v7
	v_add_u32_e32 v5, v12, v5
	v_cmp_gt_i32_e64 s[14:15], -2.0, v7
	s_and_b64 s[20:21], exec, s[14:15]
	s_or_b64 s[18:19], s[20:21], s[18:19]
	s_andn2_b64 exec, exec, s[18:19]
	s_cbranch_execz .LBB48_44
.LBB48_39:                              ; =>This Loop Header: Depth=1
                                        ;     Child Loop BB48_42 Depth 2
	s_or_b64 s[14:15], s[14:15], exec
	s_cmp_eq_u32 s25, 0
	s_cbranch_scc1 .LBB48_43
; %bb.40:                               ;   in Loop: Header=BB48_39 Depth=1
	s_add_i32 s25, s25, -1
	v_lshl_or_b32 v12, s25, 8, v2
	v_lshl_add_u64 v[16:17], v[12:13], 2, s[48:49]
	global_load_dword v7, v[16:17], off sc1
	s_waitcnt vmcnt(0)
	v_cmp_gt_u32_e64 s[14:15], 2.0, v7
	s_and_saveexec_b64 s[20:21], s[14:15]
	s_cbranch_execz .LBB48_38
; %bb.41:                               ;   in Loop: Header=BB48_39 Depth=1
	s_mov_b64 s[22:23], 0
.LBB48_42:                              ;   Parent Loop BB48_39 Depth=1
                                        ; =>  This Inner Loop Header: Depth=2
	global_load_dword v7, v[16:17], off sc1
	s_waitcnt vmcnt(0)
	v_cmp_lt_u32_e64 s[14:15], s24, v7
	s_or_b64 s[22:23], s[14:15], s[22:23]
	s_andn2_b64 exec, exec, s[22:23]
	s_cbranch_execnz .LBB48_42
	s_branch .LBB48_37
.LBB48_43:                              ;   in Loop: Header=BB48_39 Depth=1
                                        ; implicit-def: $sgpr25
	s_and_b64 s[20:21], exec, s[14:15]
	s_or_b64 s[18:19], s[20:21], s[18:19]
	s_andn2_b64 exec, exec, s[18:19]
	s_cbranch_execnz .LBB48_39
.LBB48_44:
	s_or_b64 exec, exec, s[18:19]
	v_add_u32_e32 v12, v5, v10
	v_or_b32_e32 v12, 0x80000000, v12
	v_lshlrev_b32_e32 v7, 3, v2
	global_store_dword v[14:15], v12, off sc1
	global_load_dwordx2 v[12:13], v7, s[28:29]
	v_sub_co_u32_e64 v14, s[14:15], v5, v8
	s_nop 1
	v_subb_co_u32_e64 v15, s[14:15], 0, v9, s[14:15]
	s_waitcnt vmcnt(0)
	v_lshl_add_u64 v[12:13], v[14:15], 0, v[12:13]
	ds_write_b64 v11, v[12:13]
.LBB48_45:
	s_or_b64 exec, exec, s[16:17]
	v_cmp_gt_u32_e64 s[14:15], s33, v2
	s_waitcnt lgkmcnt(0)
	s_barrier
	s_and_saveexec_b64 s[16:17], s[14:15]
	s_cbranch_execz .LBB48_47
; %bb.46:
	ds_read_u8 v5, v2 offset:2048
	s_waitcnt lgkmcnt(0)
	v_lshrrev_b32_sdwa v7, s44, v5 dst_sel:DWORD dst_unused:UNUSED_PAD src0_sel:DWORD src1_sel:BYTE_0
	v_and_b32_e32 v7, s50, v7
	v_lshlrev_b32_e32 v7, 3, v7
	ds_read_b64 v[12:13], v7
	v_xor_b32_e32 v5, 0x80, v5
	s_waitcnt lgkmcnt(0)
	v_lshl_add_u64 v[12:13], s[38:39], 0, v[12:13]
	v_lshl_add_u64 v[12:13], v[12:13], 0, v[2:3]
	global_store_byte v[12:13], v5, off
.LBB48_47:
	s_or_b64 exec, exec, s[16:17]
	v_add_u32_e32 v25, 0x200, v2
	v_cmp_gt_u32_e64 s[16:17], s33, v25
	s_and_saveexec_b64 s[18:19], s[16:17]
	s_cbranch_execz .LBB48_49
; %bb.48:
	ds_read_u8 v5, v2 offset:2560
	s_waitcnt lgkmcnt(0)
	v_lshrrev_b32_sdwa v7, s44, v5 dst_sel:DWORD dst_unused:UNUSED_PAD src0_sel:DWORD src1_sel:BYTE_0
	v_and_b32_e32 v7, s50, v7
	v_lshlrev_b32_e32 v7, 3, v7
	ds_read_b64 v[12:13], v7
	v_xor_b32_e32 v5, 0x80, v5
	s_waitcnt lgkmcnt(0)
	v_lshl_add_u64 v[12:13], s[38:39], 0, v[12:13]
	v_lshl_add_u64 v[12:13], v[12:13], 0, v[2:3]
	global_store_byte v[12:13], v5, off offset:512
.LBB48_49:
	s_or_b64 exec, exec, s[18:19]
	v_or_b32_e32 v29, 0x400, v2
	v_cmp_gt_u32_e64 s[18:19], s33, v29
	s_and_saveexec_b64 s[20:21], s[18:19]
	s_cbranch_execz .LBB48_51
; %bb.50:
	ds_read_u8 v5, v2 offset:3072
	s_waitcnt lgkmcnt(0)
	v_lshrrev_b32_sdwa v7, s44, v5 dst_sel:DWORD dst_unused:UNUSED_PAD src0_sel:DWORD src1_sel:BYTE_0
	v_and_b32_e32 v7, s50, v7
	v_lshlrev_b32_e32 v7, 3, v7
	ds_read_b64 v[12:13], v7
	v_xor_b32_e32 v5, 0x80, v5
	s_waitcnt lgkmcnt(0)
	v_lshl_add_u64 v[12:13], s[38:39], 0, v[12:13]
	v_lshl_add_u64 v[12:13], v[12:13], 0, v[2:3]
	global_store_byte v[12:13], v5, off offset:1024
.LBB48_51:
	s_or_b64 exec, exec, s[20:21]
	v_add_u32_e32 v30, 0x600, v2
	v_cmp_gt_u32_e64 s[20:21], s33, v30
	s_and_saveexec_b64 s[22:23], s[20:21]
	s_cbranch_execz .LBB48_53
; %bb.52:
	ds_read_u8 v5, v2 offset:3584
	s_waitcnt lgkmcnt(0)
	v_lshrrev_b32_sdwa v7, s44, v5 dst_sel:DWORD dst_unused:UNUSED_PAD src0_sel:DWORD src1_sel:BYTE_0
	v_and_b32_e32 v7, s50, v7
	v_lshlrev_b32_e32 v7, 3, v7
	ds_read_b64 v[12:13], v7
	v_xor_b32_e32 v5, 0x80, v5
	s_waitcnt lgkmcnt(0)
	v_lshl_add_u64 v[12:13], s[38:39], 0, v[12:13]
	v_lshl_add_u64 v[12:13], v[12:13], 0, v[2:3]
	global_store_byte v[12:13], v5, off offset:1536
.LBB48_53:
	s_or_b64 exec, exec, s[22:23]
	v_or_b32_e32 v31, 0x800, v2
	v_cmp_gt_u32_e64 s[22:23], s33, v31
	s_and_saveexec_b64 s[24:25], s[22:23]
	s_cbranch_execz .LBB48_55
; %bb.54:
	ds_read_u8 v5, v2 offset:4096
	s_waitcnt lgkmcnt(0)
	v_lshrrev_b32_sdwa v7, s44, v5 dst_sel:DWORD dst_unused:UNUSED_PAD src0_sel:DWORD src1_sel:BYTE_0
	v_and_b32_e32 v7, s50, v7
	v_lshlrev_b32_e32 v7, 3, v7
	ds_read_b64 v[12:13], v7
	v_xor_b32_e32 v5, 0x80, v5
	s_waitcnt lgkmcnt(0)
	v_lshl_add_u64 v[12:13], s[38:39], 0, v[12:13]
	v_lshl_add_u64 v[12:13], v[12:13], 0, v[2:3]
	global_store_byte v[12:13], v5, off offset:2048
.LBB48_55:
	s_or_b64 exec, exec, s[24:25]
	v_add_u32_e32 v32, 0xa00, v2
	v_cmp_gt_u32_e64 s[24:25], s33, v32
	s_and_saveexec_b64 s[46:47], s[24:25]
	s_cbranch_execz .LBB48_57
; %bb.56:
	ds_read_u8 v5, v2 offset:4608
	s_waitcnt lgkmcnt(0)
	v_lshrrev_b32_sdwa v7, s44, v5 dst_sel:DWORD dst_unused:UNUSED_PAD src0_sel:DWORD src1_sel:BYTE_0
	v_and_b32_e32 v7, s50, v7
	v_lshlrev_b32_e32 v7, 3, v7
	ds_read_b64 v[12:13], v7
	v_xor_b32_e32 v5, 0x80, v5
	s_waitcnt lgkmcnt(0)
	v_lshl_add_u64 v[12:13], s[38:39], 0, v[12:13]
	v_lshl_add_u64 v[12:13], v[12:13], 0, v[2:3]
	global_store_byte v[12:13], v5, off offset:2560
.LBB48_57:
	s_or_b64 exec, exec, s[46:47]
	s_lshl_b64 s[46:47], s[34:35], 3
	s_add_u32 s46, s40, s46
	s_addc_u32 s47, s41, s47
	v_lshlrev_b32_e32 v6, 3, v6
	v_mov_b32_e32 v7, 0
	v_lshl_add_u64 v[12:13], s[46:47], 0, v[6:7]
	v_lshlrev_b32_e32 v6, 3, v4
	v_lshl_add_u64 v[20:21], v[12:13], 0, v[6:7]
                                        ; implicit-def: $vgpr4_vgpr5
	s_and_saveexec_b64 s[46:47], vcc
	s_xor_b64 s[46:47], exec, s[46:47]
	s_cbranch_execz .LBB48_63
; %bb.58:
	global_load_dwordx2 v[4:5], v[20:21], off
	s_or_b64 exec, exec, s[46:47]
                                        ; implicit-def: $vgpr6_vgpr7
	s_and_saveexec_b64 s[46:47], s[26:27]
	s_cbranch_execnz .LBB48_64
.LBB48_59:
	s_or_b64 exec, exec, s[46:47]
                                        ; implicit-def: $vgpr12_vgpr13
	s_and_saveexec_b64 s[26:27], s[4:5]
	s_cbranch_execz .LBB48_65
.LBB48_60:
	global_load_dwordx2 v[12:13], v[20:21], off offset:1024
	s_or_b64 exec, exec, s[26:27]
                                        ; implicit-def: $vgpr14_vgpr15
	s_and_saveexec_b64 s[4:5], s[6:7]
	s_cbranch_execnz .LBB48_66
.LBB48_61:
	s_or_b64 exec, exec, s[4:5]
                                        ; implicit-def: $vgpr16_vgpr17
	s_and_saveexec_b64 s[4:5], s[8:9]
	s_cbranch_execz .LBB48_67
.LBB48_62:
	global_load_dwordx2 v[16:17], v[20:21], off offset:2048
	s_or_b64 exec, exec, s[4:5]
                                        ; implicit-def: $vgpr18_vgpr19
	s_and_saveexec_b64 s[4:5], s[10:11]
	s_cbranch_execnz .LBB48_68
	s_branch .LBB48_69
.LBB48_63:
	s_or_b64 exec, exec, s[46:47]
                                        ; implicit-def: $vgpr6_vgpr7
	s_and_saveexec_b64 s[46:47], s[26:27]
	s_cbranch_execz .LBB48_59
.LBB48_64:
	global_load_dwordx2 v[6:7], v[20:21], off offset:512
	s_or_b64 exec, exec, s[46:47]
                                        ; implicit-def: $vgpr12_vgpr13
	s_and_saveexec_b64 s[26:27], s[4:5]
	s_cbranch_execnz .LBB48_60
.LBB48_65:
	s_or_b64 exec, exec, s[26:27]
                                        ; implicit-def: $vgpr14_vgpr15
	s_and_saveexec_b64 s[4:5], s[6:7]
	s_cbranch_execz .LBB48_61
.LBB48_66:
	global_load_dwordx2 v[14:15], v[20:21], off offset:1536
	s_or_b64 exec, exec, s[4:5]
                                        ; implicit-def: $vgpr16_vgpr17
	s_and_saveexec_b64 s[4:5], s[8:9]
	s_cbranch_execnz .LBB48_62
.LBB48_67:
	s_or_b64 exec, exec, s[4:5]
                                        ; implicit-def: $vgpr18_vgpr19
	s_and_saveexec_b64 s[4:5], s[10:11]
	s_cbranch_execz .LBB48_69
.LBB48_68:
	global_load_dwordx2 v[18:19], v[20:21], off offset:2560
.LBB48_69:
	s_or_b64 exec, exec, s[4:5]
	v_mov_b32_e32 v34, 0
	v_mov_b32_e32 v3, 0
	s_and_saveexec_b64 s[4:5], s[14:15]
	s_cbranch_execz .LBB48_71
; %bb.70:
	ds_read_u8 v3, v2 offset:2048
	s_waitcnt lgkmcnt(0)
	v_lshrrev_b32_e32 v3, s44, v3
	v_and_b32_e32 v3, s50, v3
.LBB48_71:
	s_or_b64 exec, exec, s[4:5]
	s_and_saveexec_b64 s[4:5], s[16:17]
	s_cbranch_execz .LBB48_73
; %bb.72:
	ds_read_u8 v20, v2 offset:2560
	s_waitcnt lgkmcnt(0)
	v_lshrrev_b32_e32 v20, s44, v20
	v_and_b32_e32 v34, s50, v20
.LBB48_73:
	s_or_b64 exec, exec, s[4:5]
	v_mov_b32_e32 v21, 0
	v_mov_b32_e32 v35, 0
	s_and_saveexec_b64 s[4:5], s[18:19]
	s_cbranch_execz .LBB48_75
; %bb.74:
	ds_read_u8 v20, v2 offset:3072
	s_waitcnt lgkmcnt(0)
	v_lshrrev_b32_e32 v20, s44, v20
	v_and_b32_e32 v35, s50, v20
.LBB48_75:
	s_or_b64 exec, exec, s[4:5]
	s_and_saveexec_b64 s[4:5], s[20:21]
	s_cbranch_execz .LBB48_77
; %bb.76:
	ds_read_u8 v20, v2 offset:3584
	s_waitcnt lgkmcnt(0)
	v_lshrrev_b32_e32 v20, s44, v20
	v_and_b32_e32 v21, s50, v20
.LBB48_77:
	;; [unrolled: 20-line block ×3, first 2 shown]
	s_or_b64 exec, exec, s[4:5]
	v_lshlrev_b32_e32 v28, 3, v28
	s_barrier
	s_waitcnt vmcnt(0)
	ds_write_b64 v28, v[4:5] offset:2048
	v_lshlrev_b32_e32 v4, 3, v27
	ds_write_b64 v4, v[6:7] offset:2048
	v_lshlrev_b32_e32 v4, 3, v26
	;; [unrolled: 2-line block ×5, first 2 shown]
	v_lshlrev_b32_e32 v2, 3, v2
	ds_write_b64 v4, v[18:19] offset:2048
	s_waitcnt lgkmcnt(0)
	s_barrier
	s_and_saveexec_b64 s[4:5], s[14:15]
	s_cbranch_execz .LBB48_87
; %bb.82:
	v_lshlrev_b32_e32 v3, 3, v3
	ds_read_b64 v[4:5], v3
	ds_read_b64 v[6:7], v11 offset:2048
	v_mov_b32_e32 v3, 0
	s_waitcnt lgkmcnt(1)
	v_lshl_add_u64 v[4:5], v[4:5], 3, s[42:43]
	v_lshl_add_u64 v[4:5], v[4:5], 0, v[2:3]
	s_waitcnt lgkmcnt(0)
	global_store_dwordx2 v[4:5], v[6:7], off
	s_or_b64 exec, exec, s[4:5]
	s_and_saveexec_b64 s[4:5], s[16:17]
	s_cbranch_execnz .LBB48_88
.LBB48_83:
	s_or_b64 exec, exec, s[4:5]
	s_and_saveexec_b64 s[4:5], s[18:19]
	s_cbranch_execz .LBB48_89
.LBB48_84:
	v_lshlrev_b32_e32 v3, 3, v35
	ds_read_b64 v[4:5], v3
	ds_read_b64 v[6:7], v11 offset:10240
	v_lshlrev_b32_e32 v12, 3, v29
	v_mov_b32_e32 v13, 0
	s_waitcnt lgkmcnt(1)
	v_lshl_add_u64 v[4:5], v[4:5], 3, s[42:43]
	v_lshl_add_u64 v[4:5], v[4:5], 0, v[12:13]
	s_waitcnt lgkmcnt(0)
	global_store_dwordx2 v[4:5], v[6:7], off
	s_or_b64 exec, exec, s[4:5]
	s_and_saveexec_b64 s[4:5], s[20:21]
	s_cbranch_execnz .LBB48_90
.LBB48_85:
	s_or_b64 exec, exec, s[4:5]
	s_and_saveexec_b64 s[4:5], s[22:23]
	s_cbranch_execz .LBB48_91
.LBB48_86:
	v_lshlrev_b32_e32 v3, 3, v33
	ds_read_b64 v[4:5], v3
	ds_read_b64 v[6:7], v11 offset:18432
	v_lshlrev_b32_e32 v12, 3, v31
	v_mov_b32_e32 v13, 0
	s_waitcnt lgkmcnt(1)
	v_lshl_add_u64 v[4:5], v[4:5], 3, s[42:43]
	v_lshl_add_u64 v[4:5], v[4:5], 0, v[12:13]
	s_waitcnt lgkmcnt(0)
	global_store_dwordx2 v[4:5], v[6:7], off
	s_or_b64 exec, exec, s[4:5]
	s_and_saveexec_b64 s[4:5], s[24:25]
	s_cbranch_execnz .LBB48_92
	s_branch .LBB48_93
.LBB48_87:
	s_or_b64 exec, exec, s[4:5]
	s_and_saveexec_b64 s[4:5], s[16:17]
	s_cbranch_execz .LBB48_83
.LBB48_88:
	v_lshlrev_b32_e32 v3, 3, v34
	ds_read_b64 v[4:5], v3
	ds_read_b64 v[6:7], v11 offset:6144
	v_lshlrev_b32_e32 v12, 3, v25
	v_mov_b32_e32 v13, 0
	s_waitcnt lgkmcnt(1)
	v_lshl_add_u64 v[4:5], v[4:5], 3, s[42:43]
	v_lshl_add_u64 v[4:5], v[4:5], 0, v[12:13]
	s_waitcnt lgkmcnt(0)
	global_store_dwordx2 v[4:5], v[6:7], off
	s_or_b64 exec, exec, s[4:5]
	s_and_saveexec_b64 s[4:5], s[18:19]
	s_cbranch_execnz .LBB48_84
.LBB48_89:
	s_or_b64 exec, exec, s[4:5]
	s_and_saveexec_b64 s[4:5], s[20:21]
	s_cbranch_execz .LBB48_85
.LBB48_90:
	v_lshlrev_b32_e32 v3, 3, v21
	ds_read_b64 v[4:5], v3
	ds_read_b64 v[6:7], v11 offset:14336
	v_lshlrev_b32_e32 v12, 3, v30
	v_mov_b32_e32 v13, 0
	s_waitcnt lgkmcnt(1)
	v_lshl_add_u64 v[4:5], v[4:5], 3, s[42:43]
	v_lshl_add_u64 v[4:5], v[4:5], 0, v[12:13]
	s_waitcnt lgkmcnt(0)
	global_store_dwordx2 v[4:5], v[6:7], off
	s_or_b64 exec, exec, s[4:5]
	s_and_saveexec_b64 s[4:5], s[22:23]
	s_cbranch_execnz .LBB48_86
.LBB48_91:
	s_or_b64 exec, exec, s[4:5]
	s_and_saveexec_b64 s[4:5], s[24:25]
	s_cbranch_execz .LBB48_93
.LBB48_92:
	v_lshlrev_b32_e32 v3, 3, v20
	ds_read_b64 v[4:5], v3
	ds_read_b64 v[6:7], v11 offset:22528
	v_lshlrev_b32_e32 v12, 3, v32
	v_mov_b32_e32 v13, 0
	s_waitcnt lgkmcnt(1)
	v_lshl_add_u64 v[4:5], v[4:5], 3, s[42:43]
	v_lshl_add_u64 v[4:5], v[4:5], 0, v[12:13]
	s_waitcnt lgkmcnt(0)
	global_store_dwordx2 v[4:5], v[6:7], off
.LBB48_93:
	s_or_b64 exec, exec, s[4:5]
	s_add_i32 s3, s3, -1
	s_cmp_eq_u32 s2, s3
	s_cselect_b64 s[4:5], -1, 0
	s_xor_b64 s[6:7], s[12:13], -1
	s_and_b64 s[6:7], s[6:7], s[4:5]
	s_and_saveexec_b64 s[4:5], s[6:7]
	s_cbranch_execz .LBB48_95
; %bb.94:
	ds_read_b64 v[4:5], v11
	v_mov_b32_e32 v11, 0
	v_lshl_add_u64 v[6:7], v[8:9], 0, v[10:11]
	s_waitcnt lgkmcnt(0)
	v_lshl_add_u64 v[4:5], v[6:7], 0, v[4:5]
	global_store_dwordx2 v2, v[4:5], s[30:31]
.LBB48_95:
	s_or_b64 exec, exec, s[4:5]
	s_mov_b64 s[4:5], 0
.LBB48_96:
	s_and_b64 vcc, exec, s[4:5]
	s_cbranch_vccz .LBB48_131
; %bb.97:
	s_add_u32 s4, s36, s34
	s_addc_u32 s5, s37, 0
	v_mbcnt_hi_u32_b32 v6, -1, v1
	v_and_b32_e32 v10, 0x1c0, v0
	v_mov_b32_e32 v7, 0
	v_mul_u32_u24_e32 v4, 6, v10
	v_lshl_add_u64 v[2:3], s[4:5], 0, v[6:7]
	v_mov_b32_e32 v5, v7
	v_lshl_add_u64 v[12:13], v[2:3], 0, v[4:5]
	global_load_ubyte v5, v[12:13], off
	s_load_dword s4, s[0:1], 0x5c
	s_load_dword s3, s[0:1], 0x50
	s_add_u32 s0, s0, 0x50
	s_addc_u32 s1, s1, 0
	v_and_b32_e32 v2, 0x3ff, v0
	s_waitcnt lgkmcnt(0)
	s_lshr_b32 s4, s4, 16
	s_cmp_lt_u32 s2, s3
	s_cselect_b32 s5, 12, 18
	s_add_u32 s0, s0, s5
	s_addc_u32 s1, s1, 0
	global_load_ushort v11, v7, s[0:1]
	v_mul_u32_u24_e32 v3, 20, v2
	ds_write2_b32 v3, v7, v7 offset0:8 offset1:9
	ds_write2_b32 v3, v7, v7 offset0:10 offset1:11
	ds_write_b32 v3, v7 offset:48
	global_load_ubyte v9, v[12:13], off offset:64
	global_load_ubyte v8, v[12:13], off offset:128
	;; [unrolled: 1-line block ×5, first 2 shown]
	v_bfe_u32 v15, v0, 10, 10
	v_bfe_u32 v0, v0, 20, 10
	v_mad_u32_u24 v18, v0, s4, v15
	s_lshl_b32 s0, -1, s45
	v_mov_b32_e32 v1, v7
	v_mov_b32_e32 v14, v7
	;; [unrolled: 1-line block ×4, first 2 shown]
	s_not_b32 s12, s0
	v_mov_b32_e32 v26, v7
	v_mov_b32_e32 v28, v7
	s_mov_b32 s35, 0
	s_waitcnt lgkmcnt(0)
	s_barrier
	s_waitcnt vmcnt(6)
	; wave barrier
	v_xor_b32_e32 v5, 0x80, v5
	v_lshrrev_b32_e32 v0, s44, v5
	v_bitop3_b32 v20, v0, s0, v0 bitop3:0x30
	v_and_b32_e32 v0, 1, v20
	v_lshlrev_b32_e32 v15, 30, v20
	v_lshlrev_b32_e32 v17, 29, v20
	;; [unrolled: 1-line block ×3, first 2 shown]
	v_lshl_add_u64 v[12:13], v[0:1], 0, -1
	v_cmp_ne_u32_e32 vcc, 0, v0
	v_not_b32_e32 v0, v15
	v_not_b32_e32 v1, v17
	v_cmp_gt_i64_e64 s[0:1], 0, v[14:15]
	v_cmp_gt_i64_e64 s[4:5], 0, v[16:17]
	;; [unrolled: 1-line block ×3, first 2 shown]
	v_xor_b32_e32 v13, vcc_hi, v13
	v_xor_b32_e32 v12, vcc_lo, v12
	v_ashrrev_i32_e32 v17, 31, v0
	v_ashrrev_i32_e32 v22, 31, v1
	s_waitcnt vmcnt(5)
	v_mad_u64_u32 v[0:1], s[14:15], v18, v11, v[2:3]
	v_lshlrev_b32_e32 v27, 27, v20
	v_not_b32_e32 v14, v23
	v_and_b32_e32 v1, exec_hi, v13
	v_and_b32_e32 v11, exec_lo, v12
	v_xor_b32_e32 v12, s1, v17
	v_xor_b32_e32 v13, s0, v17
	v_lshlrev_b32_e32 v29, 26, v20
	v_not_b32_e32 v15, v27
	v_ashrrev_i32_e32 v14, 31, v14
	v_xor_b32_e32 v18, s5, v22
	v_xor_b32_e32 v22, s4, v22
	v_lshrrev_b32_e32 v0, 4, v0
	v_and_b32_e32 v1, v1, v12
	v_and_b32_e32 v11, v11, v13
	v_cmp_gt_i64_e64 s[8:9], 0, v[26:27]
	v_not_b32_e32 v16, v29
	v_ashrrev_i32_e32 v15, 31, v15
	v_xor_b32_e32 v23, s7, v14
	v_xor_b32_e32 v14, s6, v14
	v_and_b32_e32 v17, 0xffffffc, v0
	v_and_b32_e32 v0, v1, v18
	;; [unrolled: 1-line block ×3, first 2 shown]
	v_cmp_gt_i64_e64 s[10:11], 0, v[28:29]
	v_xor_b32_e32 v26, s9, v15
	v_xor_b32_e32 v15, s8, v15
	v_and_b32_e32 v0, v0, v23
	v_and_b32_e32 v1, v1, v14
	v_ashrrev_i32_e32 v11, 31, v16
	v_and_b32_e32 v0, v0, v26
	v_and_b32_e32 v1, v1, v15
	v_xor_b32_e32 v12, s11, v11
	v_xor_b32_e32 v11, s10, v11
	v_and_b32_e32 v12, v0, v12
	v_and_b32_e32 v11, v1, v11
	v_lshlrev_b32_e32 v1, 25, v20
	v_mov_b32_e32 v0, v7
	v_cmp_gt_i64_e32 vcc, 0, v[0:1]
	v_not_b32_e32 v0, v1
	v_ashrrev_i32_e32 v0, 31, v0
	v_xor_b32_e32 v1, vcc_hi, v0
	v_xor_b32_e32 v0, vcc_lo, v0
	v_and_b32_e32 v12, v12, v1
	v_and_b32_e32 v11, v11, v0
	v_lshlrev_b32_e32 v1, 24, v20
	v_mov_b32_e32 v0, v7
	v_cmp_gt_i64_e32 vcc, 0, v[0:1]
	v_not_b32_e32 v0, v1
	v_ashrrev_i32_e32 v0, 31, v0
	v_xor_b32_e32 v1, vcc_hi, v0
	v_xor_b32_e32 v0, vcc_lo, v0
	v_and_b32_e32 v0, v11, v0
	v_and_b32_e32 v1, v12, v1
	v_mbcnt_lo_u32_b32 v11, v0, 0
	v_mbcnt_hi_u32_b32 v11, v1, v11
	v_mul_u32_u24_e32 v25, 36, v20
	v_cmp_eq_u32_e32 vcc, 0, v11
	v_cmp_ne_u64_e64 s[0:1], 0, v[0:1]
	s_and_b64 s[4:5], s[0:1], vcc
	v_add_u32_e32 v14, v17, v25
	s_and_saveexec_b64 s[0:1], s[4:5]
; %bb.98:
	v_bcnt_u32_b32 v0, v0, 0
	v_bcnt_u32_b32 v0, v1, v0
	ds_write_b32 v14, v0 offset:32
; %bb.99:
	s_or_b64 exec, exec, s[0:1]
	s_waitcnt vmcnt(4)
	v_xor_b32_e32 v12, 0xffffff80, v9
	v_lshrrev_b32_sdwa v0, s44, v12 dst_sel:DWORD dst_unused:UNUSED_PAD src0_sel:DWORD src1_sel:BYTE_0
	v_and_b32_e32 v9, s12, v0
	v_mad_u32_u24 v0, v9, 36, v17
	; wave barrier
	ds_read_b32 v13, v0 offset:32
	v_and_b32_e32 v0, 1, v9
	v_mov_b32_e32 v1, v7
	v_lshl_add_u64 v[22:23], v[0:1], 0, -1
	v_cmp_ne_u32_e32 vcc, 0, v0
	v_mul_u32_u24_e32 v15, 36, v9
	s_nop 0
	v_xor_b32_e32 v0, vcc_hi, v23
	v_xor_b32_e32 v1, vcc_lo, v22
	v_and_b32_e32 v16, exec_hi, v0
	v_and_b32_e32 v18, exec_lo, v1
	v_lshlrev_b32_e32 v1, 30, v9
	v_mov_b32_e32 v0, v7
	v_cmp_gt_i64_e32 vcc, 0, v[0:1]
	v_not_b32_e32 v0, v1
	v_ashrrev_i32_e32 v0, 31, v0
	v_xor_b32_e32 v1, vcc_hi, v0
	v_xor_b32_e32 v0, vcc_lo, v0
	v_and_b32_e32 v16, v16, v1
	v_and_b32_e32 v18, v18, v0
	v_lshlrev_b32_e32 v1, 29, v9
	v_mov_b32_e32 v0, v7
	v_cmp_gt_i64_e32 vcc, 0, v[0:1]
	v_not_b32_e32 v0, v1
	v_ashrrev_i32_e32 v0, 31, v0
	v_xor_b32_e32 v1, vcc_hi, v0
	v_xor_b32_e32 v0, vcc_lo, v0
	v_and_b32_e32 v16, v16, v1
	v_and_b32_e32 v18, v18, v0
	;; [unrolled: 9-line block ×7, first 2 shown]
	v_mbcnt_lo_u32_b32 v7, v0, 0
	v_mbcnt_hi_u32_b32 v7, v1, v7
	v_cmp_eq_u32_e32 vcc, 0, v7
	v_cmp_ne_u64_e64 s[0:1], 0, v[0:1]
	s_and_b64 s[4:5], s[0:1], vcc
	v_add_u32_e32 v18, v17, v15
	; wave barrier
	s_and_saveexec_b64 s[0:1], s[4:5]
	s_cbranch_execz .LBB48_101
; %bb.100:
	v_bcnt_u32_b32 v0, v0, 0
	v_bcnt_u32_b32 v0, v1, v0
	s_waitcnt lgkmcnt(0)
	v_add_u32_e32 v0, v13, v0
	ds_write_b32 v18, v0 offset:32
.LBB48_101:
	s_or_b64 exec, exec, s[0:1]
	s_waitcnt vmcnt(3)
	v_xor_b32_e32 v15, 0xffffff80, v8
	v_lshrrev_b32_sdwa v0, s44, v15 dst_sel:DWORD dst_unused:UNUSED_PAD src0_sel:DWORD src1_sel:BYTE_0
	v_and_b32_e32 v20, s12, v0
	v_mad_u32_u24 v0, v20, 36, v17
	; wave barrier
	ds_read_b32 v16, v0 offset:32
	v_and_b32_e32 v0, 1, v20
	v_mov_b32_e32 v1, 0
	v_lshl_add_u64 v[8:9], v[0:1], 0, -1
	v_cmp_ne_u32_e32 vcc, 0, v0
	v_mul_u32_u24_e32 v22, 36, v20
	s_nop 0
	v_xor_b32_e32 v8, vcc_lo, v8
	v_xor_b32_e32 v0, vcc_hi, v9
	v_and_b32_e32 v23, exec_lo, v8
	v_lshlrev_b32_e32 v9, 30, v20
	v_mov_b32_e32 v8, v1
	v_cmp_gt_i64_e32 vcc, 0, v[8:9]
	v_not_b32_e32 v8, v9
	v_ashrrev_i32_e32 v8, 31, v8
	v_and_b32_e32 v0, exec_hi, v0
	v_xor_b32_e32 v9, vcc_hi, v8
	v_xor_b32_e32 v8, vcc_lo, v8
	v_and_b32_e32 v0, v0, v9
	v_and_b32_e32 v23, v23, v8
	v_lshlrev_b32_e32 v9, 29, v20
	v_mov_b32_e32 v8, v1
	v_cmp_gt_i64_e32 vcc, 0, v[8:9]
	v_not_b32_e32 v8, v9
	v_ashrrev_i32_e32 v8, 31, v8
	v_xor_b32_e32 v9, vcc_hi, v8
	v_xor_b32_e32 v8, vcc_lo, v8
	v_and_b32_e32 v0, v0, v9
	v_and_b32_e32 v23, v23, v8
	v_lshlrev_b32_e32 v9, 28, v20
	v_mov_b32_e32 v8, v1
	v_cmp_gt_i64_e32 vcc, 0, v[8:9]
	v_not_b32_e32 v8, v9
	v_ashrrev_i32_e32 v8, 31, v8
	;; [unrolled: 9-line block ×6, first 2 shown]
	v_xor_b32_e32 v9, vcc_hi, v8
	v_xor_b32_e32 v8, vcc_lo, v8
	v_and_b32_e32 v8, v23, v8
	v_and_b32_e32 v9, v0, v9
	v_mbcnt_lo_u32_b32 v0, v8, 0
	v_mbcnt_hi_u32_b32 v20, v9, v0
	v_cmp_eq_u32_e32 vcc, 0, v20
	v_cmp_ne_u64_e64 s[0:1], 0, v[8:9]
	s_and_b64 s[4:5], s[0:1], vcc
	v_add_u32_e32 v23, v17, v22
	; wave barrier
	s_and_saveexec_b64 s[0:1], s[4:5]
	s_cbranch_execz .LBB48_103
; %bb.102:
	v_bcnt_u32_b32 v0, v8, 0
	v_bcnt_u32_b32 v0, v9, v0
	s_waitcnt lgkmcnt(0)
	v_add_u32_e32 v0, v16, v0
	ds_write_b32 v23, v0 offset:32
.LBB48_103:
	s_or_b64 exec, exec, s[0:1]
	s_waitcnt vmcnt(2)
	v_xor_b32_e32 v21, 0xffffff80, v21
	v_lshrrev_b32_sdwa v0, s44, v21 dst_sel:DWORD dst_unused:UNUSED_PAD src0_sel:DWORD src1_sel:BYTE_0
	v_and_b32_e32 v25, s12, v0
	v_mad_u32_u24 v0, v25, 36, v17
	; wave barrier
	ds_read_b32 v22, v0 offset:32
	v_and_b32_e32 v0, 1, v25
	v_lshl_add_u64 v[8:9], v[0:1], 0, -1
	v_cmp_ne_u32_e32 vcc, 0, v0
	v_mul_u32_u24_e32 v26, 36, v25
	s_nop 0
	v_xor_b32_e32 v8, vcc_lo, v8
	v_xor_b32_e32 v0, vcc_hi, v9
	v_and_b32_e32 v27, exec_lo, v8
	v_lshlrev_b32_e32 v9, 30, v25
	v_mov_b32_e32 v8, v1
	v_cmp_gt_i64_e32 vcc, 0, v[8:9]
	v_not_b32_e32 v8, v9
	v_ashrrev_i32_e32 v8, 31, v8
	v_and_b32_e32 v0, exec_hi, v0
	v_xor_b32_e32 v9, vcc_hi, v8
	v_xor_b32_e32 v8, vcc_lo, v8
	v_and_b32_e32 v0, v0, v9
	v_and_b32_e32 v27, v27, v8
	v_lshlrev_b32_e32 v9, 29, v25
	v_mov_b32_e32 v8, v1
	v_cmp_gt_i64_e32 vcc, 0, v[8:9]
	v_not_b32_e32 v8, v9
	v_ashrrev_i32_e32 v8, 31, v8
	v_xor_b32_e32 v9, vcc_hi, v8
	v_xor_b32_e32 v8, vcc_lo, v8
	v_and_b32_e32 v0, v0, v9
	v_and_b32_e32 v27, v27, v8
	v_lshlrev_b32_e32 v9, 28, v25
	v_mov_b32_e32 v8, v1
	v_cmp_gt_i64_e32 vcc, 0, v[8:9]
	v_not_b32_e32 v8, v9
	v_ashrrev_i32_e32 v8, 31, v8
	v_xor_b32_e32 v9, vcc_hi, v8
	v_xor_b32_e32 v8, vcc_lo, v8
	v_and_b32_e32 v0, v0, v9
	v_and_b32_e32 v27, v27, v8
	v_lshlrev_b32_e32 v9, 27, v25
	v_mov_b32_e32 v8, v1
	v_cmp_gt_i64_e32 vcc, 0, v[8:9]
	v_not_b32_e32 v8, v9
	v_ashrrev_i32_e32 v8, 31, v8
	v_xor_b32_e32 v9, vcc_hi, v8
	v_xor_b32_e32 v8, vcc_lo, v8
	v_and_b32_e32 v0, v0, v9
	v_and_b32_e32 v27, v27, v8
	v_lshlrev_b32_e32 v9, 26, v25
	v_mov_b32_e32 v8, v1
	v_cmp_gt_i64_e32 vcc, 0, v[8:9]
	v_not_b32_e32 v8, v9
	v_ashrrev_i32_e32 v8, 31, v8
	v_xor_b32_e32 v9, vcc_hi, v8
	v_xor_b32_e32 v8, vcc_lo, v8
	v_and_b32_e32 v0, v0, v9
	v_and_b32_e32 v27, v27, v8
	v_lshlrev_b32_e32 v9, 25, v25
	v_mov_b32_e32 v8, v1
	v_cmp_gt_i64_e32 vcc, 0, v[8:9]
	v_not_b32_e32 v8, v9
	v_ashrrev_i32_e32 v8, 31, v8
	v_xor_b32_e32 v9, vcc_hi, v8
	v_xor_b32_e32 v8, vcc_lo, v8
	v_and_b32_e32 v0, v0, v9
	v_lshlrev_b32_e32 v9, 24, v25
	v_and_b32_e32 v27, v27, v8
	v_mov_b32_e32 v8, v1
	v_not_b32_e32 v1, v9
	v_cmp_gt_i64_e32 vcc, 0, v[8:9]
	v_ashrrev_i32_e32 v1, 31, v1
	; wave barrier
	s_nop 0
	v_xor_b32_e32 v8, vcc_hi, v1
	v_xor_b32_e32 v9, vcc_lo, v1
	v_and_b32_e32 v1, v0, v8
	v_and_b32_e32 v0, v27, v9
	v_mbcnt_lo_u32_b32 v8, v0, 0
	v_mbcnt_hi_u32_b32 v25, v1, v8
	v_cmp_eq_u32_e32 vcc, 0, v25
	v_cmp_ne_u64_e64 s[0:1], 0, v[0:1]
	s_and_b64 s[4:5], s[0:1], vcc
	v_add_u32_e32 v27, v17, v26
	s_and_saveexec_b64 s[0:1], s[4:5]
	s_cbranch_execz .LBB48_105
; %bb.104:
	v_bcnt_u32_b32 v0, v0, 0
	v_bcnt_u32_b32 v0, v1, v0
	s_waitcnt lgkmcnt(0)
	v_add_u32_e32 v0, v22, v0
	ds_write_b32 v27, v0 offset:32
.LBB48_105:
	s_or_b64 exec, exec, s[0:1]
	s_waitcnt vmcnt(1)
	v_xor_b32_e32 v24, 0xffffff80, v24
	v_lshrrev_b32_sdwa v0, s44, v24 dst_sel:DWORD dst_unused:UNUSED_PAD src0_sel:DWORD src1_sel:BYTE_0
	v_and_b32_e32 v28, s12, v0
	v_mad_u32_u24 v0, v28, 36, v17
	; wave barrier
	ds_read_b32 v26, v0 offset:32
	v_and_b32_e32 v0, 1, v28
	v_mov_b32_e32 v1, 0
	v_lshl_add_u64 v[8:9], v[0:1], 0, -1
	v_cmp_ne_u32_e32 vcc, 0, v0
	v_mul_u32_u24_e32 v29, 36, v28
	s_nop 0
	v_xor_b32_e32 v8, vcc_lo, v8
	v_xor_b32_e32 v0, vcc_hi, v9
	v_and_b32_e32 v30, exec_lo, v8
	v_lshlrev_b32_e32 v9, 30, v28
	v_mov_b32_e32 v8, v1
	v_cmp_gt_i64_e32 vcc, 0, v[8:9]
	v_not_b32_e32 v8, v9
	v_ashrrev_i32_e32 v8, 31, v8
	v_and_b32_e32 v0, exec_hi, v0
	v_xor_b32_e32 v9, vcc_hi, v8
	v_xor_b32_e32 v8, vcc_lo, v8
	v_and_b32_e32 v0, v0, v9
	v_and_b32_e32 v30, v30, v8
	v_lshlrev_b32_e32 v9, 29, v28
	v_mov_b32_e32 v8, v1
	v_cmp_gt_i64_e32 vcc, 0, v[8:9]
	v_not_b32_e32 v8, v9
	v_ashrrev_i32_e32 v8, 31, v8
	v_xor_b32_e32 v9, vcc_hi, v8
	v_xor_b32_e32 v8, vcc_lo, v8
	v_and_b32_e32 v0, v0, v9
	v_and_b32_e32 v30, v30, v8
	v_lshlrev_b32_e32 v9, 28, v28
	v_mov_b32_e32 v8, v1
	v_cmp_gt_i64_e32 vcc, 0, v[8:9]
	v_not_b32_e32 v8, v9
	v_ashrrev_i32_e32 v8, 31, v8
	;; [unrolled: 9-line block ×6, first 2 shown]
	v_xor_b32_e32 v9, vcc_hi, v8
	v_xor_b32_e32 v8, vcc_lo, v8
	v_and_b32_e32 v8, v30, v8
	v_and_b32_e32 v9, v0, v9
	v_mbcnt_lo_u32_b32 v0, v8, 0
	v_mbcnt_hi_u32_b32 v28, v9, v0
	v_cmp_eq_u32_e32 vcc, 0, v28
	v_cmp_ne_u64_e64 s[0:1], 0, v[8:9]
	s_and_b64 s[4:5], s[0:1], vcc
	v_add_u32_e32 v30, v17, v29
	; wave barrier
	s_and_saveexec_b64 s[0:1], s[4:5]
	s_cbranch_execz .LBB48_107
; %bb.106:
	v_bcnt_u32_b32 v0, v8, 0
	v_bcnt_u32_b32 v0, v9, v0
	s_waitcnt lgkmcnt(0)
	v_add_u32_e32 v0, v26, v0
	ds_write_b32 v30, v0 offset:32
.LBB48_107:
	s_or_b64 exec, exec, s[0:1]
	s_waitcnt vmcnt(0)
	v_xor_b32_e32 v19, 0xffffff80, v19
	v_lshrrev_b32_sdwa v0, s44, v19 dst_sel:DWORD dst_unused:UNUSED_PAD src0_sel:DWORD src1_sel:BYTE_0
	v_and_b32_e32 v31, s12, v0
	v_mad_u32_u24 v0, v31, 36, v17
	; wave barrier
	ds_read_b32 v29, v0 offset:32
	v_and_b32_e32 v0, 1, v31
	v_lshl_add_u64 v[8:9], v[0:1], 0, -1
	v_cmp_ne_u32_e32 vcc, 0, v0
	v_mul_u32_u24_e32 v32, 36, v31
	v_add_u32_e32 v17, v17, v32
	v_xor_b32_e32 v8, vcc_lo, v8
	v_xor_b32_e32 v0, vcc_hi, v9
	v_and_b32_e32 v33, exec_lo, v8
	v_lshlrev_b32_e32 v9, 30, v31
	v_mov_b32_e32 v8, v1
	v_cmp_gt_i64_e32 vcc, 0, v[8:9]
	v_not_b32_e32 v8, v9
	v_ashrrev_i32_e32 v8, 31, v8
	v_and_b32_e32 v0, exec_hi, v0
	v_xor_b32_e32 v9, vcc_hi, v8
	v_xor_b32_e32 v8, vcc_lo, v8
	v_and_b32_e32 v0, v0, v9
	v_and_b32_e32 v33, v33, v8
	v_lshlrev_b32_e32 v9, 29, v31
	v_mov_b32_e32 v8, v1
	v_cmp_gt_i64_e32 vcc, 0, v[8:9]
	v_not_b32_e32 v8, v9
	v_ashrrev_i32_e32 v8, 31, v8
	v_xor_b32_e32 v9, vcc_hi, v8
	v_xor_b32_e32 v8, vcc_lo, v8
	v_and_b32_e32 v0, v0, v9
	v_and_b32_e32 v33, v33, v8
	v_lshlrev_b32_e32 v9, 28, v31
	v_mov_b32_e32 v8, v1
	v_cmp_gt_i64_e32 vcc, 0, v[8:9]
	v_not_b32_e32 v8, v9
	v_ashrrev_i32_e32 v8, 31, v8
	;; [unrolled: 9-line block ×5, first 2 shown]
	v_xor_b32_e32 v9, vcc_hi, v8
	v_xor_b32_e32 v8, vcc_lo, v8
	v_and_b32_e32 v0, v0, v9
	v_lshlrev_b32_e32 v9, 24, v31
	v_and_b32_e32 v33, v33, v8
	v_mov_b32_e32 v8, v1
	v_not_b32_e32 v1, v9
	v_cmp_gt_i64_e32 vcc, 0, v[8:9]
	v_ashrrev_i32_e32 v1, 31, v1
	s_nop 0
	v_xor_b32_e32 v8, vcc_hi, v1
	v_xor_b32_e32 v9, vcc_lo, v1
	v_and_b32_e32 v1, v0, v8
	v_and_b32_e32 v0, v33, v9
	v_mbcnt_lo_u32_b32 v8, v0, 0
	v_mbcnt_hi_u32_b32 v31, v1, v8
	v_cmp_eq_u32_e32 vcc, 0, v31
	v_cmp_ne_u64_e64 s[0:1], 0, v[0:1]
	s_and_b64 s[4:5], s[0:1], vcc
	; wave barrier
	s_and_saveexec_b64 s[0:1], s[4:5]
	s_cbranch_execz .LBB48_109
; %bb.108:
	v_bcnt_u32_b32 v0, v0, 0
	v_bcnt_u32_b32 v0, v1, v0
	s_waitcnt lgkmcnt(0)
	v_add_u32_e32 v0, v29, v0
	ds_write_b32 v17, v0 offset:32
.LBB48_109:
	s_or_b64 exec, exec, s[0:1]
	; wave barrier
	s_waitcnt lgkmcnt(0)
	s_barrier
	ds_read2_b32 v[8:9], v3 offset0:8 offset1:9
	ds_read2_b32 v[0:1], v3 offset0:10 offset1:11
	ds_read_b32 v32, v3 offset:48
	v_min_u32_e32 v10, 0x1c0, v10
	v_or_b32_e32 v10, 63, v10
	s_waitcnt lgkmcnt(1)
	v_add3_u32 v33, v9, v8, v0
	s_waitcnt lgkmcnt(0)
	v_add3_u32 v32, v33, v1, v32
	v_and_b32_e32 v33, 15, v6
	v_cmp_ne_u32_e32 vcc, 0, v33
	v_mov_b32_dpp v34, v32 row_shr:1 row_mask:0xf bank_mask:0xf
	s_nop 0
	v_cndmask_b32_e32 v34, 0, v34, vcc
	v_add_u32_e32 v32, v34, v32
	v_cmp_lt_u32_e32 vcc, 1, v33
	s_nop 0
	v_mov_b32_dpp v34, v32 row_shr:2 row_mask:0xf bank_mask:0xf
	v_cndmask_b32_e32 v34, 0, v34, vcc
	v_add_u32_e32 v32, v32, v34
	v_cmp_lt_u32_e32 vcc, 3, v33
	s_nop 0
	v_mov_b32_dpp v34, v32 row_shr:4 row_mask:0xf bank_mask:0xf
	v_cndmask_b32_e32 v34, 0, v34, vcc
	v_add_u32_e32 v32, v32, v34
	v_cmp_lt_u32_e32 vcc, 7, v33
	s_nop 0
	v_mov_b32_dpp v34, v32 row_shr:8 row_mask:0xf bank_mask:0xf
	v_cndmask_b32_e32 v33, 0, v34, vcc
	v_add_u32_e32 v32, v32, v33
	v_bfe_i32 v34, v6, 4, 1
	v_cmp_lt_u32_e32 vcc, 31, v6
	v_mov_b32_dpp v33, v32 row_bcast:15 row_mask:0xf bank_mask:0xf
	v_and_b32_e32 v33, v34, v33
	v_add_u32_e32 v32, v32, v33
	s_nop 1
	v_mov_b32_dpp v33, v32 row_bcast:31 row_mask:0xf bank_mask:0xf
	v_cndmask_b32_e32 v33, 0, v33, vcc
	v_add_u32_e32 v32, v32, v33
	v_lshrrev_b32_e32 v33, 6, v2
	v_cmp_eq_u32_e32 vcc, v2, v10
	s_and_saveexec_b64 s[0:1], vcc
; %bb.110:
	v_lshlrev_b32_e32 v10, 2, v33
	ds_write_b32 v10, v32
; %bb.111:
	s_or_b64 exec, exec, s[0:1]
	v_cmp_gt_u32_e32 vcc, 8, v2
	s_waitcnt lgkmcnt(0)
	s_barrier
	s_and_saveexec_b64 s[0:1], vcc
	s_cbranch_execz .LBB48_113
; %bb.112:
	v_lshlrev_b32_e32 v10, 2, v2
	ds_read_b32 v34, v10
	v_and_b32_e32 v35, 7, v6
	v_cmp_ne_u32_e32 vcc, 0, v35
	s_waitcnt lgkmcnt(0)
	v_mov_b32_dpp v36, v34 row_shr:1 row_mask:0xf bank_mask:0xf
	v_cndmask_b32_e32 v36, 0, v36, vcc
	v_add_u32_e32 v34, v36, v34
	v_cmp_lt_u32_e32 vcc, 1, v35
	s_nop 0
	v_mov_b32_dpp v36, v34 row_shr:2 row_mask:0xf bank_mask:0xf
	v_cndmask_b32_e32 v36, 0, v36, vcc
	v_add_u32_e32 v34, v34, v36
	v_cmp_lt_u32_e32 vcc, 3, v35
	s_nop 0
	v_mov_b32_dpp v36, v34 row_shr:4 row_mask:0xf bank_mask:0xf
	v_cndmask_b32_e32 v35, 0, v36, vcc
	v_add_u32_e32 v34, v34, v35
	ds_write_b32 v10, v34
.LBB48_113:
	s_or_b64 exec, exec, s[0:1]
	v_cmp_lt_u32_e32 vcc, 63, v2
	v_mov_b32_e32 v10, 0
	s_waitcnt lgkmcnt(0)
	s_barrier
	s_and_saveexec_b64 s[0:1], vcc
; %bb.114:
	v_lshl_add_u32 v10, v33, 2, -4
	ds_read_b32 v10, v10
; %bb.115:
	s_or_b64 exec, exec, s[0:1]
	v_add_u32_e32 v33, -1, v6
	v_and_b32_e32 v34, 64, v6
	v_cmp_lt_i32_e32 vcc, v33, v34
	s_waitcnt lgkmcnt(0)
	v_add_u32_e32 v32, v10, v32
	s_movk_i32 s0, 0xff
	v_cndmask_b32_e32 v33, v33, v6, vcc
	v_lshlrev_b32_e32 v33, 2, v33
	ds_bpermute_b32 v32, v33, v32
	v_cmp_eq_u32_e32 vcc, 0, v6
	s_movk_i32 s4, 0x100
	s_waitcnt lgkmcnt(0)
	v_cndmask_b32_e32 v10, v32, v10, vcc
	v_cmp_ne_u32_e32 vcc, 0, v2
	s_nop 1
	v_cndmask_b32_e32 v10, 0, v10, vcc
	v_add_u32_e32 v8, v10, v8
	v_add_u32_e32 v9, v8, v9
	;; [unrolled: 1-line block ×4, first 2 shown]
	ds_write2_b32 v3, v10, v8 offset0:8 offset1:9
	ds_write2_b32 v3, v9, v0 offset0:10 offset1:11
	ds_write_b32 v3, v1 offset:48
	s_waitcnt lgkmcnt(0)
	s_barrier
	ds_read_b32 v3, v14 offset:32
	ds_read_b32 v9, v18 offset:32
	;; [unrolled: 1-line block ×6, first 2 shown]
	v_cmp_lt_u32_e32 vcc, s0, v2
	v_cmp_gt_u32_e64 s[0:1], s4, v2
	v_mov_b64_e32 v[0:1], 0
                                        ; implicit-def: $vgpr8
	s_and_saveexec_b64 s[6:7], s[0:1]
	s_cbranch_execz .LBB48_119
; %bb.116:
	v_mul_u32_u24_e32 v0, 36, v2
	ds_read_b32 v0, v0 offset:32
	v_add_u32_e32 v8, 1, v2
	v_cmp_ne_u32_e64 s[4:5], s4, v8
	v_mov_b32_e32 v1, 0xc00
	s_and_saveexec_b64 s[8:9], s[4:5]
; %bb.117:
	v_mul_u32_u24_e32 v1, 36, v8
	ds_read_b32 v1, v1 offset:32
; %bb.118:
	s_or_b64 exec, exec, s[8:9]
	s_waitcnt lgkmcnt(0)
	v_sub_u32_e32 v8, v1, v0
	v_mov_b32_e32 v1, 0
.LBB48_119:
	s_or_b64 exec, exec, s[6:7]
	s_waitcnt lgkmcnt(5)
	v_add_u32_e32 v27, v3, v11
	v_mov_b32_e32 v11, 0
	s_waitcnt lgkmcnt(4)
	v_add3_u32 v23, v7, v13, v9
	s_waitcnt lgkmcnt(3)
	v_add3_u32 v18, v20, v16, v10
	;; [unrolled: 2-line block ×5, first 2 shown]
	s_barrier
	ds_write_b8 v27, v5 offset:2048
	ds_write_b8 v23, v12 offset:2048
	;; [unrolled: 1-line block ×6, first 2 shown]
	v_mov_b32_e32 v3, v11
	v_lshlrev_b32_e32 v5, 3, v2
	s_waitcnt lgkmcnt(0)
	s_barrier
	s_and_saveexec_b64 s[4:5], s[0:1]
	s_cbranch_execz .LBB48_129
; %bb.120:
	v_lshl_add_u32 v10, s2, 8, v2
	v_lshl_add_u64 v[12:13], v[10:11], 2, s[48:49]
	v_or_b32_e32 v7, 2.0, v8
	global_store_dword v[12:13], v7, off sc1
	s_mov_b64 s[6:7], 0
	s_brev_b32 s13, -4
	s_mov_b32 s14, s2
	v_mov_b32_e32 v7, 0
                                        ; implicit-def: $sgpr0_sgpr1
	s_branch .LBB48_123
.LBB48_121:                             ;   in Loop: Header=BB48_123 Depth=1
	s_or_b64 exec, exec, s[10:11]
.LBB48_122:                             ;   in Loop: Header=BB48_123 Depth=1
	s_or_b64 exec, exec, s[8:9]
	v_and_b32_e32 v14, 0x3fffffff, v10
	v_add_u32_e32 v7, v14, v7
	v_cmp_gt_i32_e64 s[0:1], -2.0, v10
	s_and_b64 s[8:9], exec, s[0:1]
	s_or_b64 s[6:7], s[8:9], s[6:7]
	s_andn2_b64 exec, exec, s[6:7]
	s_cbranch_execz .LBB48_128
.LBB48_123:                             ; =>This Loop Header: Depth=1
                                        ;     Child Loop BB48_126 Depth 2
	s_or_b64 s[0:1], s[0:1], exec
	s_cmp_eq_u32 s14, 0
	s_cbranch_scc1 .LBB48_127
; %bb.124:                              ;   in Loop: Header=BB48_123 Depth=1
	s_add_i32 s14, s14, -1
	v_lshl_or_b32 v10, s14, 8, v2
	v_lshl_add_u64 v[14:15], v[10:11], 2, s[48:49]
	global_load_dword v10, v[14:15], off sc1
	s_waitcnt vmcnt(0)
	v_cmp_gt_u32_e64 s[0:1], 2.0, v10
	s_and_saveexec_b64 s[8:9], s[0:1]
	s_cbranch_execz .LBB48_122
; %bb.125:                              ;   in Loop: Header=BB48_123 Depth=1
	s_mov_b64 s[10:11], 0
.LBB48_126:                             ;   Parent Loop BB48_123 Depth=1
                                        ; =>  This Inner Loop Header: Depth=2
	global_load_dword v10, v[14:15], off sc1
	s_waitcnt vmcnt(0)
	v_cmp_lt_u32_e64 s[0:1], s13, v10
	s_or_b64 s[10:11], s[0:1], s[10:11]
	s_andn2_b64 exec, exec, s[10:11]
	s_cbranch_execnz .LBB48_126
	s_branch .LBB48_121
.LBB48_127:                             ;   in Loop: Header=BB48_123 Depth=1
                                        ; implicit-def: $sgpr14
	s_and_b64 s[8:9], exec, s[0:1]
	s_or_b64 s[6:7], s[8:9], s[6:7]
	s_andn2_b64 exec, exec, s[6:7]
	s_cbranch_execnz .LBB48_123
.LBB48_128:
	s_or_b64 exec, exec, s[6:7]
	v_add_u32_e32 v11, v7, v8
	v_or_b32_e32 v11, 0x80000000, v11
	v_lshlrev_b32_e32 v10, 3, v2
	global_store_dword v[12:13], v11, off sc1
	global_load_dwordx2 v[10:11], v10, s[28:29]
	v_sub_co_u32_e64 v12, s[0:1], v7, v0
	s_nop 1
	v_subb_co_u32_e64 v13, s[0:1], 0, v1, s[0:1]
	s_waitcnt vmcnt(0)
	v_lshl_add_u64 v[10:11], v[12:13], 0, v[10:11]
	ds_write_b64 v5, v[10:11]
.LBB48_129:
	s_or_b64 exec, exec, s[4:5]
	s_waitcnt lgkmcnt(0)
	s_barrier
	ds_read_u8 v7, v2 offset:4096
	ds_read_u8 v19, v2 offset:3072
	;; [unrolled: 1-line block ×5, first 2 shown]
	s_waitcnt lgkmcnt(4)
	v_lshrrev_b32_sdwa v10, s44, v7 dst_sel:DWORD dst_unused:UNUSED_PAD src0_sel:DWORD src1_sel:BYTE_0
	v_and_b32_e32 v10, s12, v10
	v_lshlrev_b32_e32 v32, 3, v10
	s_waitcnt lgkmcnt(1)
	v_lshrrev_b32_sdwa v10, s44, v26 dst_sel:DWORD dst_unused:UNUSED_PAD src0_sel:DWORD src1_sel:BYTE_0
	v_and_b32_e32 v10, s12, v10
	v_lshlrev_b32_e32 v33, 3, v10
	ds_read_u8 v30, v2 offset:2560
	ds_read_b64 v[10:11], v32
	ds_read_b64 v[12:13], v33
	s_waitcnt lgkmcnt(3)
	v_lshrrev_b32_sdwa v15, s44, v14 dst_sel:DWORD dst_unused:UNUSED_PAD src0_sel:DWORD src1_sel:BYTE_0
	v_and_b32_e32 v15, s12, v15
	s_waitcnt lgkmcnt(2)
	v_lshrrev_b32_sdwa v20, s44, v30 dst_sel:DWORD dst_unused:UNUSED_PAD src0_sel:DWORD src1_sel:BYTE_0
	v_lshlrev_b32_e32 v34, 3, v15
	v_and_b32_e32 v20, s12, v20
	v_xor_b32_e32 v31, 0x80, v14
	ds_read_b64 v[14:15], v34
	v_lshlrev_b32_e32 v35, 3, v20
	v_lshrrev_b32_sdwa v20, s44, v19 dst_sel:DWORD dst_unused:UNUSED_PAD src0_sel:DWORD src1_sel:BYTE_0
	v_and_b32_e32 v20, s12, v20
	v_lshlrev_b32_e32 v36, 3, v20
	v_lshrrev_b32_sdwa v20, s44, v22 dst_sel:DWORD dst_unused:UNUSED_PAD src0_sel:DWORD src1_sel:BYTE_0
	v_and_b32_e32 v20, s12, v20
	v_lshlrev_b32_e32 v37, 3, v20
	ds_read_b64 v[20:21], v35
	ds_read_b64 v[24:25], v36
	;; [unrolled: 1-line block ×3, first 2 shown]
	s_waitcnt lgkmcnt(3)
	v_lshl_add_u64 v[14:15], s[38:39], 0, v[14:15]
	v_lshl_add_u64 v[14:15], v[14:15], 0, v[2:3]
	global_store_byte v[14:15], v31, off
	s_waitcnt lgkmcnt(2)
	v_lshl_add_u64 v[14:15], s[38:39], 0, v[20:21]
	v_xor_b32_e32 v30, 0x80, v30
	v_lshl_add_u64 v[14:15], v[14:15], 0, v[2:3]
	global_store_byte v[14:15], v30, off offset:512
	s_waitcnt lgkmcnt(1)
	v_lshl_add_u64 v[14:15], s[38:39], 0, v[24:25]
	v_xor_b32_e32 v19, 0x80, v19
	v_lshl_add_u64 v[14:15], v[14:15], 0, v[2:3]
	global_store_byte v[14:15], v19, off offset:1024
	s_waitcnt lgkmcnt(0)
	v_lshl_add_u64 v[14:15], s[38:39], 0, v[28:29]
	v_lshl_add_u64 v[10:11], s[38:39], 0, v[10:11]
	v_xor_b32_e32 v19, 0x80, v22
	v_lshl_add_u64 v[14:15], v[14:15], 0, v[2:3]
	v_xor_b32_e32 v7, 0x80, v7
	v_lshl_add_u64 v[10:11], v[10:11], 0, v[2:3]
	global_store_byte v[14:15], v19, off offset:1536
	global_store_byte v[10:11], v7, off offset:2048
	v_lshl_add_u64 v[10:11], s[38:39], 0, v[12:13]
	s_lshl_b64 s[0:1], s[34:35], 3
	v_xor_b32_e32 v7, 0x80, v26
	v_lshl_add_u64 v[10:11], v[10:11], 0, v[2:3]
	s_add_u32 s0, s40, s0
	global_store_byte v[10:11], v7, off offset:2560
	s_addc_u32 s1, s41, s1
	v_lshlrev_b32_e32 v6, 3, v6
	v_mov_b32_e32 v7, 0
	v_lshl_add_u64 v[10:11], s[0:1], 0, v[6:7]
	v_lshlrev_b32_e32 v6, 3, v4
	v_lshl_add_u64 v[10:11], v[10:11], 0, v[6:7]
	global_load_dwordx2 v[12:13], v[10:11], off
	global_load_dwordx2 v[14:15], v[10:11], off offset:512
	global_load_dwordx2 v[20:21], v[10:11], off offset:1024
	;; [unrolled: 1-line block ×5, first 2 shown]
	v_lshlrev_b32_e32 v3, 3, v27
	v_lshlrev_b32_e32 v10, 3, v18
	v_lshlrev_b32_e32 v11, 3, v17
	v_lshlrev_b32_e32 v16, 3, v16
	v_mad_u32_u24 v38, v2, 7, v2
	v_lshlrev_b32_e32 v4, 3, v23
	v_lshlrev_b32_e32 v9, 3, v9
	;; [unrolled: 1-line block ×3, first 2 shown]
	s_barrier
	v_add_u32_e32 v18, 0x1000, v5
	v_or_b32_e32 v22, 0x2000, v5
	v_mov_b32_e32 v19, v7
	v_mov_b32_e32 v23, v7
	s_add_i32 s3, s3, -1
	s_cmp_eq_u32 s2, s3
	s_cselect_b64 s[0:1], -1, 0
	s_xor_b64 s[2:3], vcc, -1
	s_and_b64 s[0:1], s[2:3], s[0:1]
	s_waitcnt vmcnt(5)
	ds_write_b64 v3, v[12:13] offset:2048
	s_waitcnt vmcnt(4)
	ds_write_b64 v4, v[14:15] offset:2048
	;; [unrolled: 2-line block ×6, first 2 shown]
	s_waitcnt lgkmcnt(0)
	s_barrier
	ds_read2st64_b64 v[10:13], v38 offset0:4 offset1:12
	ds_read_b64 v[2:3], v34
	ds_read_b64 v[20:21], v35
	;; [unrolled: 1-line block ×3, first 2 shown]
	ds_read2st64_b64 v[14:17], v38 offset0:20 offset1:28
	ds_read_b64 v[26:27], v37
	s_waitcnt lgkmcnt(4)
	v_lshl_add_u64 v[2:3], v[2:3], 3, s[42:43]
	s_waitcnt lgkmcnt(3)
	v_lshl_add_u64 v[20:21], v[20:21], 3, s[42:43]
	;; [unrolled: 2-line block ×3, first 2 shown]
	v_lshl_add_u64 v[2:3], v[2:3], 0, v[6:7]
	v_lshl_add_u64 v[18:19], v[20:21], 0, v[18:19]
	global_store_dwordx2 v[2:3], v[10:11], off
	global_store_dwordx2 v[18:19], v[12:13], off
	v_lshl_add_u64 v[2:3], v[24:25], 0, v[22:23]
	s_waitcnt lgkmcnt(1)
	global_store_dwordx2 v[2:3], v[14:15], off
	s_waitcnt lgkmcnt(0)
	v_lshl_add_u64 v[2:3], v[26:27], 3, s[42:43]
	v_add_u32_e32 v10, 0x3000, v5
	v_mov_b32_e32 v11, v7
	ds_read_b64 v[14:15], v32
	v_lshl_add_u64 v[2:3], v[2:3], 0, v[10:11]
	global_store_dwordx2 v[2:3], v[16:17], off
	ds_read2st64_b64 v[10:13], v38 offset0:36 offset1:44
	ds_read_b64 v[2:3], v33
	v_or_b32_e32 v16, 0x4000, v5
	s_waitcnt lgkmcnt(2)
	v_lshl_add_u64 v[14:15], v[14:15], 3, s[42:43]
	v_mov_b32_e32 v17, v7
	v_lshl_add_u64 v[14:15], v[14:15], 0, v[16:17]
	s_waitcnt lgkmcnt(1)
	global_store_dwordx2 v[14:15], v[10:11], off
	s_waitcnt lgkmcnt(0)
	v_lshl_add_u64 v[2:3], v[2:3], 3, s[42:43]
	v_add_u32_e32 v10, 0x5000, v5
	v_mov_b32_e32 v11, v7
	v_lshl_add_u64 v[2:3], v[2:3], 0, v[10:11]
	global_store_dwordx2 v[2:3], v[12:13], off
	s_and_saveexec_b64 s[2:3], s[0:1]
	s_cbranch_execz .LBB48_131
; %bb.130:
	ds_read_b64 v[2:3], v5
	v_mov_b32_e32 v9, v7
	v_lshl_add_u64 v[0:1], v[0:1], 0, v[8:9]
	s_waitcnt lgkmcnt(0)
	v_lshl_add_u64 v[0:1], v[0:1], 0, v[2:3]
	global_store_dwordx2 v6, v[0:1], s[30:31]
.LBB48_131:
	s_endpgm
	.section	.rodata,"a",@progbits
	.p2align	6, 0x0
	.amdhsa_kernel _ZN7rocprim17ROCPRIM_304000_NS6detail25onesweep_iteration_kernelINS1_34wrapped_radix_sort_onesweep_configINS0_14default_configEaN2at4cuda3cub6detail10OpaqueTypeILi8EEEEELb0EPKaPaPKSA_PSA_mNS0_19identity_decomposerEEEvT1_T2_T3_T4_jPT5_SO_PNS1_23onesweep_lookback_stateET6_jjj
		.amdhsa_group_segment_fixed_size 26624
		.amdhsa_private_segment_fixed_size 0
		.amdhsa_kernarg_size 336
		.amdhsa_user_sgpr_count 2
		.amdhsa_user_sgpr_dispatch_ptr 0
		.amdhsa_user_sgpr_queue_ptr 0
		.amdhsa_user_sgpr_kernarg_segment_ptr 1
		.amdhsa_user_sgpr_dispatch_id 0
		.amdhsa_user_sgpr_kernarg_preload_length 0
		.amdhsa_user_sgpr_kernarg_preload_offset 0
		.amdhsa_user_sgpr_private_segment_size 0
		.amdhsa_uses_dynamic_stack 0
		.amdhsa_enable_private_segment 0
		.amdhsa_system_sgpr_workgroup_id_x 1
		.amdhsa_system_sgpr_workgroup_id_y 0
		.amdhsa_system_sgpr_workgroup_id_z 0
		.amdhsa_system_sgpr_workgroup_info 0
		.amdhsa_system_vgpr_workitem_id 2
		.amdhsa_next_free_vgpr 39
		.amdhsa_next_free_sgpr 51
		.amdhsa_accum_offset 40
		.amdhsa_reserve_vcc 1
		.amdhsa_float_round_mode_32 0
		.amdhsa_float_round_mode_16_64 0
		.amdhsa_float_denorm_mode_32 3
		.amdhsa_float_denorm_mode_16_64 3
		.amdhsa_dx10_clamp 1
		.amdhsa_ieee_mode 1
		.amdhsa_fp16_overflow 0
		.amdhsa_tg_split 0
		.amdhsa_exception_fp_ieee_invalid_op 0
		.amdhsa_exception_fp_denorm_src 0
		.amdhsa_exception_fp_ieee_div_zero 0
		.amdhsa_exception_fp_ieee_overflow 0
		.amdhsa_exception_fp_ieee_underflow 0
		.amdhsa_exception_fp_ieee_inexact 0
		.amdhsa_exception_int_div_zero 0
	.end_amdhsa_kernel
	.section	.text._ZN7rocprim17ROCPRIM_304000_NS6detail25onesweep_iteration_kernelINS1_34wrapped_radix_sort_onesweep_configINS0_14default_configEaN2at4cuda3cub6detail10OpaqueTypeILi8EEEEELb0EPKaPaPKSA_PSA_mNS0_19identity_decomposerEEEvT1_T2_T3_T4_jPT5_SO_PNS1_23onesweep_lookback_stateET6_jjj,"axG",@progbits,_ZN7rocprim17ROCPRIM_304000_NS6detail25onesweep_iteration_kernelINS1_34wrapped_radix_sort_onesweep_configINS0_14default_configEaN2at4cuda3cub6detail10OpaqueTypeILi8EEEEELb0EPKaPaPKSA_PSA_mNS0_19identity_decomposerEEEvT1_T2_T3_T4_jPT5_SO_PNS1_23onesweep_lookback_stateET6_jjj,comdat
.Lfunc_end48:
	.size	_ZN7rocprim17ROCPRIM_304000_NS6detail25onesweep_iteration_kernelINS1_34wrapped_radix_sort_onesweep_configINS0_14default_configEaN2at4cuda3cub6detail10OpaqueTypeILi8EEEEELb0EPKaPaPKSA_PSA_mNS0_19identity_decomposerEEEvT1_T2_T3_T4_jPT5_SO_PNS1_23onesweep_lookback_stateET6_jjj, .Lfunc_end48-_ZN7rocprim17ROCPRIM_304000_NS6detail25onesweep_iteration_kernelINS1_34wrapped_radix_sort_onesweep_configINS0_14default_configEaN2at4cuda3cub6detail10OpaqueTypeILi8EEEEELb0EPKaPaPKSA_PSA_mNS0_19identity_decomposerEEEvT1_T2_T3_T4_jPT5_SO_PNS1_23onesweep_lookback_stateET6_jjj
                                        ; -- End function
	.set _ZN7rocprim17ROCPRIM_304000_NS6detail25onesweep_iteration_kernelINS1_34wrapped_radix_sort_onesweep_configINS0_14default_configEaN2at4cuda3cub6detail10OpaqueTypeILi8EEEEELb0EPKaPaPKSA_PSA_mNS0_19identity_decomposerEEEvT1_T2_T3_T4_jPT5_SO_PNS1_23onesweep_lookback_stateET6_jjj.num_vgpr, 39
	.set _ZN7rocprim17ROCPRIM_304000_NS6detail25onesweep_iteration_kernelINS1_34wrapped_radix_sort_onesweep_configINS0_14default_configEaN2at4cuda3cub6detail10OpaqueTypeILi8EEEEELb0EPKaPaPKSA_PSA_mNS0_19identity_decomposerEEEvT1_T2_T3_T4_jPT5_SO_PNS1_23onesweep_lookback_stateET6_jjj.num_agpr, 0
	.set _ZN7rocprim17ROCPRIM_304000_NS6detail25onesweep_iteration_kernelINS1_34wrapped_radix_sort_onesweep_configINS0_14default_configEaN2at4cuda3cub6detail10OpaqueTypeILi8EEEEELb0EPKaPaPKSA_PSA_mNS0_19identity_decomposerEEEvT1_T2_T3_T4_jPT5_SO_PNS1_23onesweep_lookback_stateET6_jjj.numbered_sgpr, 51
	.set _ZN7rocprim17ROCPRIM_304000_NS6detail25onesweep_iteration_kernelINS1_34wrapped_radix_sort_onesweep_configINS0_14default_configEaN2at4cuda3cub6detail10OpaqueTypeILi8EEEEELb0EPKaPaPKSA_PSA_mNS0_19identity_decomposerEEEvT1_T2_T3_T4_jPT5_SO_PNS1_23onesweep_lookback_stateET6_jjj.num_named_barrier, 0
	.set _ZN7rocprim17ROCPRIM_304000_NS6detail25onesweep_iteration_kernelINS1_34wrapped_radix_sort_onesweep_configINS0_14default_configEaN2at4cuda3cub6detail10OpaqueTypeILi8EEEEELb0EPKaPaPKSA_PSA_mNS0_19identity_decomposerEEEvT1_T2_T3_T4_jPT5_SO_PNS1_23onesweep_lookback_stateET6_jjj.private_seg_size, 0
	.set _ZN7rocprim17ROCPRIM_304000_NS6detail25onesweep_iteration_kernelINS1_34wrapped_radix_sort_onesweep_configINS0_14default_configEaN2at4cuda3cub6detail10OpaqueTypeILi8EEEEELb0EPKaPaPKSA_PSA_mNS0_19identity_decomposerEEEvT1_T2_T3_T4_jPT5_SO_PNS1_23onesweep_lookback_stateET6_jjj.uses_vcc, 1
	.set _ZN7rocprim17ROCPRIM_304000_NS6detail25onesweep_iteration_kernelINS1_34wrapped_radix_sort_onesweep_configINS0_14default_configEaN2at4cuda3cub6detail10OpaqueTypeILi8EEEEELb0EPKaPaPKSA_PSA_mNS0_19identity_decomposerEEEvT1_T2_T3_T4_jPT5_SO_PNS1_23onesweep_lookback_stateET6_jjj.uses_flat_scratch, 0
	.set _ZN7rocprim17ROCPRIM_304000_NS6detail25onesweep_iteration_kernelINS1_34wrapped_radix_sort_onesweep_configINS0_14default_configEaN2at4cuda3cub6detail10OpaqueTypeILi8EEEEELb0EPKaPaPKSA_PSA_mNS0_19identity_decomposerEEEvT1_T2_T3_T4_jPT5_SO_PNS1_23onesweep_lookback_stateET6_jjj.has_dyn_sized_stack, 0
	.set _ZN7rocprim17ROCPRIM_304000_NS6detail25onesweep_iteration_kernelINS1_34wrapped_radix_sort_onesweep_configINS0_14default_configEaN2at4cuda3cub6detail10OpaqueTypeILi8EEEEELb0EPKaPaPKSA_PSA_mNS0_19identity_decomposerEEEvT1_T2_T3_T4_jPT5_SO_PNS1_23onesweep_lookback_stateET6_jjj.has_recursion, 0
	.set _ZN7rocprim17ROCPRIM_304000_NS6detail25onesweep_iteration_kernelINS1_34wrapped_radix_sort_onesweep_configINS0_14default_configEaN2at4cuda3cub6detail10OpaqueTypeILi8EEEEELb0EPKaPaPKSA_PSA_mNS0_19identity_decomposerEEEvT1_T2_T3_T4_jPT5_SO_PNS1_23onesweep_lookback_stateET6_jjj.has_indirect_call, 0
	.section	.AMDGPU.csdata,"",@progbits
; Kernel info:
; codeLenInByte = 11016
; TotalNumSgprs: 57
; NumVgprs: 39
; NumAgprs: 0
; TotalNumVgprs: 39
; ScratchSize: 0
; MemoryBound: 0
; FloatMode: 240
; IeeeMode: 1
; LDSByteSize: 26624 bytes/workgroup (compile time only)
; SGPRBlocks: 7
; VGPRBlocks: 4
; NumSGPRsForWavesPerEU: 57
; NumVGPRsForWavesPerEU: 39
; AccumOffset: 40
; Occupancy: 8
; WaveLimiterHint : 1
; COMPUTE_PGM_RSRC2:SCRATCH_EN: 0
; COMPUTE_PGM_RSRC2:USER_SGPR: 2
; COMPUTE_PGM_RSRC2:TRAP_HANDLER: 0
; COMPUTE_PGM_RSRC2:TGID_X_EN: 1
; COMPUTE_PGM_RSRC2:TGID_Y_EN: 0
; COMPUTE_PGM_RSRC2:TGID_Z_EN: 0
; COMPUTE_PGM_RSRC2:TIDIG_COMP_CNT: 2
; COMPUTE_PGM_RSRC3_GFX90A:ACCUM_OFFSET: 9
; COMPUTE_PGM_RSRC3_GFX90A:TG_SPLIT: 0
	.section	.text._ZN7rocprim17ROCPRIM_304000_NS6detail25onesweep_iteration_kernelINS1_34wrapped_radix_sort_onesweep_configINS0_14default_configEaN2at4cuda3cub6detail10OpaqueTypeILi8EEEEELb0EPaSC_PSA_SD_mNS0_19identity_decomposerEEEvT1_T2_T3_T4_jPT5_SK_PNS1_23onesweep_lookback_stateET6_jjj,"axG",@progbits,_ZN7rocprim17ROCPRIM_304000_NS6detail25onesweep_iteration_kernelINS1_34wrapped_radix_sort_onesweep_configINS0_14default_configEaN2at4cuda3cub6detail10OpaqueTypeILi8EEEEELb0EPaSC_PSA_SD_mNS0_19identity_decomposerEEEvT1_T2_T3_T4_jPT5_SK_PNS1_23onesweep_lookback_stateET6_jjj,comdat
	.protected	_ZN7rocprim17ROCPRIM_304000_NS6detail25onesweep_iteration_kernelINS1_34wrapped_radix_sort_onesweep_configINS0_14default_configEaN2at4cuda3cub6detail10OpaqueTypeILi8EEEEELb0EPaSC_PSA_SD_mNS0_19identity_decomposerEEEvT1_T2_T3_T4_jPT5_SK_PNS1_23onesweep_lookback_stateET6_jjj ; -- Begin function _ZN7rocprim17ROCPRIM_304000_NS6detail25onesweep_iteration_kernelINS1_34wrapped_radix_sort_onesweep_configINS0_14default_configEaN2at4cuda3cub6detail10OpaqueTypeILi8EEEEELb0EPaSC_PSA_SD_mNS0_19identity_decomposerEEEvT1_T2_T3_T4_jPT5_SK_PNS1_23onesweep_lookback_stateET6_jjj
	.globl	_ZN7rocprim17ROCPRIM_304000_NS6detail25onesweep_iteration_kernelINS1_34wrapped_radix_sort_onesweep_configINS0_14default_configEaN2at4cuda3cub6detail10OpaqueTypeILi8EEEEELb0EPaSC_PSA_SD_mNS0_19identity_decomposerEEEvT1_T2_T3_T4_jPT5_SK_PNS1_23onesweep_lookback_stateET6_jjj
	.p2align	8
	.type	_ZN7rocprim17ROCPRIM_304000_NS6detail25onesweep_iteration_kernelINS1_34wrapped_radix_sort_onesweep_configINS0_14default_configEaN2at4cuda3cub6detail10OpaqueTypeILi8EEEEELb0EPaSC_PSA_SD_mNS0_19identity_decomposerEEEvT1_T2_T3_T4_jPT5_SK_PNS1_23onesweep_lookback_stateET6_jjj,@function
_ZN7rocprim17ROCPRIM_304000_NS6detail25onesweep_iteration_kernelINS1_34wrapped_radix_sort_onesweep_configINS0_14default_configEaN2at4cuda3cub6detail10OpaqueTypeILi8EEEEELb0EPaSC_PSA_SD_mNS0_19identity_decomposerEEEvT1_T2_T3_T4_jPT5_SK_PNS1_23onesweep_lookback_stateET6_jjj: ; @_ZN7rocprim17ROCPRIM_304000_NS6detail25onesweep_iteration_kernelINS1_34wrapped_radix_sort_onesweep_configINS0_14default_configEaN2at4cuda3cub6detail10OpaqueTypeILi8EEEEELb0EPaSC_PSA_SD_mNS0_19identity_decomposerEEEvT1_T2_T3_T4_jPT5_SK_PNS1_23onesweep_lookback_stateET6_jjj
; %bb.0:
	s_load_dwordx4 s[44:47], s[0:1], 0x44
	s_load_dwordx8 s[36:43], s[0:1], 0x0
	s_load_dwordx4 s[28:31], s[0:1], 0x28
	s_load_dwordx2 s[48:49], s[0:1], 0x38
	s_mov_b64 s[4:5], -1
	s_waitcnt lgkmcnt(0)
	s_cmp_ge_u32 s2, s46
	s_mul_i32 s34, s2, 0xc00
	v_mbcnt_lo_u32_b32 v1, -1, 0
	s_cbranch_scc0 .LBB49_96
; %bb.1:
	s_load_dword s3, s[0:1], 0x20
	s_mul_i32 s33, s46, 0xfffff400
	v_and_b32_e32 v3, 0x1c0, v0
	v_mbcnt_hi_u32_b32 v6, -1, v1
	v_mul_u32_u24_e32 v4, 6, v3
	s_waitcnt lgkmcnt(0)
	s_add_i32 s33, s33, s3
	s_add_u32 s4, s36, s34
	s_addc_u32 s5, s37, 0
	v_mov_b32_e32 v7, 0
	v_lshl_add_u64 v[8:9], s[4:5], 0, v[6:7]
	v_mov_b32_e32 v5, v7
	v_or_b32_e32 v10, v6, v4
	s_mov_b32 s35, 0
	v_lshl_add_u64 v[8:9], v[8:9], 0, v[4:5]
	v_cmp_gt_u32_e32 vcc, s33, v10
	v_mov_b32_e32 v7, 0x7f
	v_mov_b32_e32 v5, 0x7f
	;; [unrolled: 1-line block ×6, first 2 shown]
	s_and_saveexec_b64 s[4:5], vcc
	s_cbranch_execz .LBB49_3
; %bb.2:
	global_load_ubyte v5, v[8:9], off
	v_mov_b32_e32 v7, 0x7f
	v_mov_b32_e32 v14, 0x7f
	;; [unrolled: 1-line block ×5, first 2 shown]
.LBB49_3:
	s_or_b64 exec, exec, s[4:5]
	v_add_u32_e32 v2, 64, v10
	v_cmp_gt_u32_e64 s[26:27], s33, v2
	s_and_saveexec_b64 s[4:5], s[26:27]
	s_cbranch_execz .LBB49_5
; %bb.4:
	global_load_ubyte v14, v[8:9], off offset:64
.LBB49_5:
	s_or_b64 exec, exec, s[4:5]
	v_add_u32_e32 v2, 0x80, v10
	v_cmp_gt_u32_e64 s[4:5], s33, v2
	s_and_saveexec_b64 s[6:7], s[4:5]
	s_cbranch_execz .LBB49_7
; %bb.6:
	global_load_ubyte v19, v[8:9], off offset:128
.LBB49_7:
	;; [unrolled: 8-line block ×4, first 2 shown]
	s_or_b64 exec, exec, s[10:11]
	v_add_u32_e32 v10, 0x140, v10
	v_and_b32_e32 v2, 0x3ff, v0
	v_cmp_gt_u32_e64 s[10:11], s33, v10
	s_and_saveexec_b64 s[12:13], s[10:11]
	s_cbranch_execz .LBB49_13
; %bb.12:
	global_load_ubyte v7, v[8:9], off offset:320
.LBB49_13:
	s_or_b64 exec, exec, s[12:13]
	s_load_dword s12, s[0:1], 0x5c
	s_load_dword s3, s[0:1], 0x50
	s_add_u32 s13, s0, 0x50
	s_addc_u32 s14, s1, 0
	v_mov_b32_e32 v9, 0
	s_waitcnt lgkmcnt(0)
	s_lshr_b32 s15, s12, 16
	s_cmp_lt_u32 s2, s3
	s_cselect_b32 s12, 12, 18
	s_add_u32 s12, s13, s12
	s_addc_u32 s13, s14, 0
	global_load_ushort v13, v9, s[12:13]
	s_waitcnt vmcnt(1)
	v_xor_b32_e32 v5, 0xffffff80, v5
	v_lshrrev_b32_sdwa v17, s44, v5 dst_sel:DWORD dst_unused:UNUSED_PAD src0_sel:DWORD src1_sel:BYTE_0
	s_lshl_b32 s12, -1, s45
	v_bfe_u32 v8, v0, 10, 10
	v_bfe_u32 v11, v0, 20, 10
	v_bitop3_b32 v21, v17, s12, v17 bitop3:0x30
	v_mad_u32_u24 v18, v11, s15, v8
	v_and_b32_e32 v8, 1, v21
	v_lshlrev_b32_e32 v11, 30, v21
	v_mov_b32_e32 v10, v9
	v_mov_b32_e32 v22, v9
	s_not_b32 s50, s12
	v_lshlrev_b32_e32 v17, 29, v21
	v_lshlrev_b32_e32 v23, 28, v21
	v_lshl_add_u64 v[32:33], v[8:9], 0, -1
	v_cmp_ne_u32_e64 s[12:13], 0, v8
	v_not_b32_e32 v8, v11
	v_mov_b32_e32 v16, v9
	v_mov_b32_e32 v24, v9
	v_lshlrev_b32_e32 v25, 27, v21
	v_cmp_gt_i64_e64 s[14:15], 0, v[10:11]
	v_not_b32_e32 v10, v17
	v_cmp_gt_i64_e64 s[18:19], 0, v[22:23]
	v_xor_b32_e32 v22, s13, v33
	v_ashrrev_i32_e32 v8, 31, v8
	v_cmp_gt_i64_e64 s[16:17], 0, v[16:17]
	v_not_b32_e32 v11, v23
	v_cmp_gt_i64_e64 s[20:21], 0, v[24:25]
	v_xor_b32_e32 v23, s12, v32
	v_ashrrev_i32_e32 v10, 31, v10
	v_and_b32_e32 v22, exec_hi, v22
	v_xor_b32_e32 v24, s15, v8
	v_mov_b32_e32 v26, v9
	v_lshlrev_b32_e32 v27, 26, v21
	v_not_b32_e32 v16, v25
	v_ashrrev_i32_e32 v11, 31, v11
	v_and_b32_e32 v23, exec_lo, v23
	v_xor_b32_e32 v8, s14, v8
	v_xor_b32_e32 v25, s17, v10
	v_and_b32_e32 v22, v22, v24
	v_lshlrev_b32_e32 v29, 25, v21
	v_cmp_gt_i64_e64 s[22:23], 0, v[26:27]
	v_not_b32_e32 v17, v27
	v_ashrrev_i32_e32 v16, 31, v16
	v_xor_b32_e32 v10, s16, v10
	v_xor_b32_e32 v26, s19, v11
	v_and_b32_e32 v8, v23, v8
	v_and_b32_e32 v22, v22, v25
	v_mov_b32_e32 v28, v9
	v_mul_u32_u24_e32 v34, 36, v21
	v_lshlrev_b32_e32 v31, 24, v21
	v_not_b32_e32 v21, v29
	v_ashrrev_i32_e32 v17, 31, v17
	v_xor_b32_e32 v27, s21, v16
	v_and_b32_e32 v8, v8, v10
	v_and_b32_e32 v10, v22, v26
	v_cmp_gt_i64_e64 s[24:25], 0, v[28:29]
	v_ashrrev_i32_e32 v21, 31, v21
	v_xor_b32_e32 v11, s18, v11
	v_xor_b32_e32 v28, s23, v17
	v_and_b32_e32 v10, v10, v27
	v_xor_b32_e32 v16, s20, v16
	v_xor_b32_e32 v29, s25, v21
	v_and_b32_e32 v8, v8, v11
	v_and_b32_e32 v10, v10, v28
	;; [unrolled: 1-line block ×4, first 2 shown]
	v_xor_b32_e32 v17, s22, v17
	v_mov_b32_e32 v30, v9
	v_xor_b32_e32 v21, s24, v21
	v_and_b32_e32 v8, v8, v17
	v_and_b32_e32 v8, v8, v21
	v_mul_u32_u24_e32 v12, 20, v2
	ds_write2_b32 v12, v9, v9 offset0:8 offset1:9
	ds_write2_b32 v12, v9, v9 offset0:10 offset1:11
	ds_write_b32 v12, v9 offset:48
	s_waitcnt lgkmcnt(0)
	s_barrier
	s_waitcnt vmcnt(0)
	; wave barrier
	v_mad_u64_u32 v[10:11], s[12:13], v18, v13, v[2:3]
	v_lshrrev_b32_e32 v10, 4, v10
	v_and_b32_e32 v22, 0xffffffc, v10
	v_not_b32_e32 v10, v31
	v_cmp_gt_i64_e64 s[12:13], 0, v[30:31]
	v_ashrrev_i32_e32 v10, 31, v10
	v_add_u32_e32 v17, v22, v34
	v_xor_b32_e32 v11, s13, v10
	v_xor_b32_e32 v10, s12, v10
	v_and_b32_e32 v10, v8, v10
	v_and_b32_e32 v11, v16, v11
	v_mbcnt_lo_u32_b32 v8, v10, 0
	v_mbcnt_hi_u32_b32 v13, v11, v8
	v_cmp_eq_u32_e64 s[12:13], 0, v13
	v_cmp_ne_u64_e64 s[14:15], 0, v[10:11]
	s_and_b64 s[14:15], s[14:15], s[12:13]
	s_and_saveexec_b64 s[12:13], s[14:15]
; %bb.14:
	v_bcnt_u32_b32 v8, v10, 0
	v_bcnt_u32_b32 v8, v11, v8
	ds_write_b32 v17, v8 offset:32
; %bb.15:
	s_or_b64 exec, exec, s[12:13]
	v_xor_b32_e32 v14, 0xffffff80, v14
	v_lshrrev_b32_sdwa v8, s44, v14 dst_sel:DWORD dst_unused:UNUSED_PAD src0_sel:DWORD src1_sel:BYTE_0
	v_and_b32_e32 v18, s50, v8
	v_mad_u32_u24 v8, v18, 36, v22
	; wave barrier
	ds_read_b32 v16, v8 offset:32
	v_and_b32_e32 v8, 1, v18
	v_lshl_add_u64 v[10:11], v[8:9], 0, -1
	v_cmp_ne_u32_e64 s[12:13], 0, v8
	v_mul_u32_u24_e32 v21, 36, v18
	s_nop 0
	v_xor_b32_e32 v10, s12, v10
	v_xor_b32_e32 v8, s13, v11
	v_and_b32_e32 v23, exec_lo, v10
	v_lshlrev_b32_e32 v11, 30, v18
	v_mov_b32_e32 v10, v9
	v_cmp_gt_i64_e64 s[12:13], 0, v[10:11]
	v_not_b32_e32 v10, v11
	v_ashrrev_i32_e32 v10, 31, v10
	v_and_b32_e32 v8, exec_hi, v8
	v_xor_b32_e32 v11, s13, v10
	v_xor_b32_e32 v10, s12, v10
	v_and_b32_e32 v8, v8, v11
	v_and_b32_e32 v23, v23, v10
	v_lshlrev_b32_e32 v11, 29, v18
	v_mov_b32_e32 v10, v9
	v_cmp_gt_i64_e64 s[12:13], 0, v[10:11]
	v_not_b32_e32 v10, v11
	v_ashrrev_i32_e32 v10, 31, v10
	v_xor_b32_e32 v11, s13, v10
	v_xor_b32_e32 v10, s12, v10
	v_and_b32_e32 v8, v8, v11
	v_and_b32_e32 v23, v23, v10
	v_lshlrev_b32_e32 v11, 28, v18
	v_mov_b32_e32 v10, v9
	v_cmp_gt_i64_e64 s[12:13], 0, v[10:11]
	v_not_b32_e32 v10, v11
	v_ashrrev_i32_e32 v10, 31, v10
	;; [unrolled: 9-line block ×5, first 2 shown]
	v_xor_b32_e32 v11, s13, v10
	v_xor_b32_e32 v10, s12, v10
	v_and_b32_e32 v8, v8, v11
	v_lshlrev_b32_e32 v11, 24, v18
	v_and_b32_e32 v23, v23, v10
	v_mov_b32_e32 v10, v9
	v_not_b32_e32 v9, v11
	v_cmp_gt_i64_e64 s[12:13], 0, v[10:11]
	v_ashrrev_i32_e32 v9, 31, v9
	; wave barrier
	s_nop 0
	v_xor_b32_e32 v10, s13, v9
	v_xor_b32_e32 v11, s12, v9
	v_and_b32_e32 v9, v8, v10
	v_and_b32_e32 v8, v23, v11
	v_mbcnt_lo_u32_b32 v10, v8, 0
	v_mbcnt_hi_u32_b32 v18, v9, v10
	v_cmp_eq_u32_e64 s[12:13], 0, v18
	v_cmp_ne_u64_e64 s[14:15], 0, v[8:9]
	s_and_b64 s[14:15], s[14:15], s[12:13]
	v_add_u32_e32 v23, v22, v21
	s_and_saveexec_b64 s[12:13], s[14:15]
	s_cbranch_execz .LBB49_17
; %bb.16:
	v_bcnt_u32_b32 v8, v8, 0
	v_bcnt_u32_b32 v8, v9, v8
	s_waitcnt lgkmcnt(0)
	v_add_u32_e32 v8, v16, v8
	ds_write_b32 v23, v8 offset:32
.LBB49_17:
	s_or_b64 exec, exec, s[12:13]
	v_xor_b32_e32 v19, 0xffffff80, v19
	v_lshrrev_b32_sdwa v8, s44, v19 dst_sel:DWORD dst_unused:UNUSED_PAD src0_sel:DWORD src1_sel:BYTE_0
	v_and_b32_e32 v24, s50, v8
	v_mad_u32_u24 v8, v24, 36, v22
	; wave barrier
	ds_read_b32 v21, v8 offset:32
	v_and_b32_e32 v8, 1, v24
	v_mov_b32_e32 v9, 0
	v_lshl_add_u64 v[10:11], v[8:9], 0, -1
	v_cmp_ne_u32_e64 s[12:13], 0, v8
	v_mul_u32_u24_e32 v25, 36, v24
	s_nop 0
	v_xor_b32_e32 v10, s12, v10
	v_xor_b32_e32 v8, s13, v11
	v_and_b32_e32 v26, exec_lo, v10
	v_lshlrev_b32_e32 v11, 30, v24
	v_mov_b32_e32 v10, v9
	v_cmp_gt_i64_e64 s[12:13], 0, v[10:11]
	v_not_b32_e32 v10, v11
	v_ashrrev_i32_e32 v10, 31, v10
	v_and_b32_e32 v8, exec_hi, v8
	v_xor_b32_e32 v11, s13, v10
	v_xor_b32_e32 v10, s12, v10
	v_and_b32_e32 v8, v8, v11
	v_and_b32_e32 v26, v26, v10
	v_lshlrev_b32_e32 v11, 29, v24
	v_mov_b32_e32 v10, v9
	v_cmp_gt_i64_e64 s[12:13], 0, v[10:11]
	v_not_b32_e32 v10, v11
	v_ashrrev_i32_e32 v10, 31, v10
	v_xor_b32_e32 v11, s13, v10
	v_xor_b32_e32 v10, s12, v10
	v_and_b32_e32 v8, v8, v11
	v_and_b32_e32 v26, v26, v10
	v_lshlrev_b32_e32 v11, 28, v24
	v_mov_b32_e32 v10, v9
	v_cmp_gt_i64_e64 s[12:13], 0, v[10:11]
	v_not_b32_e32 v10, v11
	v_ashrrev_i32_e32 v10, 31, v10
	;; [unrolled: 9-line block ×6, first 2 shown]
	v_xor_b32_e32 v11, s13, v10
	v_xor_b32_e32 v10, s12, v10
	v_and_b32_e32 v10, v26, v10
	v_and_b32_e32 v11, v8, v11
	v_mbcnt_lo_u32_b32 v8, v10, 0
	v_mbcnt_hi_u32_b32 v24, v11, v8
	v_cmp_eq_u32_e64 s[12:13], 0, v24
	v_cmp_ne_u64_e64 s[14:15], 0, v[10:11]
	s_and_b64 s[14:15], s[14:15], s[12:13]
	v_add_u32_e32 v26, v22, v25
	; wave barrier
	s_and_saveexec_b64 s[12:13], s[14:15]
	s_cbranch_execz .LBB49_19
; %bb.18:
	v_bcnt_u32_b32 v8, v10, 0
	v_bcnt_u32_b32 v8, v11, v8
	s_waitcnt lgkmcnt(0)
	v_add_u32_e32 v8, v21, v8
	ds_write_b32 v26, v8 offset:32
.LBB49_19:
	s_or_b64 exec, exec, s[12:13]
	v_xor_b32_e32 v20, 0xffffff80, v20
	v_lshrrev_b32_sdwa v8, s44, v20 dst_sel:DWORD dst_unused:UNUSED_PAD src0_sel:DWORD src1_sel:BYTE_0
	v_and_b32_e32 v27, s50, v8
	v_mad_u32_u24 v8, v27, 36, v22
	; wave barrier
	ds_read_b32 v25, v8 offset:32
	v_and_b32_e32 v8, 1, v27
	v_lshl_add_u64 v[10:11], v[8:9], 0, -1
	v_cmp_ne_u32_e64 s[12:13], 0, v8
	v_mul_u32_u24_e32 v28, 36, v27
	s_nop 0
	v_xor_b32_e32 v10, s12, v10
	v_xor_b32_e32 v8, s13, v11
	v_and_b32_e32 v29, exec_lo, v10
	v_lshlrev_b32_e32 v11, 30, v27
	v_mov_b32_e32 v10, v9
	v_cmp_gt_i64_e64 s[12:13], 0, v[10:11]
	v_not_b32_e32 v10, v11
	v_ashrrev_i32_e32 v10, 31, v10
	v_and_b32_e32 v8, exec_hi, v8
	v_xor_b32_e32 v11, s13, v10
	v_xor_b32_e32 v10, s12, v10
	v_and_b32_e32 v8, v8, v11
	v_and_b32_e32 v29, v29, v10
	v_lshlrev_b32_e32 v11, 29, v27
	v_mov_b32_e32 v10, v9
	v_cmp_gt_i64_e64 s[12:13], 0, v[10:11]
	v_not_b32_e32 v10, v11
	v_ashrrev_i32_e32 v10, 31, v10
	v_xor_b32_e32 v11, s13, v10
	v_xor_b32_e32 v10, s12, v10
	v_and_b32_e32 v8, v8, v11
	v_and_b32_e32 v29, v29, v10
	v_lshlrev_b32_e32 v11, 28, v27
	v_mov_b32_e32 v10, v9
	v_cmp_gt_i64_e64 s[12:13], 0, v[10:11]
	v_not_b32_e32 v10, v11
	v_ashrrev_i32_e32 v10, 31, v10
	;; [unrolled: 9-line block ×5, first 2 shown]
	v_xor_b32_e32 v11, s13, v10
	v_xor_b32_e32 v10, s12, v10
	v_and_b32_e32 v8, v8, v11
	v_lshlrev_b32_e32 v11, 24, v27
	v_and_b32_e32 v29, v29, v10
	v_mov_b32_e32 v10, v9
	v_not_b32_e32 v9, v11
	v_cmp_gt_i64_e64 s[12:13], 0, v[10:11]
	v_ashrrev_i32_e32 v9, 31, v9
	v_add_u32_e32 v27, v22, v28
	v_xor_b32_e32 v10, s13, v9
	v_xor_b32_e32 v11, s12, v9
	v_and_b32_e32 v9, v8, v10
	v_and_b32_e32 v8, v29, v11
	v_mbcnt_lo_u32_b32 v10, v8, 0
	v_mbcnt_hi_u32_b32 v29, v9, v10
	v_cmp_eq_u32_e64 s[12:13], 0, v29
	v_cmp_ne_u64_e64 s[14:15], 0, v[8:9]
	s_and_b64 s[14:15], s[14:15], s[12:13]
	; wave barrier
	s_and_saveexec_b64 s[12:13], s[14:15]
	s_cbranch_execz .LBB49_21
; %bb.20:
	v_bcnt_u32_b32 v8, v8, 0
	v_bcnt_u32_b32 v8, v9, v8
	s_waitcnt lgkmcnt(0)
	v_add_u32_e32 v8, v25, v8
	ds_write_b32 v27, v8 offset:32
.LBB49_21:
	s_or_b64 exec, exec, s[12:13]
	v_xor_b32_e32 v15, 0xffffff80, v15
	v_lshrrev_b32_sdwa v8, s44, v15 dst_sel:DWORD dst_unused:UNUSED_PAD src0_sel:DWORD src1_sel:BYTE_0
	v_and_b32_e32 v28, s50, v8
	v_mad_u32_u24 v8, v28, 36, v22
	; wave barrier
	ds_read_b32 v30, v8 offset:32
	v_and_b32_e32 v8, 1, v28
	v_mov_b32_e32 v9, 0
	v_lshl_add_u64 v[10:11], v[8:9], 0, -1
	v_cmp_ne_u32_e64 s[12:13], 0, v8
	v_mul_u32_u24_e32 v32, 36, v28
	s_nop 0
	v_xor_b32_e32 v10, s12, v10
	v_xor_b32_e32 v8, s13, v11
	v_and_b32_e32 v31, exec_lo, v10
	v_lshlrev_b32_e32 v11, 30, v28
	v_mov_b32_e32 v10, v9
	v_cmp_gt_i64_e64 s[12:13], 0, v[10:11]
	v_not_b32_e32 v10, v11
	v_ashrrev_i32_e32 v10, 31, v10
	v_and_b32_e32 v8, exec_hi, v8
	v_xor_b32_e32 v11, s13, v10
	v_xor_b32_e32 v10, s12, v10
	v_and_b32_e32 v8, v8, v11
	v_and_b32_e32 v31, v31, v10
	v_lshlrev_b32_e32 v11, 29, v28
	v_mov_b32_e32 v10, v9
	v_cmp_gt_i64_e64 s[12:13], 0, v[10:11]
	v_not_b32_e32 v10, v11
	v_ashrrev_i32_e32 v10, 31, v10
	v_xor_b32_e32 v11, s13, v10
	v_xor_b32_e32 v10, s12, v10
	v_and_b32_e32 v8, v8, v11
	v_and_b32_e32 v31, v31, v10
	v_lshlrev_b32_e32 v11, 28, v28
	v_mov_b32_e32 v10, v9
	v_cmp_gt_i64_e64 s[12:13], 0, v[10:11]
	v_not_b32_e32 v10, v11
	v_ashrrev_i32_e32 v10, 31, v10
	;; [unrolled: 9-line block ×6, first 2 shown]
	v_xor_b32_e32 v11, s13, v10
	v_xor_b32_e32 v10, s12, v10
	v_and_b32_e32 v10, v31, v10
	v_and_b32_e32 v11, v8, v11
	v_mbcnt_lo_u32_b32 v8, v10, 0
	v_mbcnt_hi_u32_b32 v31, v11, v8
	v_cmp_eq_u32_e64 s[12:13], 0, v31
	v_cmp_ne_u64_e64 s[14:15], 0, v[10:11]
	s_and_b64 s[14:15], s[14:15], s[12:13]
	v_add_u32_e32 v28, v22, v32
	; wave barrier
	s_and_saveexec_b64 s[12:13], s[14:15]
	s_cbranch_execz .LBB49_23
; %bb.22:
	v_bcnt_u32_b32 v8, v10, 0
	v_bcnt_u32_b32 v8, v11, v8
	s_waitcnt lgkmcnt(0)
	v_add_u32_e32 v8, v30, v8
	ds_write_b32 v28, v8 offset:32
.LBB49_23:
	s_or_b64 exec, exec, s[12:13]
	v_xor_b32_e32 v7, 0xffffff80, v7
	v_lshrrev_b32_sdwa v8, s44, v7 dst_sel:DWORD dst_unused:UNUSED_PAD src0_sel:DWORD src1_sel:BYTE_0
	v_and_b32_e32 v33, s50, v8
	v_mad_u32_u24 v8, v33, 36, v22
	; wave barrier
	ds_read_b32 v32, v8 offset:32
	v_and_b32_e32 v8, 1, v33
	v_lshl_add_u64 v[10:11], v[8:9], 0, -1
	v_cmp_ne_u32_e64 s[12:13], 0, v8
	v_mul_u32_u24_e32 v34, 36, v33
	v_add_u32_e32 v22, v22, v34
	v_xor_b32_e32 v10, s12, v10
	v_xor_b32_e32 v8, s13, v11
	v_and_b32_e32 v35, exec_lo, v10
	v_lshlrev_b32_e32 v11, 30, v33
	v_mov_b32_e32 v10, v9
	v_cmp_gt_i64_e64 s[12:13], 0, v[10:11]
	v_not_b32_e32 v10, v11
	v_ashrrev_i32_e32 v10, 31, v10
	v_and_b32_e32 v8, exec_hi, v8
	v_xor_b32_e32 v11, s13, v10
	v_xor_b32_e32 v10, s12, v10
	v_and_b32_e32 v8, v8, v11
	v_and_b32_e32 v35, v35, v10
	v_lshlrev_b32_e32 v11, 29, v33
	v_mov_b32_e32 v10, v9
	v_cmp_gt_i64_e64 s[12:13], 0, v[10:11]
	v_not_b32_e32 v10, v11
	v_ashrrev_i32_e32 v10, 31, v10
	v_xor_b32_e32 v11, s13, v10
	v_xor_b32_e32 v10, s12, v10
	v_and_b32_e32 v8, v8, v11
	v_and_b32_e32 v35, v35, v10
	v_lshlrev_b32_e32 v11, 28, v33
	v_mov_b32_e32 v10, v9
	v_cmp_gt_i64_e64 s[12:13], 0, v[10:11]
	v_not_b32_e32 v10, v11
	v_ashrrev_i32_e32 v10, 31, v10
	;; [unrolled: 9-line block ×5, first 2 shown]
	v_xor_b32_e32 v11, s13, v10
	v_xor_b32_e32 v10, s12, v10
	v_and_b32_e32 v8, v8, v11
	v_lshlrev_b32_e32 v11, 24, v33
	v_and_b32_e32 v35, v35, v10
	v_mov_b32_e32 v10, v9
	v_not_b32_e32 v9, v11
	v_cmp_gt_i64_e64 s[12:13], 0, v[10:11]
	v_ashrrev_i32_e32 v9, 31, v9
	s_nop 0
	v_xor_b32_e32 v10, s13, v9
	v_xor_b32_e32 v11, s12, v9
	v_and_b32_e32 v9, v8, v10
	v_and_b32_e32 v8, v35, v11
	v_mbcnt_lo_u32_b32 v10, v8, 0
	v_mbcnt_hi_u32_b32 v33, v9, v10
	v_cmp_eq_u32_e64 s[12:13], 0, v33
	v_cmp_ne_u64_e64 s[14:15], 0, v[8:9]
	s_and_b64 s[14:15], s[14:15], s[12:13]
	; wave barrier
	s_and_saveexec_b64 s[12:13], s[14:15]
	s_cbranch_execz .LBB49_25
; %bb.24:
	v_bcnt_u32_b32 v8, v8, 0
	v_bcnt_u32_b32 v8, v9, v8
	s_waitcnt lgkmcnt(0)
	v_add_u32_e32 v8, v32, v8
	ds_write_b32 v22, v8 offset:32
.LBB49_25:
	s_or_b64 exec, exec, s[12:13]
	; wave barrier
	s_waitcnt lgkmcnt(0)
	s_barrier
	ds_read2_b32 v[10:11], v12 offset0:8 offset1:9
	ds_read2_b32 v[8:9], v12 offset0:10 offset1:11
	ds_read_b32 v34, v12 offset:48
	v_min_u32_e32 v3, 0x1c0, v3
	v_or_b32_e32 v3, 63, v3
	s_waitcnt lgkmcnt(1)
	v_add3_u32 v35, v11, v10, v8
	s_waitcnt lgkmcnt(0)
	v_add3_u32 v34, v35, v9, v34
	v_and_b32_e32 v35, 15, v6
	v_cmp_ne_u32_e64 s[12:13], 0, v35
	v_mov_b32_dpp v36, v34 row_shr:1 row_mask:0xf bank_mask:0xf
	s_nop 0
	v_cndmask_b32_e64 v36, 0, v36, s[12:13]
	v_add_u32_e32 v34, v36, v34
	v_cmp_lt_u32_e64 s[12:13], 1, v35
	s_nop 0
	v_mov_b32_dpp v36, v34 row_shr:2 row_mask:0xf bank_mask:0xf
	v_cndmask_b32_e64 v36, 0, v36, s[12:13]
	v_add_u32_e32 v34, v34, v36
	v_cmp_lt_u32_e64 s[12:13], 3, v35
	s_nop 0
	v_mov_b32_dpp v36, v34 row_shr:4 row_mask:0xf bank_mask:0xf
	;; [unrolled: 5-line block ×3, first 2 shown]
	v_cndmask_b32_e64 v35, 0, v36, s[12:13]
	v_add_u32_e32 v34, v34, v35
	v_bfe_i32 v36, v6, 4, 1
	v_cmp_lt_u32_e64 s[12:13], 31, v6
	v_mov_b32_dpp v35, v34 row_bcast:15 row_mask:0xf bank_mask:0xf
	v_and_b32_e32 v35, v36, v35
	v_add_u32_e32 v34, v34, v35
	s_nop 1
	v_mov_b32_dpp v35, v34 row_bcast:31 row_mask:0xf bank_mask:0xf
	v_cndmask_b32_e64 v35, 0, v35, s[12:13]
	v_add_u32_e32 v34, v34, v35
	v_lshrrev_b32_e32 v35, 6, v2
	v_cmp_eq_u32_e64 s[12:13], v2, v3
	s_and_saveexec_b64 s[14:15], s[12:13]
; %bb.26:
	v_lshlrev_b32_e32 v3, 2, v35
	ds_write_b32 v3, v34
; %bb.27:
	s_or_b64 exec, exec, s[14:15]
	v_cmp_gt_u32_e64 s[12:13], 8, v2
	s_waitcnt lgkmcnt(0)
	s_barrier
	s_and_saveexec_b64 s[14:15], s[12:13]
	s_cbranch_execz .LBB49_29
; %bb.28:
	v_lshlrev_b32_e32 v3, 2, v2
	ds_read_b32 v36, v3
	v_and_b32_e32 v37, 7, v6
	v_cmp_ne_u32_e64 s[12:13], 0, v37
	s_waitcnt lgkmcnt(0)
	v_mov_b32_dpp v38, v36 row_shr:1 row_mask:0xf bank_mask:0xf
	v_cndmask_b32_e64 v38, 0, v38, s[12:13]
	v_add_u32_e32 v36, v38, v36
	v_cmp_lt_u32_e64 s[12:13], 1, v37
	s_nop 0
	v_mov_b32_dpp v38, v36 row_shr:2 row_mask:0xf bank_mask:0xf
	v_cndmask_b32_e64 v38, 0, v38, s[12:13]
	v_add_u32_e32 v36, v36, v38
	v_cmp_lt_u32_e64 s[12:13], 3, v37
	s_nop 0
	v_mov_b32_dpp v38, v36 row_shr:4 row_mask:0xf bank_mask:0xf
	v_cndmask_b32_e64 v37, 0, v38, s[12:13]
	v_add_u32_e32 v36, v36, v37
	ds_write_b32 v3, v36
.LBB49_29:
	s_or_b64 exec, exec, s[14:15]
	v_cmp_lt_u32_e64 s[12:13], 63, v2
	v_mov_b32_e32 v3, 0
	s_waitcnt lgkmcnt(0)
	s_barrier
	s_and_saveexec_b64 s[14:15], s[12:13]
; %bb.30:
	v_lshl_add_u32 v3, v35, 2, -4
	ds_read_b32 v3, v3
; %bb.31:
	s_or_b64 exec, exec, s[14:15]
	v_add_u32_e32 v35, -1, v6
	v_and_b32_e32 v36, 64, v6
	v_cmp_lt_i32_e64 s[12:13], v35, v36
	s_waitcnt lgkmcnt(0)
	v_add_u32_e32 v34, v3, v34
	s_movk_i32 s16, 0x100
	v_cndmask_b32_e64 v35, v35, v6, s[12:13]
	v_lshlrev_b32_e32 v35, 2, v35
	ds_bpermute_b32 v34, v35, v34
	v_cmp_eq_u32_e64 s[12:13], 0, v6
	v_cmp_gt_u32_e64 s[14:15], s16, v2
	s_waitcnt lgkmcnt(0)
	v_cndmask_b32_e64 v3, v34, v3, s[12:13]
	v_cmp_ne_u32_e64 s[12:13], 0, v2
	s_nop 1
	v_cndmask_b32_e64 v3, 0, v3, s[12:13]
	v_add_u32_e32 v10, v3, v10
	v_add_u32_e32 v11, v10, v11
	;; [unrolled: 1-line block ×4, first 2 shown]
	ds_write2_b32 v12, v3, v10 offset0:8 offset1:9
	ds_write2_b32 v12, v11, v8 offset0:10 offset1:11
	ds_write_b32 v12, v9 offset:48
	s_waitcnt lgkmcnt(0)
	s_barrier
	ds_read_b32 v3, v17 offset:32
	ds_read_b32 v11, v23 offset:32
	;; [unrolled: 1-line block ×6, first 2 shown]
	s_movk_i32 s12, 0xff
	v_cmp_lt_u32_e64 s[12:13], s12, v2
	v_mov_b64_e32 v[8:9], 0
                                        ; implicit-def: $vgpr10
	s_and_saveexec_b64 s[18:19], s[14:15]
	s_cbranch_execz .LBB49_35
; %bb.32:
	v_mul_u32_u24_e32 v8, 36, v2
	ds_read_b32 v8, v8 offset:32
	v_add_u32_e32 v10, 1, v2
	v_cmp_ne_u32_e64 s[16:17], s16, v10
	v_mov_b32_e32 v9, 0xc00
	s_and_saveexec_b64 s[20:21], s[16:17]
; %bb.33:
	v_mul_u32_u24_e32 v9, 36, v10
	ds_read_b32 v9, v9 offset:32
; %bb.34:
	s_or_b64 exec, exec, s[20:21]
	s_waitcnt lgkmcnt(0)
	v_sub_u32_e32 v10, v9, v8
	v_mov_b32_e32 v9, 0
.LBB49_35:
	s_or_b64 exec, exec, s[18:19]
	s_waitcnt lgkmcnt(5)
	v_add_u32_e32 v28, v3, v13
	v_mov_b32_e32 v13, 0
	s_waitcnt lgkmcnt(4)
	v_add3_u32 v27, v18, v16, v11
	s_waitcnt lgkmcnt(3)
	v_add3_u32 v26, v24, v21, v12
	;; [unrolled: 2-line block ×5, first 2 shown]
	v_mov_b32_e32 v3, v13
	v_lshlrev_b32_e32 v11, 3, v2
	s_barrier
	ds_write_b8 v28, v5 offset:2048
	ds_write_b8 v27, v14 offset:2048
	;; [unrolled: 1-line block ×6, first 2 shown]
	s_waitcnt lgkmcnt(0)
	s_barrier
	s_and_saveexec_b64 s[16:17], s[14:15]
	s_cbranch_execz .LBB49_45
; %bb.36:
	v_lshl_add_u32 v12, s2, 8, v2
	v_lshl_add_u64 v[14:15], v[12:13], 2, s[48:49]
	v_or_b32_e32 v5, 2.0, v10
	global_store_dword v[14:15], v5, off sc1
	s_mov_b64 s[18:19], 0
	s_brev_b32 s24, -4
	s_mov_b32 s25, s2
	v_mov_b32_e32 v5, 0
                                        ; implicit-def: $sgpr14_sgpr15
	s_branch .LBB49_39
.LBB49_37:                              ;   in Loop: Header=BB49_39 Depth=1
	s_or_b64 exec, exec, s[22:23]
.LBB49_38:                              ;   in Loop: Header=BB49_39 Depth=1
	s_or_b64 exec, exec, s[20:21]
	v_and_b32_e32 v12, 0x3fffffff, v7
	v_add_u32_e32 v5, v12, v5
	v_cmp_gt_i32_e64 s[14:15], -2.0, v7
	s_and_b64 s[20:21], exec, s[14:15]
	s_or_b64 s[18:19], s[20:21], s[18:19]
	s_andn2_b64 exec, exec, s[18:19]
	s_cbranch_execz .LBB49_44
.LBB49_39:                              ; =>This Loop Header: Depth=1
                                        ;     Child Loop BB49_42 Depth 2
	s_or_b64 s[14:15], s[14:15], exec
	s_cmp_eq_u32 s25, 0
	s_cbranch_scc1 .LBB49_43
; %bb.40:                               ;   in Loop: Header=BB49_39 Depth=1
	s_add_i32 s25, s25, -1
	v_lshl_or_b32 v12, s25, 8, v2
	v_lshl_add_u64 v[16:17], v[12:13], 2, s[48:49]
	global_load_dword v7, v[16:17], off sc1
	s_waitcnt vmcnt(0)
	v_cmp_gt_u32_e64 s[14:15], 2.0, v7
	s_and_saveexec_b64 s[20:21], s[14:15]
	s_cbranch_execz .LBB49_38
; %bb.41:                               ;   in Loop: Header=BB49_39 Depth=1
	s_mov_b64 s[22:23], 0
.LBB49_42:                              ;   Parent Loop BB49_39 Depth=1
                                        ; =>  This Inner Loop Header: Depth=2
	global_load_dword v7, v[16:17], off sc1
	s_waitcnt vmcnt(0)
	v_cmp_lt_u32_e64 s[14:15], s24, v7
	s_or_b64 s[22:23], s[14:15], s[22:23]
	s_andn2_b64 exec, exec, s[22:23]
	s_cbranch_execnz .LBB49_42
	s_branch .LBB49_37
.LBB49_43:                              ;   in Loop: Header=BB49_39 Depth=1
                                        ; implicit-def: $sgpr25
	s_and_b64 s[20:21], exec, s[14:15]
	s_or_b64 s[18:19], s[20:21], s[18:19]
	s_andn2_b64 exec, exec, s[18:19]
	s_cbranch_execnz .LBB49_39
.LBB49_44:
	s_or_b64 exec, exec, s[18:19]
	v_add_u32_e32 v12, v5, v10
	v_or_b32_e32 v12, 0x80000000, v12
	v_lshlrev_b32_e32 v7, 3, v2
	global_store_dword v[14:15], v12, off sc1
	global_load_dwordx2 v[12:13], v7, s[28:29]
	v_sub_co_u32_e64 v14, s[14:15], v5, v8
	s_nop 1
	v_subb_co_u32_e64 v15, s[14:15], 0, v9, s[14:15]
	s_waitcnt vmcnt(0)
	v_lshl_add_u64 v[12:13], v[14:15], 0, v[12:13]
	ds_write_b64 v11, v[12:13]
.LBB49_45:
	s_or_b64 exec, exec, s[16:17]
	v_cmp_gt_u32_e64 s[14:15], s33, v2
	s_waitcnt lgkmcnt(0)
	s_barrier
	s_and_saveexec_b64 s[16:17], s[14:15]
	s_cbranch_execz .LBB49_47
; %bb.46:
	ds_read_u8 v5, v2 offset:2048
	s_waitcnt lgkmcnt(0)
	v_lshrrev_b32_sdwa v7, s44, v5 dst_sel:DWORD dst_unused:UNUSED_PAD src0_sel:DWORD src1_sel:BYTE_0
	v_and_b32_e32 v7, s50, v7
	v_lshlrev_b32_e32 v7, 3, v7
	ds_read_b64 v[12:13], v7
	v_xor_b32_e32 v5, 0x80, v5
	s_waitcnt lgkmcnt(0)
	v_lshl_add_u64 v[12:13], s[38:39], 0, v[12:13]
	v_lshl_add_u64 v[12:13], v[12:13], 0, v[2:3]
	global_store_byte v[12:13], v5, off
.LBB49_47:
	s_or_b64 exec, exec, s[16:17]
	v_add_u32_e32 v25, 0x200, v2
	v_cmp_gt_u32_e64 s[16:17], s33, v25
	s_and_saveexec_b64 s[18:19], s[16:17]
	s_cbranch_execz .LBB49_49
; %bb.48:
	ds_read_u8 v5, v2 offset:2560
	s_waitcnt lgkmcnt(0)
	v_lshrrev_b32_sdwa v7, s44, v5 dst_sel:DWORD dst_unused:UNUSED_PAD src0_sel:DWORD src1_sel:BYTE_0
	v_and_b32_e32 v7, s50, v7
	v_lshlrev_b32_e32 v7, 3, v7
	ds_read_b64 v[12:13], v7
	v_xor_b32_e32 v5, 0x80, v5
	s_waitcnt lgkmcnt(0)
	v_lshl_add_u64 v[12:13], s[38:39], 0, v[12:13]
	v_lshl_add_u64 v[12:13], v[12:13], 0, v[2:3]
	global_store_byte v[12:13], v5, off offset:512
.LBB49_49:
	s_or_b64 exec, exec, s[18:19]
	v_or_b32_e32 v29, 0x400, v2
	v_cmp_gt_u32_e64 s[18:19], s33, v29
	s_and_saveexec_b64 s[20:21], s[18:19]
	s_cbranch_execz .LBB49_51
; %bb.50:
	ds_read_u8 v5, v2 offset:3072
	s_waitcnt lgkmcnt(0)
	v_lshrrev_b32_sdwa v7, s44, v5 dst_sel:DWORD dst_unused:UNUSED_PAD src0_sel:DWORD src1_sel:BYTE_0
	v_and_b32_e32 v7, s50, v7
	v_lshlrev_b32_e32 v7, 3, v7
	ds_read_b64 v[12:13], v7
	v_xor_b32_e32 v5, 0x80, v5
	s_waitcnt lgkmcnt(0)
	v_lshl_add_u64 v[12:13], s[38:39], 0, v[12:13]
	v_lshl_add_u64 v[12:13], v[12:13], 0, v[2:3]
	global_store_byte v[12:13], v5, off offset:1024
.LBB49_51:
	s_or_b64 exec, exec, s[20:21]
	v_add_u32_e32 v30, 0x600, v2
	v_cmp_gt_u32_e64 s[20:21], s33, v30
	s_and_saveexec_b64 s[22:23], s[20:21]
	s_cbranch_execz .LBB49_53
; %bb.52:
	ds_read_u8 v5, v2 offset:3584
	s_waitcnt lgkmcnt(0)
	v_lshrrev_b32_sdwa v7, s44, v5 dst_sel:DWORD dst_unused:UNUSED_PAD src0_sel:DWORD src1_sel:BYTE_0
	v_and_b32_e32 v7, s50, v7
	v_lshlrev_b32_e32 v7, 3, v7
	ds_read_b64 v[12:13], v7
	v_xor_b32_e32 v5, 0x80, v5
	s_waitcnt lgkmcnt(0)
	v_lshl_add_u64 v[12:13], s[38:39], 0, v[12:13]
	v_lshl_add_u64 v[12:13], v[12:13], 0, v[2:3]
	global_store_byte v[12:13], v5, off offset:1536
.LBB49_53:
	s_or_b64 exec, exec, s[22:23]
	v_or_b32_e32 v31, 0x800, v2
	v_cmp_gt_u32_e64 s[22:23], s33, v31
	s_and_saveexec_b64 s[24:25], s[22:23]
	s_cbranch_execz .LBB49_55
; %bb.54:
	ds_read_u8 v5, v2 offset:4096
	s_waitcnt lgkmcnt(0)
	v_lshrrev_b32_sdwa v7, s44, v5 dst_sel:DWORD dst_unused:UNUSED_PAD src0_sel:DWORD src1_sel:BYTE_0
	v_and_b32_e32 v7, s50, v7
	v_lshlrev_b32_e32 v7, 3, v7
	ds_read_b64 v[12:13], v7
	v_xor_b32_e32 v5, 0x80, v5
	s_waitcnt lgkmcnt(0)
	v_lshl_add_u64 v[12:13], s[38:39], 0, v[12:13]
	v_lshl_add_u64 v[12:13], v[12:13], 0, v[2:3]
	global_store_byte v[12:13], v5, off offset:2048
.LBB49_55:
	s_or_b64 exec, exec, s[24:25]
	v_add_u32_e32 v32, 0xa00, v2
	v_cmp_gt_u32_e64 s[24:25], s33, v32
	s_and_saveexec_b64 s[46:47], s[24:25]
	s_cbranch_execz .LBB49_57
; %bb.56:
	ds_read_u8 v5, v2 offset:4608
	s_waitcnt lgkmcnt(0)
	v_lshrrev_b32_sdwa v7, s44, v5 dst_sel:DWORD dst_unused:UNUSED_PAD src0_sel:DWORD src1_sel:BYTE_0
	v_and_b32_e32 v7, s50, v7
	v_lshlrev_b32_e32 v7, 3, v7
	ds_read_b64 v[12:13], v7
	v_xor_b32_e32 v5, 0x80, v5
	s_waitcnt lgkmcnt(0)
	v_lshl_add_u64 v[12:13], s[38:39], 0, v[12:13]
	v_lshl_add_u64 v[12:13], v[12:13], 0, v[2:3]
	global_store_byte v[12:13], v5, off offset:2560
.LBB49_57:
	s_or_b64 exec, exec, s[46:47]
	s_lshl_b64 s[46:47], s[34:35], 3
	s_add_u32 s46, s40, s46
	s_addc_u32 s47, s41, s47
	v_lshlrev_b32_e32 v6, 3, v6
	v_mov_b32_e32 v7, 0
	v_lshl_add_u64 v[12:13], s[46:47], 0, v[6:7]
	v_lshlrev_b32_e32 v6, 3, v4
	v_lshl_add_u64 v[20:21], v[12:13], 0, v[6:7]
                                        ; implicit-def: $vgpr4_vgpr5
	s_and_saveexec_b64 s[46:47], vcc
	s_xor_b64 s[46:47], exec, s[46:47]
	s_cbranch_execz .LBB49_63
; %bb.58:
	global_load_dwordx2 v[4:5], v[20:21], off
	s_or_b64 exec, exec, s[46:47]
                                        ; implicit-def: $vgpr6_vgpr7
	s_and_saveexec_b64 s[46:47], s[26:27]
	s_cbranch_execnz .LBB49_64
.LBB49_59:
	s_or_b64 exec, exec, s[46:47]
                                        ; implicit-def: $vgpr12_vgpr13
	s_and_saveexec_b64 s[26:27], s[4:5]
	s_cbranch_execz .LBB49_65
.LBB49_60:
	global_load_dwordx2 v[12:13], v[20:21], off offset:1024
	s_or_b64 exec, exec, s[26:27]
                                        ; implicit-def: $vgpr14_vgpr15
	s_and_saveexec_b64 s[4:5], s[6:7]
	s_cbranch_execnz .LBB49_66
.LBB49_61:
	s_or_b64 exec, exec, s[4:5]
                                        ; implicit-def: $vgpr16_vgpr17
	s_and_saveexec_b64 s[4:5], s[8:9]
	s_cbranch_execz .LBB49_67
.LBB49_62:
	global_load_dwordx2 v[16:17], v[20:21], off offset:2048
	s_or_b64 exec, exec, s[4:5]
                                        ; implicit-def: $vgpr18_vgpr19
	s_and_saveexec_b64 s[4:5], s[10:11]
	s_cbranch_execnz .LBB49_68
	s_branch .LBB49_69
.LBB49_63:
	s_or_b64 exec, exec, s[46:47]
                                        ; implicit-def: $vgpr6_vgpr7
	s_and_saveexec_b64 s[46:47], s[26:27]
	s_cbranch_execz .LBB49_59
.LBB49_64:
	global_load_dwordx2 v[6:7], v[20:21], off offset:512
	s_or_b64 exec, exec, s[46:47]
                                        ; implicit-def: $vgpr12_vgpr13
	s_and_saveexec_b64 s[26:27], s[4:5]
	s_cbranch_execnz .LBB49_60
.LBB49_65:
	s_or_b64 exec, exec, s[26:27]
                                        ; implicit-def: $vgpr14_vgpr15
	s_and_saveexec_b64 s[4:5], s[6:7]
	s_cbranch_execz .LBB49_61
.LBB49_66:
	global_load_dwordx2 v[14:15], v[20:21], off offset:1536
	s_or_b64 exec, exec, s[4:5]
                                        ; implicit-def: $vgpr16_vgpr17
	s_and_saveexec_b64 s[4:5], s[8:9]
	s_cbranch_execnz .LBB49_62
.LBB49_67:
	s_or_b64 exec, exec, s[4:5]
                                        ; implicit-def: $vgpr18_vgpr19
	s_and_saveexec_b64 s[4:5], s[10:11]
	s_cbranch_execz .LBB49_69
.LBB49_68:
	global_load_dwordx2 v[18:19], v[20:21], off offset:2560
.LBB49_69:
	s_or_b64 exec, exec, s[4:5]
	v_mov_b32_e32 v34, 0
	v_mov_b32_e32 v3, 0
	s_and_saveexec_b64 s[4:5], s[14:15]
	s_cbranch_execz .LBB49_71
; %bb.70:
	ds_read_u8 v3, v2 offset:2048
	s_waitcnt lgkmcnt(0)
	v_lshrrev_b32_e32 v3, s44, v3
	v_and_b32_e32 v3, s50, v3
.LBB49_71:
	s_or_b64 exec, exec, s[4:5]
	s_and_saveexec_b64 s[4:5], s[16:17]
	s_cbranch_execz .LBB49_73
; %bb.72:
	ds_read_u8 v20, v2 offset:2560
	s_waitcnt lgkmcnt(0)
	v_lshrrev_b32_e32 v20, s44, v20
	v_and_b32_e32 v34, s50, v20
.LBB49_73:
	s_or_b64 exec, exec, s[4:5]
	v_mov_b32_e32 v21, 0
	v_mov_b32_e32 v35, 0
	s_and_saveexec_b64 s[4:5], s[18:19]
	s_cbranch_execz .LBB49_75
; %bb.74:
	ds_read_u8 v20, v2 offset:3072
	s_waitcnt lgkmcnt(0)
	v_lshrrev_b32_e32 v20, s44, v20
	v_and_b32_e32 v35, s50, v20
.LBB49_75:
	s_or_b64 exec, exec, s[4:5]
	s_and_saveexec_b64 s[4:5], s[20:21]
	s_cbranch_execz .LBB49_77
; %bb.76:
	ds_read_u8 v20, v2 offset:3584
	s_waitcnt lgkmcnt(0)
	v_lshrrev_b32_e32 v20, s44, v20
	v_and_b32_e32 v21, s50, v20
.LBB49_77:
	;; [unrolled: 20-line block ×3, first 2 shown]
	s_or_b64 exec, exec, s[4:5]
	v_lshlrev_b32_e32 v28, 3, v28
	s_barrier
	s_waitcnt vmcnt(0)
	ds_write_b64 v28, v[4:5] offset:2048
	v_lshlrev_b32_e32 v4, 3, v27
	ds_write_b64 v4, v[6:7] offset:2048
	v_lshlrev_b32_e32 v4, 3, v26
	;; [unrolled: 2-line block ×5, first 2 shown]
	v_lshlrev_b32_e32 v2, 3, v2
	ds_write_b64 v4, v[18:19] offset:2048
	s_waitcnt lgkmcnt(0)
	s_barrier
	s_and_saveexec_b64 s[4:5], s[14:15]
	s_cbranch_execz .LBB49_87
; %bb.82:
	v_lshlrev_b32_e32 v3, 3, v3
	ds_read_b64 v[4:5], v3
	ds_read_b64 v[6:7], v11 offset:2048
	v_mov_b32_e32 v3, 0
	s_waitcnt lgkmcnt(1)
	v_lshl_add_u64 v[4:5], v[4:5], 3, s[42:43]
	v_lshl_add_u64 v[4:5], v[4:5], 0, v[2:3]
	s_waitcnt lgkmcnt(0)
	global_store_dwordx2 v[4:5], v[6:7], off
	s_or_b64 exec, exec, s[4:5]
	s_and_saveexec_b64 s[4:5], s[16:17]
	s_cbranch_execnz .LBB49_88
.LBB49_83:
	s_or_b64 exec, exec, s[4:5]
	s_and_saveexec_b64 s[4:5], s[18:19]
	s_cbranch_execz .LBB49_89
.LBB49_84:
	v_lshlrev_b32_e32 v3, 3, v35
	ds_read_b64 v[4:5], v3
	ds_read_b64 v[6:7], v11 offset:10240
	v_lshlrev_b32_e32 v12, 3, v29
	v_mov_b32_e32 v13, 0
	s_waitcnt lgkmcnt(1)
	v_lshl_add_u64 v[4:5], v[4:5], 3, s[42:43]
	v_lshl_add_u64 v[4:5], v[4:5], 0, v[12:13]
	s_waitcnt lgkmcnt(0)
	global_store_dwordx2 v[4:5], v[6:7], off
	s_or_b64 exec, exec, s[4:5]
	s_and_saveexec_b64 s[4:5], s[20:21]
	s_cbranch_execnz .LBB49_90
.LBB49_85:
	s_or_b64 exec, exec, s[4:5]
	s_and_saveexec_b64 s[4:5], s[22:23]
	s_cbranch_execz .LBB49_91
.LBB49_86:
	v_lshlrev_b32_e32 v3, 3, v33
	ds_read_b64 v[4:5], v3
	ds_read_b64 v[6:7], v11 offset:18432
	v_lshlrev_b32_e32 v12, 3, v31
	v_mov_b32_e32 v13, 0
	s_waitcnt lgkmcnt(1)
	v_lshl_add_u64 v[4:5], v[4:5], 3, s[42:43]
	v_lshl_add_u64 v[4:5], v[4:5], 0, v[12:13]
	s_waitcnt lgkmcnt(0)
	global_store_dwordx2 v[4:5], v[6:7], off
	s_or_b64 exec, exec, s[4:5]
	s_and_saveexec_b64 s[4:5], s[24:25]
	s_cbranch_execnz .LBB49_92
	s_branch .LBB49_93
.LBB49_87:
	s_or_b64 exec, exec, s[4:5]
	s_and_saveexec_b64 s[4:5], s[16:17]
	s_cbranch_execz .LBB49_83
.LBB49_88:
	v_lshlrev_b32_e32 v3, 3, v34
	ds_read_b64 v[4:5], v3
	ds_read_b64 v[6:7], v11 offset:6144
	v_lshlrev_b32_e32 v12, 3, v25
	v_mov_b32_e32 v13, 0
	s_waitcnt lgkmcnt(1)
	v_lshl_add_u64 v[4:5], v[4:5], 3, s[42:43]
	v_lshl_add_u64 v[4:5], v[4:5], 0, v[12:13]
	s_waitcnt lgkmcnt(0)
	global_store_dwordx2 v[4:5], v[6:7], off
	s_or_b64 exec, exec, s[4:5]
	s_and_saveexec_b64 s[4:5], s[18:19]
	s_cbranch_execnz .LBB49_84
.LBB49_89:
	s_or_b64 exec, exec, s[4:5]
	s_and_saveexec_b64 s[4:5], s[20:21]
	s_cbranch_execz .LBB49_85
.LBB49_90:
	v_lshlrev_b32_e32 v3, 3, v21
	ds_read_b64 v[4:5], v3
	ds_read_b64 v[6:7], v11 offset:14336
	v_lshlrev_b32_e32 v12, 3, v30
	v_mov_b32_e32 v13, 0
	s_waitcnt lgkmcnt(1)
	v_lshl_add_u64 v[4:5], v[4:5], 3, s[42:43]
	v_lshl_add_u64 v[4:5], v[4:5], 0, v[12:13]
	s_waitcnt lgkmcnt(0)
	global_store_dwordx2 v[4:5], v[6:7], off
	s_or_b64 exec, exec, s[4:5]
	s_and_saveexec_b64 s[4:5], s[22:23]
	s_cbranch_execnz .LBB49_86
.LBB49_91:
	s_or_b64 exec, exec, s[4:5]
	s_and_saveexec_b64 s[4:5], s[24:25]
	s_cbranch_execz .LBB49_93
.LBB49_92:
	v_lshlrev_b32_e32 v3, 3, v20
	ds_read_b64 v[4:5], v3
	ds_read_b64 v[6:7], v11 offset:22528
	v_lshlrev_b32_e32 v12, 3, v32
	v_mov_b32_e32 v13, 0
	s_waitcnt lgkmcnt(1)
	v_lshl_add_u64 v[4:5], v[4:5], 3, s[42:43]
	v_lshl_add_u64 v[4:5], v[4:5], 0, v[12:13]
	s_waitcnt lgkmcnt(0)
	global_store_dwordx2 v[4:5], v[6:7], off
.LBB49_93:
	s_or_b64 exec, exec, s[4:5]
	s_add_i32 s3, s3, -1
	s_cmp_eq_u32 s2, s3
	s_cselect_b64 s[4:5], -1, 0
	s_xor_b64 s[6:7], s[12:13], -1
	s_and_b64 s[6:7], s[6:7], s[4:5]
	s_and_saveexec_b64 s[4:5], s[6:7]
	s_cbranch_execz .LBB49_95
; %bb.94:
	ds_read_b64 v[4:5], v11
	v_mov_b32_e32 v11, 0
	v_lshl_add_u64 v[6:7], v[8:9], 0, v[10:11]
	s_waitcnt lgkmcnt(0)
	v_lshl_add_u64 v[4:5], v[6:7], 0, v[4:5]
	global_store_dwordx2 v2, v[4:5], s[30:31]
.LBB49_95:
	s_or_b64 exec, exec, s[4:5]
	s_mov_b64 s[4:5], 0
.LBB49_96:
	s_and_b64 vcc, exec, s[4:5]
	s_cbranch_vccz .LBB49_131
; %bb.97:
	s_add_u32 s4, s36, s34
	s_addc_u32 s5, s37, 0
	v_mbcnt_hi_u32_b32 v6, -1, v1
	v_and_b32_e32 v10, 0x1c0, v0
	v_mov_b32_e32 v7, 0
	v_mul_u32_u24_e32 v4, 6, v10
	v_lshl_add_u64 v[2:3], s[4:5], 0, v[6:7]
	v_mov_b32_e32 v5, v7
	v_lshl_add_u64 v[12:13], v[2:3], 0, v[4:5]
	global_load_ubyte v5, v[12:13], off
	s_load_dword s4, s[0:1], 0x5c
	s_load_dword s3, s[0:1], 0x50
	s_add_u32 s0, s0, 0x50
	s_addc_u32 s1, s1, 0
	v_and_b32_e32 v2, 0x3ff, v0
	s_waitcnt lgkmcnt(0)
	s_lshr_b32 s4, s4, 16
	s_cmp_lt_u32 s2, s3
	s_cselect_b32 s5, 12, 18
	s_add_u32 s0, s0, s5
	s_addc_u32 s1, s1, 0
	global_load_ushort v11, v7, s[0:1]
	v_mul_u32_u24_e32 v3, 20, v2
	ds_write2_b32 v3, v7, v7 offset0:8 offset1:9
	ds_write2_b32 v3, v7, v7 offset0:10 offset1:11
	ds_write_b32 v3, v7 offset:48
	global_load_ubyte v9, v[12:13], off offset:64
	global_load_ubyte v8, v[12:13], off offset:128
	;; [unrolled: 1-line block ×5, first 2 shown]
	v_bfe_u32 v15, v0, 10, 10
	v_bfe_u32 v0, v0, 20, 10
	v_mad_u32_u24 v18, v0, s4, v15
	s_lshl_b32 s0, -1, s45
	v_mov_b32_e32 v1, v7
	v_mov_b32_e32 v14, v7
	;; [unrolled: 1-line block ×4, first 2 shown]
	s_not_b32 s12, s0
	v_mov_b32_e32 v26, v7
	v_mov_b32_e32 v28, v7
	s_mov_b32 s35, 0
	s_waitcnt lgkmcnt(0)
	s_barrier
	s_waitcnt vmcnt(6)
	; wave barrier
	v_xor_b32_e32 v5, 0x80, v5
	v_lshrrev_b32_e32 v0, s44, v5
	v_bitop3_b32 v20, v0, s0, v0 bitop3:0x30
	v_and_b32_e32 v0, 1, v20
	v_lshlrev_b32_e32 v15, 30, v20
	v_lshlrev_b32_e32 v17, 29, v20
	;; [unrolled: 1-line block ×3, first 2 shown]
	v_lshl_add_u64 v[12:13], v[0:1], 0, -1
	v_cmp_ne_u32_e32 vcc, 0, v0
	v_not_b32_e32 v0, v15
	v_not_b32_e32 v1, v17
	v_cmp_gt_i64_e64 s[0:1], 0, v[14:15]
	v_cmp_gt_i64_e64 s[4:5], 0, v[16:17]
	;; [unrolled: 1-line block ×3, first 2 shown]
	v_xor_b32_e32 v13, vcc_hi, v13
	v_xor_b32_e32 v12, vcc_lo, v12
	v_ashrrev_i32_e32 v17, 31, v0
	v_ashrrev_i32_e32 v22, 31, v1
	s_waitcnt vmcnt(5)
	v_mad_u64_u32 v[0:1], s[14:15], v18, v11, v[2:3]
	v_lshlrev_b32_e32 v27, 27, v20
	v_not_b32_e32 v14, v23
	v_and_b32_e32 v1, exec_hi, v13
	v_and_b32_e32 v11, exec_lo, v12
	v_xor_b32_e32 v12, s1, v17
	v_xor_b32_e32 v13, s0, v17
	v_lshlrev_b32_e32 v29, 26, v20
	v_not_b32_e32 v15, v27
	v_ashrrev_i32_e32 v14, 31, v14
	v_xor_b32_e32 v18, s5, v22
	v_xor_b32_e32 v22, s4, v22
	v_lshrrev_b32_e32 v0, 4, v0
	v_and_b32_e32 v1, v1, v12
	v_and_b32_e32 v11, v11, v13
	v_cmp_gt_i64_e64 s[8:9], 0, v[26:27]
	v_not_b32_e32 v16, v29
	v_ashrrev_i32_e32 v15, 31, v15
	v_xor_b32_e32 v23, s7, v14
	v_xor_b32_e32 v14, s6, v14
	v_and_b32_e32 v17, 0xffffffc, v0
	v_and_b32_e32 v0, v1, v18
	;; [unrolled: 1-line block ×3, first 2 shown]
	v_cmp_gt_i64_e64 s[10:11], 0, v[28:29]
	v_xor_b32_e32 v26, s9, v15
	v_xor_b32_e32 v15, s8, v15
	v_and_b32_e32 v0, v0, v23
	v_and_b32_e32 v1, v1, v14
	v_ashrrev_i32_e32 v11, 31, v16
	v_and_b32_e32 v0, v0, v26
	v_and_b32_e32 v1, v1, v15
	v_xor_b32_e32 v12, s11, v11
	v_xor_b32_e32 v11, s10, v11
	v_and_b32_e32 v12, v0, v12
	v_and_b32_e32 v11, v1, v11
	v_lshlrev_b32_e32 v1, 25, v20
	v_mov_b32_e32 v0, v7
	v_cmp_gt_i64_e32 vcc, 0, v[0:1]
	v_not_b32_e32 v0, v1
	v_ashrrev_i32_e32 v0, 31, v0
	v_xor_b32_e32 v1, vcc_hi, v0
	v_xor_b32_e32 v0, vcc_lo, v0
	v_and_b32_e32 v12, v12, v1
	v_and_b32_e32 v11, v11, v0
	v_lshlrev_b32_e32 v1, 24, v20
	v_mov_b32_e32 v0, v7
	v_cmp_gt_i64_e32 vcc, 0, v[0:1]
	v_not_b32_e32 v0, v1
	v_ashrrev_i32_e32 v0, 31, v0
	v_xor_b32_e32 v1, vcc_hi, v0
	v_xor_b32_e32 v0, vcc_lo, v0
	v_and_b32_e32 v0, v11, v0
	v_and_b32_e32 v1, v12, v1
	v_mbcnt_lo_u32_b32 v11, v0, 0
	v_mbcnt_hi_u32_b32 v11, v1, v11
	v_mul_u32_u24_e32 v25, 36, v20
	v_cmp_eq_u32_e32 vcc, 0, v11
	v_cmp_ne_u64_e64 s[0:1], 0, v[0:1]
	s_and_b64 s[4:5], s[0:1], vcc
	v_add_u32_e32 v14, v17, v25
	s_and_saveexec_b64 s[0:1], s[4:5]
; %bb.98:
	v_bcnt_u32_b32 v0, v0, 0
	v_bcnt_u32_b32 v0, v1, v0
	ds_write_b32 v14, v0 offset:32
; %bb.99:
	s_or_b64 exec, exec, s[0:1]
	s_waitcnt vmcnt(4)
	v_xor_b32_e32 v12, 0xffffff80, v9
	v_lshrrev_b32_sdwa v0, s44, v12 dst_sel:DWORD dst_unused:UNUSED_PAD src0_sel:DWORD src1_sel:BYTE_0
	v_and_b32_e32 v9, s12, v0
	v_mad_u32_u24 v0, v9, 36, v17
	; wave barrier
	ds_read_b32 v13, v0 offset:32
	v_and_b32_e32 v0, 1, v9
	v_mov_b32_e32 v1, v7
	v_lshl_add_u64 v[22:23], v[0:1], 0, -1
	v_cmp_ne_u32_e32 vcc, 0, v0
	v_mul_u32_u24_e32 v15, 36, v9
	s_nop 0
	v_xor_b32_e32 v0, vcc_hi, v23
	v_xor_b32_e32 v1, vcc_lo, v22
	v_and_b32_e32 v16, exec_hi, v0
	v_and_b32_e32 v18, exec_lo, v1
	v_lshlrev_b32_e32 v1, 30, v9
	v_mov_b32_e32 v0, v7
	v_cmp_gt_i64_e32 vcc, 0, v[0:1]
	v_not_b32_e32 v0, v1
	v_ashrrev_i32_e32 v0, 31, v0
	v_xor_b32_e32 v1, vcc_hi, v0
	v_xor_b32_e32 v0, vcc_lo, v0
	v_and_b32_e32 v16, v16, v1
	v_and_b32_e32 v18, v18, v0
	v_lshlrev_b32_e32 v1, 29, v9
	v_mov_b32_e32 v0, v7
	v_cmp_gt_i64_e32 vcc, 0, v[0:1]
	v_not_b32_e32 v0, v1
	v_ashrrev_i32_e32 v0, 31, v0
	v_xor_b32_e32 v1, vcc_hi, v0
	v_xor_b32_e32 v0, vcc_lo, v0
	v_and_b32_e32 v16, v16, v1
	v_and_b32_e32 v18, v18, v0
	;; [unrolled: 9-line block ×7, first 2 shown]
	v_mbcnt_lo_u32_b32 v7, v0, 0
	v_mbcnt_hi_u32_b32 v7, v1, v7
	v_cmp_eq_u32_e32 vcc, 0, v7
	v_cmp_ne_u64_e64 s[0:1], 0, v[0:1]
	s_and_b64 s[4:5], s[0:1], vcc
	v_add_u32_e32 v18, v17, v15
	; wave barrier
	s_and_saveexec_b64 s[0:1], s[4:5]
	s_cbranch_execz .LBB49_101
; %bb.100:
	v_bcnt_u32_b32 v0, v0, 0
	v_bcnt_u32_b32 v0, v1, v0
	s_waitcnt lgkmcnt(0)
	v_add_u32_e32 v0, v13, v0
	ds_write_b32 v18, v0 offset:32
.LBB49_101:
	s_or_b64 exec, exec, s[0:1]
	s_waitcnt vmcnt(3)
	v_xor_b32_e32 v15, 0xffffff80, v8
	v_lshrrev_b32_sdwa v0, s44, v15 dst_sel:DWORD dst_unused:UNUSED_PAD src0_sel:DWORD src1_sel:BYTE_0
	v_and_b32_e32 v20, s12, v0
	v_mad_u32_u24 v0, v20, 36, v17
	; wave barrier
	ds_read_b32 v16, v0 offset:32
	v_and_b32_e32 v0, 1, v20
	v_mov_b32_e32 v1, 0
	v_lshl_add_u64 v[8:9], v[0:1], 0, -1
	v_cmp_ne_u32_e32 vcc, 0, v0
	v_mul_u32_u24_e32 v22, 36, v20
	s_nop 0
	v_xor_b32_e32 v8, vcc_lo, v8
	v_xor_b32_e32 v0, vcc_hi, v9
	v_and_b32_e32 v23, exec_lo, v8
	v_lshlrev_b32_e32 v9, 30, v20
	v_mov_b32_e32 v8, v1
	v_cmp_gt_i64_e32 vcc, 0, v[8:9]
	v_not_b32_e32 v8, v9
	v_ashrrev_i32_e32 v8, 31, v8
	v_and_b32_e32 v0, exec_hi, v0
	v_xor_b32_e32 v9, vcc_hi, v8
	v_xor_b32_e32 v8, vcc_lo, v8
	v_and_b32_e32 v0, v0, v9
	v_and_b32_e32 v23, v23, v8
	v_lshlrev_b32_e32 v9, 29, v20
	v_mov_b32_e32 v8, v1
	v_cmp_gt_i64_e32 vcc, 0, v[8:9]
	v_not_b32_e32 v8, v9
	v_ashrrev_i32_e32 v8, 31, v8
	v_xor_b32_e32 v9, vcc_hi, v8
	v_xor_b32_e32 v8, vcc_lo, v8
	v_and_b32_e32 v0, v0, v9
	v_and_b32_e32 v23, v23, v8
	v_lshlrev_b32_e32 v9, 28, v20
	v_mov_b32_e32 v8, v1
	v_cmp_gt_i64_e32 vcc, 0, v[8:9]
	v_not_b32_e32 v8, v9
	v_ashrrev_i32_e32 v8, 31, v8
	;; [unrolled: 9-line block ×6, first 2 shown]
	v_xor_b32_e32 v9, vcc_hi, v8
	v_xor_b32_e32 v8, vcc_lo, v8
	v_and_b32_e32 v8, v23, v8
	v_and_b32_e32 v9, v0, v9
	v_mbcnt_lo_u32_b32 v0, v8, 0
	v_mbcnt_hi_u32_b32 v20, v9, v0
	v_cmp_eq_u32_e32 vcc, 0, v20
	v_cmp_ne_u64_e64 s[0:1], 0, v[8:9]
	s_and_b64 s[4:5], s[0:1], vcc
	v_add_u32_e32 v23, v17, v22
	; wave barrier
	s_and_saveexec_b64 s[0:1], s[4:5]
	s_cbranch_execz .LBB49_103
; %bb.102:
	v_bcnt_u32_b32 v0, v8, 0
	v_bcnt_u32_b32 v0, v9, v0
	s_waitcnt lgkmcnt(0)
	v_add_u32_e32 v0, v16, v0
	ds_write_b32 v23, v0 offset:32
.LBB49_103:
	s_or_b64 exec, exec, s[0:1]
	s_waitcnt vmcnt(2)
	v_xor_b32_e32 v21, 0xffffff80, v21
	v_lshrrev_b32_sdwa v0, s44, v21 dst_sel:DWORD dst_unused:UNUSED_PAD src0_sel:DWORD src1_sel:BYTE_0
	v_and_b32_e32 v25, s12, v0
	v_mad_u32_u24 v0, v25, 36, v17
	; wave barrier
	ds_read_b32 v22, v0 offset:32
	v_and_b32_e32 v0, 1, v25
	v_lshl_add_u64 v[8:9], v[0:1], 0, -1
	v_cmp_ne_u32_e32 vcc, 0, v0
	v_mul_u32_u24_e32 v26, 36, v25
	s_nop 0
	v_xor_b32_e32 v8, vcc_lo, v8
	v_xor_b32_e32 v0, vcc_hi, v9
	v_and_b32_e32 v27, exec_lo, v8
	v_lshlrev_b32_e32 v9, 30, v25
	v_mov_b32_e32 v8, v1
	v_cmp_gt_i64_e32 vcc, 0, v[8:9]
	v_not_b32_e32 v8, v9
	v_ashrrev_i32_e32 v8, 31, v8
	v_and_b32_e32 v0, exec_hi, v0
	v_xor_b32_e32 v9, vcc_hi, v8
	v_xor_b32_e32 v8, vcc_lo, v8
	v_and_b32_e32 v0, v0, v9
	v_and_b32_e32 v27, v27, v8
	v_lshlrev_b32_e32 v9, 29, v25
	v_mov_b32_e32 v8, v1
	v_cmp_gt_i64_e32 vcc, 0, v[8:9]
	v_not_b32_e32 v8, v9
	v_ashrrev_i32_e32 v8, 31, v8
	v_xor_b32_e32 v9, vcc_hi, v8
	v_xor_b32_e32 v8, vcc_lo, v8
	v_and_b32_e32 v0, v0, v9
	v_and_b32_e32 v27, v27, v8
	v_lshlrev_b32_e32 v9, 28, v25
	v_mov_b32_e32 v8, v1
	v_cmp_gt_i64_e32 vcc, 0, v[8:9]
	v_not_b32_e32 v8, v9
	v_ashrrev_i32_e32 v8, 31, v8
	;; [unrolled: 9-line block ×5, first 2 shown]
	v_xor_b32_e32 v9, vcc_hi, v8
	v_xor_b32_e32 v8, vcc_lo, v8
	v_and_b32_e32 v0, v0, v9
	v_lshlrev_b32_e32 v9, 24, v25
	v_and_b32_e32 v27, v27, v8
	v_mov_b32_e32 v8, v1
	v_not_b32_e32 v1, v9
	v_cmp_gt_i64_e32 vcc, 0, v[8:9]
	v_ashrrev_i32_e32 v1, 31, v1
	; wave barrier
	s_nop 0
	v_xor_b32_e32 v8, vcc_hi, v1
	v_xor_b32_e32 v9, vcc_lo, v1
	v_and_b32_e32 v1, v0, v8
	v_and_b32_e32 v0, v27, v9
	v_mbcnt_lo_u32_b32 v8, v0, 0
	v_mbcnt_hi_u32_b32 v25, v1, v8
	v_cmp_eq_u32_e32 vcc, 0, v25
	v_cmp_ne_u64_e64 s[0:1], 0, v[0:1]
	s_and_b64 s[4:5], s[0:1], vcc
	v_add_u32_e32 v27, v17, v26
	s_and_saveexec_b64 s[0:1], s[4:5]
	s_cbranch_execz .LBB49_105
; %bb.104:
	v_bcnt_u32_b32 v0, v0, 0
	v_bcnt_u32_b32 v0, v1, v0
	s_waitcnt lgkmcnt(0)
	v_add_u32_e32 v0, v22, v0
	ds_write_b32 v27, v0 offset:32
.LBB49_105:
	s_or_b64 exec, exec, s[0:1]
	s_waitcnt vmcnt(1)
	v_xor_b32_e32 v24, 0xffffff80, v24
	v_lshrrev_b32_sdwa v0, s44, v24 dst_sel:DWORD dst_unused:UNUSED_PAD src0_sel:DWORD src1_sel:BYTE_0
	v_and_b32_e32 v28, s12, v0
	v_mad_u32_u24 v0, v28, 36, v17
	; wave barrier
	ds_read_b32 v26, v0 offset:32
	v_and_b32_e32 v0, 1, v28
	v_mov_b32_e32 v1, 0
	v_lshl_add_u64 v[8:9], v[0:1], 0, -1
	v_cmp_ne_u32_e32 vcc, 0, v0
	v_mul_u32_u24_e32 v29, 36, v28
	s_nop 0
	v_xor_b32_e32 v8, vcc_lo, v8
	v_xor_b32_e32 v0, vcc_hi, v9
	v_and_b32_e32 v30, exec_lo, v8
	v_lshlrev_b32_e32 v9, 30, v28
	v_mov_b32_e32 v8, v1
	v_cmp_gt_i64_e32 vcc, 0, v[8:9]
	v_not_b32_e32 v8, v9
	v_ashrrev_i32_e32 v8, 31, v8
	v_and_b32_e32 v0, exec_hi, v0
	v_xor_b32_e32 v9, vcc_hi, v8
	v_xor_b32_e32 v8, vcc_lo, v8
	v_and_b32_e32 v0, v0, v9
	v_and_b32_e32 v30, v30, v8
	v_lshlrev_b32_e32 v9, 29, v28
	v_mov_b32_e32 v8, v1
	v_cmp_gt_i64_e32 vcc, 0, v[8:9]
	v_not_b32_e32 v8, v9
	v_ashrrev_i32_e32 v8, 31, v8
	v_xor_b32_e32 v9, vcc_hi, v8
	v_xor_b32_e32 v8, vcc_lo, v8
	v_and_b32_e32 v0, v0, v9
	v_and_b32_e32 v30, v30, v8
	v_lshlrev_b32_e32 v9, 28, v28
	v_mov_b32_e32 v8, v1
	v_cmp_gt_i64_e32 vcc, 0, v[8:9]
	v_not_b32_e32 v8, v9
	v_ashrrev_i32_e32 v8, 31, v8
	;; [unrolled: 9-line block ×6, first 2 shown]
	v_xor_b32_e32 v9, vcc_hi, v8
	v_xor_b32_e32 v8, vcc_lo, v8
	v_and_b32_e32 v8, v30, v8
	v_and_b32_e32 v9, v0, v9
	v_mbcnt_lo_u32_b32 v0, v8, 0
	v_mbcnt_hi_u32_b32 v28, v9, v0
	v_cmp_eq_u32_e32 vcc, 0, v28
	v_cmp_ne_u64_e64 s[0:1], 0, v[8:9]
	s_and_b64 s[4:5], s[0:1], vcc
	v_add_u32_e32 v30, v17, v29
	; wave barrier
	s_and_saveexec_b64 s[0:1], s[4:5]
	s_cbranch_execz .LBB49_107
; %bb.106:
	v_bcnt_u32_b32 v0, v8, 0
	v_bcnt_u32_b32 v0, v9, v0
	s_waitcnt lgkmcnt(0)
	v_add_u32_e32 v0, v26, v0
	ds_write_b32 v30, v0 offset:32
.LBB49_107:
	s_or_b64 exec, exec, s[0:1]
	s_waitcnt vmcnt(0)
	v_xor_b32_e32 v19, 0xffffff80, v19
	v_lshrrev_b32_sdwa v0, s44, v19 dst_sel:DWORD dst_unused:UNUSED_PAD src0_sel:DWORD src1_sel:BYTE_0
	v_and_b32_e32 v31, s12, v0
	v_mad_u32_u24 v0, v31, 36, v17
	; wave barrier
	ds_read_b32 v29, v0 offset:32
	v_and_b32_e32 v0, 1, v31
	v_lshl_add_u64 v[8:9], v[0:1], 0, -1
	v_cmp_ne_u32_e32 vcc, 0, v0
	v_mul_u32_u24_e32 v32, 36, v31
	v_add_u32_e32 v17, v17, v32
	v_xor_b32_e32 v8, vcc_lo, v8
	v_xor_b32_e32 v0, vcc_hi, v9
	v_and_b32_e32 v33, exec_lo, v8
	v_lshlrev_b32_e32 v9, 30, v31
	v_mov_b32_e32 v8, v1
	v_cmp_gt_i64_e32 vcc, 0, v[8:9]
	v_not_b32_e32 v8, v9
	v_ashrrev_i32_e32 v8, 31, v8
	v_and_b32_e32 v0, exec_hi, v0
	v_xor_b32_e32 v9, vcc_hi, v8
	v_xor_b32_e32 v8, vcc_lo, v8
	v_and_b32_e32 v0, v0, v9
	v_and_b32_e32 v33, v33, v8
	v_lshlrev_b32_e32 v9, 29, v31
	v_mov_b32_e32 v8, v1
	v_cmp_gt_i64_e32 vcc, 0, v[8:9]
	v_not_b32_e32 v8, v9
	v_ashrrev_i32_e32 v8, 31, v8
	v_xor_b32_e32 v9, vcc_hi, v8
	v_xor_b32_e32 v8, vcc_lo, v8
	v_and_b32_e32 v0, v0, v9
	v_and_b32_e32 v33, v33, v8
	v_lshlrev_b32_e32 v9, 28, v31
	v_mov_b32_e32 v8, v1
	v_cmp_gt_i64_e32 vcc, 0, v[8:9]
	v_not_b32_e32 v8, v9
	v_ashrrev_i32_e32 v8, 31, v8
	v_xor_b32_e32 v9, vcc_hi, v8
	v_xor_b32_e32 v8, vcc_lo, v8
	v_and_b32_e32 v0, v0, v9
	v_and_b32_e32 v33, v33, v8
	v_lshlrev_b32_e32 v9, 27, v31
	v_mov_b32_e32 v8, v1
	v_cmp_gt_i64_e32 vcc, 0, v[8:9]
	v_not_b32_e32 v8, v9
	v_ashrrev_i32_e32 v8, 31, v8
	v_xor_b32_e32 v9, vcc_hi, v8
	v_xor_b32_e32 v8, vcc_lo, v8
	v_and_b32_e32 v0, v0, v9
	v_and_b32_e32 v33, v33, v8
	v_lshlrev_b32_e32 v9, 26, v31
	v_mov_b32_e32 v8, v1
	v_cmp_gt_i64_e32 vcc, 0, v[8:9]
	v_not_b32_e32 v8, v9
	v_ashrrev_i32_e32 v8, 31, v8
	v_xor_b32_e32 v9, vcc_hi, v8
	v_xor_b32_e32 v8, vcc_lo, v8
	v_and_b32_e32 v0, v0, v9
	v_and_b32_e32 v33, v33, v8
	v_lshlrev_b32_e32 v9, 25, v31
	v_mov_b32_e32 v8, v1
	v_cmp_gt_i64_e32 vcc, 0, v[8:9]
	v_not_b32_e32 v8, v9
	v_ashrrev_i32_e32 v8, 31, v8
	v_xor_b32_e32 v9, vcc_hi, v8
	v_xor_b32_e32 v8, vcc_lo, v8
	v_and_b32_e32 v0, v0, v9
	v_lshlrev_b32_e32 v9, 24, v31
	v_and_b32_e32 v33, v33, v8
	v_mov_b32_e32 v8, v1
	v_not_b32_e32 v1, v9
	v_cmp_gt_i64_e32 vcc, 0, v[8:9]
	v_ashrrev_i32_e32 v1, 31, v1
	s_nop 0
	v_xor_b32_e32 v8, vcc_hi, v1
	v_xor_b32_e32 v9, vcc_lo, v1
	v_and_b32_e32 v1, v0, v8
	v_and_b32_e32 v0, v33, v9
	v_mbcnt_lo_u32_b32 v8, v0, 0
	v_mbcnt_hi_u32_b32 v31, v1, v8
	v_cmp_eq_u32_e32 vcc, 0, v31
	v_cmp_ne_u64_e64 s[0:1], 0, v[0:1]
	s_and_b64 s[4:5], s[0:1], vcc
	; wave barrier
	s_and_saveexec_b64 s[0:1], s[4:5]
	s_cbranch_execz .LBB49_109
; %bb.108:
	v_bcnt_u32_b32 v0, v0, 0
	v_bcnt_u32_b32 v0, v1, v0
	s_waitcnt lgkmcnt(0)
	v_add_u32_e32 v0, v29, v0
	ds_write_b32 v17, v0 offset:32
.LBB49_109:
	s_or_b64 exec, exec, s[0:1]
	; wave barrier
	s_waitcnt lgkmcnt(0)
	s_barrier
	ds_read2_b32 v[8:9], v3 offset0:8 offset1:9
	ds_read2_b32 v[0:1], v3 offset0:10 offset1:11
	ds_read_b32 v32, v3 offset:48
	v_min_u32_e32 v10, 0x1c0, v10
	v_or_b32_e32 v10, 63, v10
	s_waitcnt lgkmcnt(1)
	v_add3_u32 v33, v9, v8, v0
	s_waitcnt lgkmcnt(0)
	v_add3_u32 v32, v33, v1, v32
	v_and_b32_e32 v33, 15, v6
	v_cmp_ne_u32_e32 vcc, 0, v33
	v_mov_b32_dpp v34, v32 row_shr:1 row_mask:0xf bank_mask:0xf
	s_nop 0
	v_cndmask_b32_e32 v34, 0, v34, vcc
	v_add_u32_e32 v32, v34, v32
	v_cmp_lt_u32_e32 vcc, 1, v33
	s_nop 0
	v_mov_b32_dpp v34, v32 row_shr:2 row_mask:0xf bank_mask:0xf
	v_cndmask_b32_e32 v34, 0, v34, vcc
	v_add_u32_e32 v32, v32, v34
	v_cmp_lt_u32_e32 vcc, 3, v33
	s_nop 0
	v_mov_b32_dpp v34, v32 row_shr:4 row_mask:0xf bank_mask:0xf
	;; [unrolled: 5-line block ×3, first 2 shown]
	v_cndmask_b32_e32 v33, 0, v34, vcc
	v_add_u32_e32 v32, v32, v33
	v_bfe_i32 v34, v6, 4, 1
	v_cmp_lt_u32_e32 vcc, 31, v6
	v_mov_b32_dpp v33, v32 row_bcast:15 row_mask:0xf bank_mask:0xf
	v_and_b32_e32 v33, v34, v33
	v_add_u32_e32 v32, v32, v33
	s_nop 1
	v_mov_b32_dpp v33, v32 row_bcast:31 row_mask:0xf bank_mask:0xf
	v_cndmask_b32_e32 v33, 0, v33, vcc
	v_add_u32_e32 v32, v32, v33
	v_lshrrev_b32_e32 v33, 6, v2
	v_cmp_eq_u32_e32 vcc, v2, v10
	s_and_saveexec_b64 s[0:1], vcc
; %bb.110:
	v_lshlrev_b32_e32 v10, 2, v33
	ds_write_b32 v10, v32
; %bb.111:
	s_or_b64 exec, exec, s[0:1]
	v_cmp_gt_u32_e32 vcc, 8, v2
	s_waitcnt lgkmcnt(0)
	s_barrier
	s_and_saveexec_b64 s[0:1], vcc
	s_cbranch_execz .LBB49_113
; %bb.112:
	v_lshlrev_b32_e32 v10, 2, v2
	ds_read_b32 v34, v10
	v_and_b32_e32 v35, 7, v6
	v_cmp_ne_u32_e32 vcc, 0, v35
	s_waitcnt lgkmcnt(0)
	v_mov_b32_dpp v36, v34 row_shr:1 row_mask:0xf bank_mask:0xf
	v_cndmask_b32_e32 v36, 0, v36, vcc
	v_add_u32_e32 v34, v36, v34
	v_cmp_lt_u32_e32 vcc, 1, v35
	s_nop 0
	v_mov_b32_dpp v36, v34 row_shr:2 row_mask:0xf bank_mask:0xf
	v_cndmask_b32_e32 v36, 0, v36, vcc
	v_add_u32_e32 v34, v34, v36
	v_cmp_lt_u32_e32 vcc, 3, v35
	s_nop 0
	v_mov_b32_dpp v36, v34 row_shr:4 row_mask:0xf bank_mask:0xf
	v_cndmask_b32_e32 v35, 0, v36, vcc
	v_add_u32_e32 v34, v34, v35
	ds_write_b32 v10, v34
.LBB49_113:
	s_or_b64 exec, exec, s[0:1]
	v_cmp_lt_u32_e32 vcc, 63, v2
	v_mov_b32_e32 v10, 0
	s_waitcnt lgkmcnt(0)
	s_barrier
	s_and_saveexec_b64 s[0:1], vcc
; %bb.114:
	v_lshl_add_u32 v10, v33, 2, -4
	ds_read_b32 v10, v10
; %bb.115:
	s_or_b64 exec, exec, s[0:1]
	v_add_u32_e32 v33, -1, v6
	v_and_b32_e32 v34, 64, v6
	v_cmp_lt_i32_e32 vcc, v33, v34
	s_waitcnt lgkmcnt(0)
	v_add_u32_e32 v32, v10, v32
	s_movk_i32 s0, 0xff
	v_cndmask_b32_e32 v33, v33, v6, vcc
	v_lshlrev_b32_e32 v33, 2, v33
	ds_bpermute_b32 v32, v33, v32
	v_cmp_eq_u32_e32 vcc, 0, v6
	s_movk_i32 s4, 0x100
	s_waitcnt lgkmcnt(0)
	v_cndmask_b32_e32 v10, v32, v10, vcc
	v_cmp_ne_u32_e32 vcc, 0, v2
	s_nop 1
	v_cndmask_b32_e32 v10, 0, v10, vcc
	v_add_u32_e32 v8, v10, v8
	v_add_u32_e32 v9, v8, v9
	;; [unrolled: 1-line block ×4, first 2 shown]
	ds_write2_b32 v3, v10, v8 offset0:8 offset1:9
	ds_write2_b32 v3, v9, v0 offset0:10 offset1:11
	ds_write_b32 v3, v1 offset:48
	s_waitcnt lgkmcnt(0)
	s_barrier
	ds_read_b32 v3, v14 offset:32
	ds_read_b32 v9, v18 offset:32
	;; [unrolled: 1-line block ×6, first 2 shown]
	v_cmp_lt_u32_e32 vcc, s0, v2
	v_cmp_gt_u32_e64 s[0:1], s4, v2
	v_mov_b64_e32 v[0:1], 0
                                        ; implicit-def: $vgpr8
	s_and_saveexec_b64 s[6:7], s[0:1]
	s_cbranch_execz .LBB49_119
; %bb.116:
	v_mul_u32_u24_e32 v0, 36, v2
	ds_read_b32 v0, v0 offset:32
	v_add_u32_e32 v8, 1, v2
	v_cmp_ne_u32_e64 s[4:5], s4, v8
	v_mov_b32_e32 v1, 0xc00
	s_and_saveexec_b64 s[8:9], s[4:5]
; %bb.117:
	v_mul_u32_u24_e32 v1, 36, v8
	ds_read_b32 v1, v1 offset:32
; %bb.118:
	s_or_b64 exec, exec, s[8:9]
	s_waitcnt lgkmcnt(0)
	v_sub_u32_e32 v8, v1, v0
	v_mov_b32_e32 v1, 0
.LBB49_119:
	s_or_b64 exec, exec, s[6:7]
	s_waitcnt lgkmcnt(5)
	v_add_u32_e32 v27, v3, v11
	v_mov_b32_e32 v11, 0
	s_waitcnt lgkmcnt(4)
	v_add3_u32 v23, v7, v13, v9
	s_waitcnt lgkmcnt(3)
	v_add3_u32 v18, v20, v16, v10
	;; [unrolled: 2-line block ×5, first 2 shown]
	s_barrier
	ds_write_b8 v27, v5 offset:2048
	ds_write_b8 v23, v12 offset:2048
	ds_write_b8 v18, v15 offset:2048
	ds_write_b8 v17, v21 offset:2048
	ds_write_b8 v16, v24 offset:2048
	ds_write_b8 v9, v19 offset:2048
	v_mov_b32_e32 v3, v11
	v_lshlrev_b32_e32 v5, 3, v2
	s_waitcnt lgkmcnt(0)
	s_barrier
	s_and_saveexec_b64 s[4:5], s[0:1]
	s_cbranch_execz .LBB49_129
; %bb.120:
	v_lshl_add_u32 v10, s2, 8, v2
	v_lshl_add_u64 v[12:13], v[10:11], 2, s[48:49]
	v_or_b32_e32 v7, 2.0, v8
	global_store_dword v[12:13], v7, off sc1
	s_mov_b64 s[6:7], 0
	s_brev_b32 s13, -4
	s_mov_b32 s14, s2
	v_mov_b32_e32 v7, 0
                                        ; implicit-def: $sgpr0_sgpr1
	s_branch .LBB49_123
.LBB49_121:                             ;   in Loop: Header=BB49_123 Depth=1
	s_or_b64 exec, exec, s[10:11]
.LBB49_122:                             ;   in Loop: Header=BB49_123 Depth=1
	s_or_b64 exec, exec, s[8:9]
	v_and_b32_e32 v14, 0x3fffffff, v10
	v_add_u32_e32 v7, v14, v7
	v_cmp_gt_i32_e64 s[0:1], -2.0, v10
	s_and_b64 s[8:9], exec, s[0:1]
	s_or_b64 s[6:7], s[8:9], s[6:7]
	s_andn2_b64 exec, exec, s[6:7]
	s_cbranch_execz .LBB49_128
.LBB49_123:                             ; =>This Loop Header: Depth=1
                                        ;     Child Loop BB49_126 Depth 2
	s_or_b64 s[0:1], s[0:1], exec
	s_cmp_eq_u32 s14, 0
	s_cbranch_scc1 .LBB49_127
; %bb.124:                              ;   in Loop: Header=BB49_123 Depth=1
	s_add_i32 s14, s14, -1
	v_lshl_or_b32 v10, s14, 8, v2
	v_lshl_add_u64 v[14:15], v[10:11], 2, s[48:49]
	global_load_dword v10, v[14:15], off sc1
	s_waitcnt vmcnt(0)
	v_cmp_gt_u32_e64 s[0:1], 2.0, v10
	s_and_saveexec_b64 s[8:9], s[0:1]
	s_cbranch_execz .LBB49_122
; %bb.125:                              ;   in Loop: Header=BB49_123 Depth=1
	s_mov_b64 s[10:11], 0
.LBB49_126:                             ;   Parent Loop BB49_123 Depth=1
                                        ; =>  This Inner Loop Header: Depth=2
	global_load_dword v10, v[14:15], off sc1
	s_waitcnt vmcnt(0)
	v_cmp_lt_u32_e64 s[0:1], s13, v10
	s_or_b64 s[10:11], s[0:1], s[10:11]
	s_andn2_b64 exec, exec, s[10:11]
	s_cbranch_execnz .LBB49_126
	s_branch .LBB49_121
.LBB49_127:                             ;   in Loop: Header=BB49_123 Depth=1
                                        ; implicit-def: $sgpr14
	s_and_b64 s[8:9], exec, s[0:1]
	s_or_b64 s[6:7], s[8:9], s[6:7]
	s_andn2_b64 exec, exec, s[6:7]
	s_cbranch_execnz .LBB49_123
.LBB49_128:
	s_or_b64 exec, exec, s[6:7]
	v_add_u32_e32 v11, v7, v8
	v_or_b32_e32 v11, 0x80000000, v11
	v_lshlrev_b32_e32 v10, 3, v2
	global_store_dword v[12:13], v11, off sc1
	global_load_dwordx2 v[10:11], v10, s[28:29]
	v_sub_co_u32_e64 v12, s[0:1], v7, v0
	s_nop 1
	v_subb_co_u32_e64 v13, s[0:1], 0, v1, s[0:1]
	s_waitcnt vmcnt(0)
	v_lshl_add_u64 v[10:11], v[12:13], 0, v[10:11]
	ds_write_b64 v5, v[10:11]
.LBB49_129:
	s_or_b64 exec, exec, s[4:5]
	s_waitcnt lgkmcnt(0)
	s_barrier
	ds_read_u8 v7, v2 offset:4096
	ds_read_u8 v19, v2 offset:3072
	;; [unrolled: 1-line block ×5, first 2 shown]
	s_waitcnt lgkmcnt(4)
	v_lshrrev_b32_sdwa v10, s44, v7 dst_sel:DWORD dst_unused:UNUSED_PAD src0_sel:DWORD src1_sel:BYTE_0
	v_and_b32_e32 v10, s12, v10
	v_lshlrev_b32_e32 v32, 3, v10
	s_waitcnt lgkmcnt(1)
	v_lshrrev_b32_sdwa v10, s44, v26 dst_sel:DWORD dst_unused:UNUSED_PAD src0_sel:DWORD src1_sel:BYTE_0
	v_and_b32_e32 v10, s12, v10
	v_lshlrev_b32_e32 v33, 3, v10
	ds_read_u8 v30, v2 offset:2560
	ds_read_b64 v[10:11], v32
	ds_read_b64 v[12:13], v33
	s_waitcnt lgkmcnt(3)
	v_lshrrev_b32_sdwa v15, s44, v14 dst_sel:DWORD dst_unused:UNUSED_PAD src0_sel:DWORD src1_sel:BYTE_0
	v_and_b32_e32 v15, s12, v15
	s_waitcnt lgkmcnt(2)
	v_lshrrev_b32_sdwa v20, s44, v30 dst_sel:DWORD dst_unused:UNUSED_PAD src0_sel:DWORD src1_sel:BYTE_0
	v_lshlrev_b32_e32 v34, 3, v15
	v_and_b32_e32 v20, s12, v20
	v_xor_b32_e32 v31, 0x80, v14
	ds_read_b64 v[14:15], v34
	v_lshlrev_b32_e32 v35, 3, v20
	v_lshrrev_b32_sdwa v20, s44, v19 dst_sel:DWORD dst_unused:UNUSED_PAD src0_sel:DWORD src1_sel:BYTE_0
	v_and_b32_e32 v20, s12, v20
	v_lshlrev_b32_e32 v36, 3, v20
	v_lshrrev_b32_sdwa v20, s44, v22 dst_sel:DWORD dst_unused:UNUSED_PAD src0_sel:DWORD src1_sel:BYTE_0
	v_and_b32_e32 v20, s12, v20
	v_lshlrev_b32_e32 v37, 3, v20
	ds_read_b64 v[20:21], v35
	ds_read_b64 v[24:25], v36
	ds_read_b64 v[28:29], v37
	s_waitcnt lgkmcnt(3)
	v_lshl_add_u64 v[14:15], s[38:39], 0, v[14:15]
	v_lshl_add_u64 v[14:15], v[14:15], 0, v[2:3]
	global_store_byte v[14:15], v31, off
	s_waitcnt lgkmcnt(2)
	v_lshl_add_u64 v[14:15], s[38:39], 0, v[20:21]
	v_xor_b32_e32 v30, 0x80, v30
	v_lshl_add_u64 v[14:15], v[14:15], 0, v[2:3]
	global_store_byte v[14:15], v30, off offset:512
	s_waitcnt lgkmcnt(1)
	v_lshl_add_u64 v[14:15], s[38:39], 0, v[24:25]
	v_xor_b32_e32 v19, 0x80, v19
	v_lshl_add_u64 v[14:15], v[14:15], 0, v[2:3]
	global_store_byte v[14:15], v19, off offset:1024
	s_waitcnt lgkmcnt(0)
	v_lshl_add_u64 v[14:15], s[38:39], 0, v[28:29]
	v_lshl_add_u64 v[10:11], s[38:39], 0, v[10:11]
	v_xor_b32_e32 v19, 0x80, v22
	v_lshl_add_u64 v[14:15], v[14:15], 0, v[2:3]
	v_xor_b32_e32 v7, 0x80, v7
	v_lshl_add_u64 v[10:11], v[10:11], 0, v[2:3]
	global_store_byte v[14:15], v19, off offset:1536
	global_store_byte v[10:11], v7, off offset:2048
	v_lshl_add_u64 v[10:11], s[38:39], 0, v[12:13]
	s_lshl_b64 s[0:1], s[34:35], 3
	v_xor_b32_e32 v7, 0x80, v26
	v_lshl_add_u64 v[10:11], v[10:11], 0, v[2:3]
	s_add_u32 s0, s40, s0
	global_store_byte v[10:11], v7, off offset:2560
	s_addc_u32 s1, s41, s1
	v_lshlrev_b32_e32 v6, 3, v6
	v_mov_b32_e32 v7, 0
	v_lshl_add_u64 v[10:11], s[0:1], 0, v[6:7]
	v_lshlrev_b32_e32 v6, 3, v4
	v_lshl_add_u64 v[10:11], v[10:11], 0, v[6:7]
	global_load_dwordx2 v[12:13], v[10:11], off
	global_load_dwordx2 v[14:15], v[10:11], off offset:512
	global_load_dwordx2 v[20:21], v[10:11], off offset:1024
	;; [unrolled: 1-line block ×5, first 2 shown]
	v_lshlrev_b32_e32 v3, 3, v27
	v_lshlrev_b32_e32 v10, 3, v18
	;; [unrolled: 1-line block ×4, first 2 shown]
	v_mad_u32_u24 v38, v2, 7, v2
	v_lshlrev_b32_e32 v4, 3, v23
	v_lshlrev_b32_e32 v9, 3, v9
	;; [unrolled: 1-line block ×3, first 2 shown]
	s_barrier
	v_add_u32_e32 v18, 0x1000, v5
	v_or_b32_e32 v22, 0x2000, v5
	v_mov_b32_e32 v19, v7
	v_mov_b32_e32 v23, v7
	s_add_i32 s3, s3, -1
	s_cmp_eq_u32 s2, s3
	s_cselect_b64 s[0:1], -1, 0
	s_xor_b64 s[2:3], vcc, -1
	s_and_b64 s[0:1], s[2:3], s[0:1]
	s_waitcnt vmcnt(5)
	ds_write_b64 v3, v[12:13] offset:2048
	s_waitcnt vmcnt(4)
	ds_write_b64 v4, v[14:15] offset:2048
	;; [unrolled: 2-line block ×6, first 2 shown]
	s_waitcnt lgkmcnt(0)
	s_barrier
	ds_read2st64_b64 v[10:13], v38 offset0:4 offset1:12
	ds_read_b64 v[2:3], v34
	ds_read_b64 v[20:21], v35
	;; [unrolled: 1-line block ×3, first 2 shown]
	ds_read2st64_b64 v[14:17], v38 offset0:20 offset1:28
	ds_read_b64 v[26:27], v37
	s_waitcnt lgkmcnt(4)
	v_lshl_add_u64 v[2:3], v[2:3], 3, s[42:43]
	s_waitcnt lgkmcnt(3)
	v_lshl_add_u64 v[20:21], v[20:21], 3, s[42:43]
	;; [unrolled: 2-line block ×3, first 2 shown]
	v_lshl_add_u64 v[2:3], v[2:3], 0, v[6:7]
	v_lshl_add_u64 v[18:19], v[20:21], 0, v[18:19]
	global_store_dwordx2 v[2:3], v[10:11], off
	global_store_dwordx2 v[18:19], v[12:13], off
	v_lshl_add_u64 v[2:3], v[24:25], 0, v[22:23]
	s_waitcnt lgkmcnt(1)
	global_store_dwordx2 v[2:3], v[14:15], off
	s_waitcnt lgkmcnt(0)
	v_lshl_add_u64 v[2:3], v[26:27], 3, s[42:43]
	v_add_u32_e32 v10, 0x3000, v5
	v_mov_b32_e32 v11, v7
	ds_read_b64 v[14:15], v32
	v_lshl_add_u64 v[2:3], v[2:3], 0, v[10:11]
	global_store_dwordx2 v[2:3], v[16:17], off
	ds_read2st64_b64 v[10:13], v38 offset0:36 offset1:44
	ds_read_b64 v[2:3], v33
	v_or_b32_e32 v16, 0x4000, v5
	s_waitcnt lgkmcnt(2)
	v_lshl_add_u64 v[14:15], v[14:15], 3, s[42:43]
	v_mov_b32_e32 v17, v7
	v_lshl_add_u64 v[14:15], v[14:15], 0, v[16:17]
	s_waitcnt lgkmcnt(1)
	global_store_dwordx2 v[14:15], v[10:11], off
	s_waitcnt lgkmcnt(0)
	v_lshl_add_u64 v[2:3], v[2:3], 3, s[42:43]
	v_add_u32_e32 v10, 0x5000, v5
	v_mov_b32_e32 v11, v7
	v_lshl_add_u64 v[2:3], v[2:3], 0, v[10:11]
	global_store_dwordx2 v[2:3], v[12:13], off
	s_and_saveexec_b64 s[2:3], s[0:1]
	s_cbranch_execz .LBB49_131
; %bb.130:
	ds_read_b64 v[2:3], v5
	v_mov_b32_e32 v9, v7
	v_lshl_add_u64 v[0:1], v[0:1], 0, v[8:9]
	s_waitcnt lgkmcnt(0)
	v_lshl_add_u64 v[0:1], v[0:1], 0, v[2:3]
	global_store_dwordx2 v6, v[0:1], s[30:31]
.LBB49_131:
	s_endpgm
	.section	.rodata,"a",@progbits
	.p2align	6, 0x0
	.amdhsa_kernel _ZN7rocprim17ROCPRIM_304000_NS6detail25onesweep_iteration_kernelINS1_34wrapped_radix_sort_onesweep_configINS0_14default_configEaN2at4cuda3cub6detail10OpaqueTypeILi8EEEEELb0EPaSC_PSA_SD_mNS0_19identity_decomposerEEEvT1_T2_T3_T4_jPT5_SK_PNS1_23onesweep_lookback_stateET6_jjj
		.amdhsa_group_segment_fixed_size 26624
		.amdhsa_private_segment_fixed_size 0
		.amdhsa_kernarg_size 336
		.amdhsa_user_sgpr_count 2
		.amdhsa_user_sgpr_dispatch_ptr 0
		.amdhsa_user_sgpr_queue_ptr 0
		.amdhsa_user_sgpr_kernarg_segment_ptr 1
		.amdhsa_user_sgpr_dispatch_id 0
		.amdhsa_user_sgpr_kernarg_preload_length 0
		.amdhsa_user_sgpr_kernarg_preload_offset 0
		.amdhsa_user_sgpr_private_segment_size 0
		.amdhsa_uses_dynamic_stack 0
		.amdhsa_enable_private_segment 0
		.amdhsa_system_sgpr_workgroup_id_x 1
		.amdhsa_system_sgpr_workgroup_id_y 0
		.amdhsa_system_sgpr_workgroup_id_z 0
		.amdhsa_system_sgpr_workgroup_info 0
		.amdhsa_system_vgpr_workitem_id 2
		.amdhsa_next_free_vgpr 39
		.amdhsa_next_free_sgpr 51
		.amdhsa_accum_offset 40
		.amdhsa_reserve_vcc 1
		.amdhsa_float_round_mode_32 0
		.amdhsa_float_round_mode_16_64 0
		.amdhsa_float_denorm_mode_32 3
		.amdhsa_float_denorm_mode_16_64 3
		.amdhsa_dx10_clamp 1
		.amdhsa_ieee_mode 1
		.amdhsa_fp16_overflow 0
		.amdhsa_tg_split 0
		.amdhsa_exception_fp_ieee_invalid_op 0
		.amdhsa_exception_fp_denorm_src 0
		.amdhsa_exception_fp_ieee_div_zero 0
		.amdhsa_exception_fp_ieee_overflow 0
		.amdhsa_exception_fp_ieee_underflow 0
		.amdhsa_exception_fp_ieee_inexact 0
		.amdhsa_exception_int_div_zero 0
	.end_amdhsa_kernel
	.section	.text._ZN7rocprim17ROCPRIM_304000_NS6detail25onesweep_iteration_kernelINS1_34wrapped_radix_sort_onesweep_configINS0_14default_configEaN2at4cuda3cub6detail10OpaqueTypeILi8EEEEELb0EPaSC_PSA_SD_mNS0_19identity_decomposerEEEvT1_T2_T3_T4_jPT5_SK_PNS1_23onesweep_lookback_stateET6_jjj,"axG",@progbits,_ZN7rocprim17ROCPRIM_304000_NS6detail25onesweep_iteration_kernelINS1_34wrapped_radix_sort_onesweep_configINS0_14default_configEaN2at4cuda3cub6detail10OpaqueTypeILi8EEEEELb0EPaSC_PSA_SD_mNS0_19identity_decomposerEEEvT1_T2_T3_T4_jPT5_SK_PNS1_23onesweep_lookback_stateET6_jjj,comdat
.Lfunc_end49:
	.size	_ZN7rocprim17ROCPRIM_304000_NS6detail25onesweep_iteration_kernelINS1_34wrapped_radix_sort_onesweep_configINS0_14default_configEaN2at4cuda3cub6detail10OpaqueTypeILi8EEEEELb0EPaSC_PSA_SD_mNS0_19identity_decomposerEEEvT1_T2_T3_T4_jPT5_SK_PNS1_23onesweep_lookback_stateET6_jjj, .Lfunc_end49-_ZN7rocprim17ROCPRIM_304000_NS6detail25onesweep_iteration_kernelINS1_34wrapped_radix_sort_onesweep_configINS0_14default_configEaN2at4cuda3cub6detail10OpaqueTypeILi8EEEEELb0EPaSC_PSA_SD_mNS0_19identity_decomposerEEEvT1_T2_T3_T4_jPT5_SK_PNS1_23onesweep_lookback_stateET6_jjj
                                        ; -- End function
	.set _ZN7rocprim17ROCPRIM_304000_NS6detail25onesweep_iteration_kernelINS1_34wrapped_radix_sort_onesweep_configINS0_14default_configEaN2at4cuda3cub6detail10OpaqueTypeILi8EEEEELb0EPaSC_PSA_SD_mNS0_19identity_decomposerEEEvT1_T2_T3_T4_jPT5_SK_PNS1_23onesweep_lookback_stateET6_jjj.num_vgpr, 39
	.set _ZN7rocprim17ROCPRIM_304000_NS6detail25onesweep_iteration_kernelINS1_34wrapped_radix_sort_onesweep_configINS0_14default_configEaN2at4cuda3cub6detail10OpaqueTypeILi8EEEEELb0EPaSC_PSA_SD_mNS0_19identity_decomposerEEEvT1_T2_T3_T4_jPT5_SK_PNS1_23onesweep_lookback_stateET6_jjj.num_agpr, 0
	.set _ZN7rocprim17ROCPRIM_304000_NS6detail25onesweep_iteration_kernelINS1_34wrapped_radix_sort_onesweep_configINS0_14default_configEaN2at4cuda3cub6detail10OpaqueTypeILi8EEEEELb0EPaSC_PSA_SD_mNS0_19identity_decomposerEEEvT1_T2_T3_T4_jPT5_SK_PNS1_23onesweep_lookback_stateET6_jjj.numbered_sgpr, 51
	.set _ZN7rocprim17ROCPRIM_304000_NS6detail25onesweep_iteration_kernelINS1_34wrapped_radix_sort_onesweep_configINS0_14default_configEaN2at4cuda3cub6detail10OpaqueTypeILi8EEEEELb0EPaSC_PSA_SD_mNS0_19identity_decomposerEEEvT1_T2_T3_T4_jPT5_SK_PNS1_23onesweep_lookback_stateET6_jjj.num_named_barrier, 0
	.set _ZN7rocprim17ROCPRIM_304000_NS6detail25onesweep_iteration_kernelINS1_34wrapped_radix_sort_onesweep_configINS0_14default_configEaN2at4cuda3cub6detail10OpaqueTypeILi8EEEEELb0EPaSC_PSA_SD_mNS0_19identity_decomposerEEEvT1_T2_T3_T4_jPT5_SK_PNS1_23onesweep_lookback_stateET6_jjj.private_seg_size, 0
	.set _ZN7rocprim17ROCPRIM_304000_NS6detail25onesweep_iteration_kernelINS1_34wrapped_radix_sort_onesweep_configINS0_14default_configEaN2at4cuda3cub6detail10OpaqueTypeILi8EEEEELb0EPaSC_PSA_SD_mNS0_19identity_decomposerEEEvT1_T2_T3_T4_jPT5_SK_PNS1_23onesweep_lookback_stateET6_jjj.uses_vcc, 1
	.set _ZN7rocprim17ROCPRIM_304000_NS6detail25onesweep_iteration_kernelINS1_34wrapped_radix_sort_onesweep_configINS0_14default_configEaN2at4cuda3cub6detail10OpaqueTypeILi8EEEEELb0EPaSC_PSA_SD_mNS0_19identity_decomposerEEEvT1_T2_T3_T4_jPT5_SK_PNS1_23onesweep_lookback_stateET6_jjj.uses_flat_scratch, 0
	.set _ZN7rocprim17ROCPRIM_304000_NS6detail25onesweep_iteration_kernelINS1_34wrapped_radix_sort_onesweep_configINS0_14default_configEaN2at4cuda3cub6detail10OpaqueTypeILi8EEEEELb0EPaSC_PSA_SD_mNS0_19identity_decomposerEEEvT1_T2_T3_T4_jPT5_SK_PNS1_23onesweep_lookback_stateET6_jjj.has_dyn_sized_stack, 0
	.set _ZN7rocprim17ROCPRIM_304000_NS6detail25onesweep_iteration_kernelINS1_34wrapped_radix_sort_onesweep_configINS0_14default_configEaN2at4cuda3cub6detail10OpaqueTypeILi8EEEEELb0EPaSC_PSA_SD_mNS0_19identity_decomposerEEEvT1_T2_T3_T4_jPT5_SK_PNS1_23onesweep_lookback_stateET6_jjj.has_recursion, 0
	.set _ZN7rocprim17ROCPRIM_304000_NS6detail25onesweep_iteration_kernelINS1_34wrapped_radix_sort_onesweep_configINS0_14default_configEaN2at4cuda3cub6detail10OpaqueTypeILi8EEEEELb0EPaSC_PSA_SD_mNS0_19identity_decomposerEEEvT1_T2_T3_T4_jPT5_SK_PNS1_23onesweep_lookback_stateET6_jjj.has_indirect_call, 0
	.section	.AMDGPU.csdata,"",@progbits
; Kernel info:
; codeLenInByte = 11016
; TotalNumSgprs: 57
; NumVgprs: 39
; NumAgprs: 0
; TotalNumVgprs: 39
; ScratchSize: 0
; MemoryBound: 0
; FloatMode: 240
; IeeeMode: 1
; LDSByteSize: 26624 bytes/workgroup (compile time only)
; SGPRBlocks: 7
; VGPRBlocks: 4
; NumSGPRsForWavesPerEU: 57
; NumVGPRsForWavesPerEU: 39
; AccumOffset: 40
; Occupancy: 8
; WaveLimiterHint : 1
; COMPUTE_PGM_RSRC2:SCRATCH_EN: 0
; COMPUTE_PGM_RSRC2:USER_SGPR: 2
; COMPUTE_PGM_RSRC2:TRAP_HANDLER: 0
; COMPUTE_PGM_RSRC2:TGID_X_EN: 1
; COMPUTE_PGM_RSRC2:TGID_Y_EN: 0
; COMPUTE_PGM_RSRC2:TGID_Z_EN: 0
; COMPUTE_PGM_RSRC2:TIDIG_COMP_CNT: 2
; COMPUTE_PGM_RSRC3_GFX90A:ACCUM_OFFSET: 9
; COMPUTE_PGM_RSRC3_GFX90A:TG_SPLIT: 0
	.section	.text._ZN7rocprim17ROCPRIM_304000_NS6detail28radix_sort_block_sort_kernelINS1_36wrapped_radix_sort_block_sort_configINS0_13kernel_configILj256ELj4ELj4294967295EEEsN2at4cuda3cub6detail10OpaqueTypeILi8EEEEELb1EPKsPsPKSB_PSB_NS0_19identity_decomposerEEEvT1_T2_T3_T4_jT5_jj,"axG",@progbits,_ZN7rocprim17ROCPRIM_304000_NS6detail28radix_sort_block_sort_kernelINS1_36wrapped_radix_sort_block_sort_configINS0_13kernel_configILj256ELj4ELj4294967295EEEsN2at4cuda3cub6detail10OpaqueTypeILi8EEEEELb1EPKsPsPKSB_PSB_NS0_19identity_decomposerEEEvT1_T2_T3_T4_jT5_jj,comdat
	.protected	_ZN7rocprim17ROCPRIM_304000_NS6detail28radix_sort_block_sort_kernelINS1_36wrapped_radix_sort_block_sort_configINS0_13kernel_configILj256ELj4ELj4294967295EEEsN2at4cuda3cub6detail10OpaqueTypeILi8EEEEELb1EPKsPsPKSB_PSB_NS0_19identity_decomposerEEEvT1_T2_T3_T4_jT5_jj ; -- Begin function _ZN7rocprim17ROCPRIM_304000_NS6detail28radix_sort_block_sort_kernelINS1_36wrapped_radix_sort_block_sort_configINS0_13kernel_configILj256ELj4ELj4294967295EEEsN2at4cuda3cub6detail10OpaqueTypeILi8EEEEELb1EPKsPsPKSB_PSB_NS0_19identity_decomposerEEEvT1_T2_T3_T4_jT5_jj
	.globl	_ZN7rocprim17ROCPRIM_304000_NS6detail28radix_sort_block_sort_kernelINS1_36wrapped_radix_sort_block_sort_configINS0_13kernel_configILj256ELj4ELj4294967295EEEsN2at4cuda3cub6detail10OpaqueTypeILi8EEEEELb1EPKsPsPKSB_PSB_NS0_19identity_decomposerEEEvT1_T2_T3_T4_jT5_jj
	.p2align	8
	.type	_ZN7rocprim17ROCPRIM_304000_NS6detail28radix_sort_block_sort_kernelINS1_36wrapped_radix_sort_block_sort_configINS0_13kernel_configILj256ELj4ELj4294967295EEEsN2at4cuda3cub6detail10OpaqueTypeILi8EEEEELb1EPKsPsPKSB_PSB_NS0_19identity_decomposerEEEvT1_T2_T3_T4_jT5_jj,@function
_ZN7rocprim17ROCPRIM_304000_NS6detail28radix_sort_block_sort_kernelINS1_36wrapped_radix_sort_block_sort_configINS0_13kernel_configILj256ELj4ELj4294967295EEEsN2at4cuda3cub6detail10OpaqueTypeILi8EEEEELb1EPKsPsPKSB_PSB_NS0_19identity_decomposerEEEvT1_T2_T3_T4_jT5_jj: ; @_ZN7rocprim17ROCPRIM_304000_NS6detail28radix_sort_block_sort_kernelINS1_36wrapped_radix_sort_block_sort_configINS0_13kernel_configILj256ELj4ELj4294967295EEEsN2at4cuda3cub6detail10OpaqueTypeILi8EEEEELb1EPKsPsPKSB_PSB_NS0_19identity_decomposerEEEvT1_T2_T3_T4_jT5_jj
; %bb.0:
	s_load_dword s4, s[0:1], 0x20
	s_load_dwordx8 s[36:43], s[0:1], 0x0
	s_lshl_b32 s28, s2, 10
	s_mov_b32 s29, 0
	v_and_b32_e32 v8, 0x3ff, v0
	s_waitcnt lgkmcnt(0)
	s_lshr_b32 s3, s4, 10
	s_cmp_lg_u32 s2, s3
	s_cselect_b64 s[30:31], -1, 0
	s_lshl_b64 s[34:35], s[28:29], 1
	v_mbcnt_lo_u32_b32 v1, -1, 0
	s_add_u32 s6, s36, s34
	v_mbcnt_hi_u32_b32 v1, -1, v1
	v_lshlrev_b32_e32 v9, 2, v8
	s_addc_u32 s7, s37, s35
	v_and_b32_e32 v12, 0x300, v9
	v_mov_b32_e32 v5, 0
	v_lshlrev_b32_e32 v4, 1, v1
	v_lshl_add_u64 v[2:3], s[6:7], 0, v[4:5]
	v_lshlrev_b32_e32 v4, 1, v12
	s_cmp_eq_u32 s2, s3
	v_lshl_add_u64 v[10:11], v[2:3], 0, v[4:5]
	v_lshlrev_b32_e32 v4, 3, v1
	v_lshlrev_b32_e32 v6, 3, v12
	v_add_u32_e32 v13, v1, v12
	s_cbranch_scc1 .LBB50_2
; %bb.1:
	s_lshl_b64 s[2:3], s[28:29], 3
	s_add_u32 s2, s40, s2
	s_addc_u32 s3, s41, s3
	v_lshl_add_u64 v[2:3], s[2:3], 0, v[4:5]
	v_mov_b32_e32 v7, v5
	v_lshl_add_u64 v[2:3], v[2:3], 0, v[6:7]
	global_load_ushort v14, v[10:11], off
	global_load_ushort v15, v[10:11], off offset:128
	global_load_ushort v16, v[10:11], off offset:256
	;; [unrolled: 1-line block ×3, first 2 shown]
	global_load_dwordx2 v[44:45], v[2:3], off
	global_load_dwordx2 v[46:47], v[2:3], off offset:512
	global_load_dwordx2 v[48:49], v[2:3], off offset:1024
	;; [unrolled: 1-line block ×3, first 2 shown]
	s_mov_b32 s2, 0x5040100
	v_add_u32_e32 v5, v1, v12
	v_add_u32_e32 v12, 64, v5
	s_waitcnt vmcnt(6)
	v_perm_b32 v2, v15, v14, s2
	v_add_u32_e32 v14, 0x80, v5
	s_waitcnt vmcnt(4)
	v_perm_b32 v3, v17, v16, s2
	v_add_u32_e32 v15, 0xc0, v5
	s_sub_i32 s33, s4, s28
	s_cbranch_execz .LBB50_3
	s_branch .LBB50_17
.LBB50_2:
                                        ; implicit-def: $vgpr2_vgpr3
                                        ; implicit-def: $vgpr44_vgpr45
                                        ; implicit-def: $vgpr46_vgpr47
                                        ; implicit-def: $vgpr48_vgpr49
                                        ; implicit-def: $vgpr50_vgpr51
                                        ; implicit-def: $vgpr5
                                        ; implicit-def: $vgpr12
                                        ; implicit-def: $vgpr14
                                        ; implicit-def: $vgpr15
	s_sub_i32 s33, s4, s28
.LBB50_3:
	v_mov_b32_e32 v2, 0x80008000
	v_cmp_gt_u32_e32 vcc, s33, v13
	v_mov_b32_e32 v3, v2
	s_and_saveexec_b64 s[2:3], vcc
	s_cbranch_execz .LBB50_5
; %bb.4:
	global_load_ushort v3, v[10:11], off
	s_movk_i32 s4, 0x8000
	v_mov_b32_e32 v5, 0x5040100
	v_mov_b32_e32 v15, v2
	s_waitcnt vmcnt(0)
	v_perm_b32 v14, s4, v3, v5
	v_mov_b64_e32 v[2:3], v[14:15]
.LBB50_5:
	s_or_b64 exec, exec, s[2:3]
	v_add_u32_e32 v12, 64, v13
	v_cmp_gt_u32_e64 s[2:3], s33, v12
	s_and_saveexec_b64 s[4:5], s[2:3]
	s_cbranch_execz .LBB50_7
; %bb.6:
	global_load_ushort v5, v[10:11], off offset:128
	s_mov_b32 s6, 0x5040100
	s_waitcnt vmcnt(0)
	v_perm_b32 v2, v5, v2, s6
.LBB50_7:
	s_or_b64 exec, exec, s[4:5]
	v_add_u32_e32 v14, 0x80, v13
	v_cmp_gt_u32_e64 s[4:5], s33, v14
	s_and_saveexec_b64 s[6:7], s[4:5]
	s_cbranch_execz .LBB50_9
; %bb.8:
	global_load_ushort v5, v[10:11], off offset:256
	s_mov_b32 s8, 0xffff
	s_waitcnt vmcnt(0)
	v_bfi_b32 v3, s8, v5, v3
.LBB50_9:
	s_or_b64 exec, exec, s[6:7]
	v_add_u32_e32 v15, 0xc0, v13
	v_cmp_gt_u32_e64 s[6:7], s33, v15
	s_and_saveexec_b64 s[8:9], s[6:7]
	s_cbranch_execz .LBB50_11
; %bb.10:
	global_load_ushort v5, v[10:11], off offset:384
	s_mov_b32 s10, 0x5040100
	s_waitcnt vmcnt(0)
	v_perm_b32 v3, v5, v3, s10
.LBB50_11:
	s_or_b64 exec, exec, s[8:9]
	s_lshl_b64 s[8:9], s[28:29], 3
	s_add_u32 s8, s40, s8
	s_addc_u32 s9, s41, s9
	v_mov_b32_e32 v5, 0
	v_lshl_add_u64 v[10:11], s[8:9], 0, v[4:5]
	v_mov_b32_e32 v7, v5
	v_lshl_add_u64 v[4:5], v[10:11], 0, v[6:7]
                                        ; implicit-def: $vgpr44_vgpr45
	s_and_saveexec_b64 s[8:9], vcc
	s_cbranch_execnz .LBB50_54
; %bb.12:
	s_or_b64 exec, exec, s[8:9]
                                        ; implicit-def: $vgpr46_vgpr47
	s_and_saveexec_b64 s[8:9], s[2:3]
	s_cbranch_execnz .LBB50_55
.LBB50_13:
	s_or_b64 exec, exec, s[8:9]
                                        ; implicit-def: $vgpr48_vgpr49
	s_and_saveexec_b64 s[2:3], s[4:5]
	s_cbranch_execnz .LBB50_56
.LBB50_14:
	s_or_b64 exec, exec, s[2:3]
                                        ; implicit-def: $vgpr50_vgpr51
	s_and_saveexec_b64 s[2:3], s[6:7]
	s_cbranch_execz .LBB50_16
.LBB50_15:
	global_load_dwordx2 v[50:51], v[4:5], off offset:1536
.LBB50_16:
	s_or_b64 exec, exec, s[2:3]
	v_mov_b32_e32 v5, v13
.LBB50_17:
	s_load_dwordx2 s[36:37], s[0:1], 0x28
	s_movk_i32 s2, 0x7fff
	s_load_dword s0, s[0:1], 0x3c
	v_xor_b32_e32 v7, 0x7fff, v2
	v_xor_b32_sdwa v10, v2, s2 dst_sel:DWORD dst_unused:UNUSED_PAD src0_sel:WORD_1 src1_sel:DWORD
	v_bfe_u32 v2, v0, 10, 10
	v_bfe_u32 v0, v0, 20, 10
	s_waitcnt lgkmcnt(0)
	s_lshr_b32 s1, s0, 16
	s_and_b32 s0, s0, 0xffff
	v_mad_u32_u24 v0, v0, s1, v2
	v_xor_b32_e32 v4, 0x7fff, v3
	v_xor_b32_sdwa v6, v3, s2 dst_sel:DWORD dst_unused:UNUSED_PAD src0_sel:WORD_1 src1_sel:DWORD
	v_mad_u64_u32 v[2:3], s[0:1], v0, s0, v[8:9]
	v_lshrrev_b32_e32 v0, 4, v2
	v_and_b32_e32 v20, 0xffffffc, v0
	v_and_b32_e32 v0, 15, v1
	v_cmp_eq_u32_e64 s[0:1], 0, v0
	v_cmp_lt_u32_e64 s[2:3], 1, v0
	v_cmp_lt_u32_e64 s[4:5], 3, v0
	;; [unrolled: 1-line block ×3, first 2 shown]
	v_and_b32_e32 v0, 16, v1
	v_cmp_eq_u32_e64 s[8:9], 0, v0
	v_and_b32_e32 v0, 0x3c0, v8
	v_min_u32_e32 v0, 0xc0, v0
	v_or_b32_e32 v0, 63, v0
	v_cmp_eq_u32_e64 s[12:13], v8, v0
	v_subrev_co_u32_e64 v0, s[18:19], 1, v1
	v_and_b32_e32 v2, 64, v1
	v_cmp_lt_i32_e32 vcc, v0, v2
	s_mov_b32 s26, 0
	v_cmp_lt_u32_e64 s[10:11], 31, v1
	v_cndmask_b32_e32 v0, v0, v1, vcc
	v_lshlrev_b32_e32 v21, 2, v0
	v_lshrrev_b32_e32 v0, 4, v8
	v_and_b32_e32 v1, 3, v1
	v_lshlrev_b32_e32 v9, 2, v9
	v_and_b32_e32 v22, 60, v0
	v_mul_i32_i24_e32 v0, -12, v8
	v_cmp_eq_u32_e64 s[22:23], 0, v1
	v_cmp_lt_u32_e64 s[24:25], 1, v1
	v_lshlrev_b32_e32 v24, 1, v5
	v_lshlrev_b32_e32 v25, 1, v12
	;; [unrolled: 1-line block ×4, first 2 shown]
	v_mul_lo_u32 v1, v5, 6
	v_mul_lo_u32 v2, v12, 6
	;; [unrolled: 1-line block ×4, first 2 shown]
	s_mov_b32 s41, 0x5040100
	s_mov_b32 s27, s26
	;; [unrolled: 1-line block ×4, first 2 shown]
	s_add_i32 s40, s37, s36
	v_cmp_gt_u32_e64 s[14:15], 4, v8
	v_cmp_lt_u32_e64 s[16:17], 63, v8
	v_cmp_eq_u32_e64 s[20:21], 0, v8
	v_add_u32_e32 v23, -4, v22
	v_perm_b32 v34, v10, v7, s41
	v_perm_b32 v40, v6, v4, s41
	v_mov_b64_e32 v[12:13], s[26:27]
	v_mov_b64_e32 v[16:17], s[44:45]
	v_mov_b32_e32 v19, 0
	v_add_u32_e32 v28, v9, v0
	v_add_u32_e32 v29, v24, v1
	;; [unrolled: 1-line block ×5, first 2 shown]
	s_branch .LBB50_19
.LBB50_18:                              ;   in Loop: Header=BB50_19 Depth=1
	s_andn2_b64 vcc, exec, s[26:27]
	s_cbranch_vccz .LBB50_35
.LBB50_19:                              ; =>This Inner Loop Header: Depth=1
	s_min_u32 s26, s37, 8
	s_lshl_b32 s44, -1, s26
	v_lshrrev_b32_sdwa v0, s36, v34 dst_sel:DWORD dst_unused:UNUSED_PAD src0_sel:DWORD src1_sel:WORD_0
	v_bitop3_b32 v2, v0, s44, v0 bitop3:0x30
	v_and_b32_e32 v18, 1, v2
	v_lshl_add_u64 v[0:1], v[18:19], 0, -1
	v_cmp_ne_u32_e32 vcc, 0, v18
	v_lshlrev_b32_e32 v3, 4, v2
	v_mov_b32_e32 v33, v40
	v_xor_b32_e32 v1, vcc_hi, v1
	v_xor_b32_e32 v0, vcc_lo, v0
	v_and_b32_e32 v18, exec_hi, v1
	v_and_b32_e32 v35, exec_lo, v0
	v_lshlrev_b32_e32 v1, 30, v2
	v_mov_b32_e32 v0, v19
	v_cmp_gt_i64_e32 vcc, 0, v[0:1]
	v_not_b32_e32 v0, v1
	v_ashrrev_i32_e32 v0, 31, v0
	v_xor_b32_e32 v1, vcc_hi, v0
	v_xor_b32_e32 v0, vcc_lo, v0
	v_and_b32_e32 v18, v18, v1
	v_and_b32_e32 v35, v35, v0
	v_lshlrev_b32_e32 v1, 29, v2
	v_mov_b32_e32 v0, v19
	v_cmp_gt_i64_e32 vcc, 0, v[0:1]
	v_not_b32_e32 v0, v1
	v_ashrrev_i32_e32 v0, 31, v0
	v_xor_b32_e32 v1, vcc_hi, v0
	v_xor_b32_e32 v0, vcc_lo, v0
	v_and_b32_e32 v18, v18, v1
	v_and_b32_e32 v35, v35, v0
	;; [unrolled: 9-line block ×7, first 2 shown]
	v_mbcnt_lo_u32_b32 v2, v0, 0
	v_mbcnt_hi_u32_b32 v36, v1, v2
	v_cmp_eq_u32_e32 vcc, 0, v36
	v_cmp_ne_u64_e64 s[26:27], 0, v[0:1]
	s_waitcnt vmcnt(0)
	v_mov_b64_e32 v[14:15], v[44:45]
	v_mov_b64_e32 v[10:11], v[46:47]
	v_mov_b64_e32 v[6:7], v[48:49]
	v_mov_b64_e32 v[4:5], v[50:51]
	s_and_b64 s[46:47], s[26:27], vcc
	v_add_u32_e32 v37, v20, v3
	ds_write2_b64 v9, v[12:13], v[16:17] offset0:2 offset1:3
	s_waitcnt lgkmcnt(0)
	s_barrier
	; wave barrier
	s_and_saveexec_b64 s[26:27], s[46:47]
; %bb.20:                               ;   in Loop: Header=BB50_19 Depth=1
	v_bcnt_u32_b32 v0, v0, 0
	v_bcnt_u32_b32 v0, v1, v0
	ds_write_b32 v37, v0 offset:16
; %bb.21:                               ;   in Loop: Header=BB50_19 Depth=1
	s_or_b64 exec, exec, s[26:27]
	v_lshrrev_b32_e32 v35, 16, v34
	s_not_b32 s44, s44
	v_lshrrev_b32_e32 v0, s36, v35
	v_and_b32_e32 v2, s44, v0
	v_lshlrev_b32_e32 v0, 4, v2
	v_and_b32_e32 v18, 1, v2
	v_add_u32_e32 v39, v20, v0
	v_lshl_add_u64 v[0:1], v[18:19], 0, -1
	v_cmp_ne_u32_e32 vcc, 0, v18
	; wave barrier
	s_nop 1
	v_xor_b32_e32 v1, vcc_hi, v1
	v_xor_b32_e32 v0, vcc_lo, v0
	v_and_b32_e32 v3, exec_hi, v1
	v_and_b32_e32 v18, exec_lo, v0
	v_lshlrev_b32_e32 v1, 30, v2
	v_mov_b32_e32 v0, v19
	v_cmp_gt_i64_e32 vcc, 0, v[0:1]
	v_not_b32_e32 v0, v1
	v_ashrrev_i32_e32 v0, 31, v0
	v_xor_b32_e32 v1, vcc_hi, v0
	v_xor_b32_e32 v0, vcc_lo, v0
	v_and_b32_e32 v3, v3, v1
	v_and_b32_e32 v18, v18, v0
	v_lshlrev_b32_e32 v1, 29, v2
	v_mov_b32_e32 v0, v19
	v_cmp_gt_i64_e32 vcc, 0, v[0:1]
	v_not_b32_e32 v0, v1
	v_ashrrev_i32_e32 v0, 31, v0
	v_xor_b32_e32 v1, vcc_hi, v0
	v_xor_b32_e32 v0, vcc_lo, v0
	v_and_b32_e32 v3, v3, v1
	v_and_b32_e32 v18, v18, v0
	;; [unrolled: 9-line block ×6, first 2 shown]
	v_lshlrev_b32_e32 v1, 24, v2
	v_mov_b32_e32 v0, v19
	v_cmp_gt_i64_e32 vcc, 0, v[0:1]
	v_not_b32_e32 v0, v1
	v_ashrrev_i32_e32 v0, 31, v0
	v_xor_b32_e32 v1, vcc_hi, v0
	v_xor_b32_e32 v0, vcc_lo, v0
	ds_read_b32 v38, v39 offset:16
	v_and_b32_e32 v0, v18, v0
	v_and_b32_e32 v1, v3, v1
	v_mbcnt_lo_u32_b32 v2, v0, 0
	v_mbcnt_hi_u32_b32 v40, v1, v2
	v_cmp_eq_u32_e32 vcc, 0, v40
	v_cmp_ne_u64_e64 s[26:27], 0, v[0:1]
	s_and_b64 s[46:47], s[26:27], vcc
	; wave barrier
	s_and_saveexec_b64 s[26:27], s[46:47]
	s_cbranch_execz .LBB50_23
; %bb.22:                               ;   in Loop: Header=BB50_19 Depth=1
	v_bcnt_u32_b32 v0, v0, 0
	v_bcnt_u32_b32 v0, v1, v0
	s_waitcnt lgkmcnt(0)
	v_add_u32_e32 v0, v38, v0
	ds_write_b32 v39, v0 offset:16
.LBB50_23:                              ;   in Loop: Header=BB50_19 Depth=1
	s_or_b64 exec, exec, s[26:27]
	v_lshrrev_b32_sdwa v0, s36, v33 dst_sel:DWORD dst_unused:UNUSED_PAD src0_sel:DWORD src1_sel:WORD_0
	v_and_b32_e32 v2, s44, v0
	v_lshlrev_b32_e32 v0, 4, v2
	v_and_b32_e32 v18, 1, v2
	v_add_u32_e32 v42, v20, v0
	v_lshl_add_u64 v[0:1], v[18:19], 0, -1
	v_cmp_ne_u32_e32 vcc, 0, v18
	; wave barrier
	s_nop 1
	v_xor_b32_e32 v1, vcc_hi, v1
	v_xor_b32_e32 v0, vcc_lo, v0
	v_and_b32_e32 v3, exec_hi, v1
	v_and_b32_e32 v18, exec_lo, v0
	v_lshlrev_b32_e32 v1, 30, v2
	v_mov_b32_e32 v0, v19
	v_cmp_gt_i64_e32 vcc, 0, v[0:1]
	v_not_b32_e32 v0, v1
	v_ashrrev_i32_e32 v0, 31, v0
	v_xor_b32_e32 v1, vcc_hi, v0
	v_xor_b32_e32 v0, vcc_lo, v0
	v_and_b32_e32 v3, v3, v1
	v_and_b32_e32 v18, v18, v0
	v_lshlrev_b32_e32 v1, 29, v2
	v_mov_b32_e32 v0, v19
	v_cmp_gt_i64_e32 vcc, 0, v[0:1]
	v_not_b32_e32 v0, v1
	v_ashrrev_i32_e32 v0, 31, v0
	v_xor_b32_e32 v1, vcc_hi, v0
	v_xor_b32_e32 v0, vcc_lo, v0
	v_and_b32_e32 v3, v3, v1
	v_and_b32_e32 v18, v18, v0
	;; [unrolled: 9-line block ×6, first 2 shown]
	v_lshlrev_b32_e32 v1, 24, v2
	v_mov_b32_e32 v0, v19
	v_cmp_gt_i64_e32 vcc, 0, v[0:1]
	v_not_b32_e32 v0, v1
	v_ashrrev_i32_e32 v0, 31, v0
	v_xor_b32_e32 v1, vcc_hi, v0
	v_xor_b32_e32 v0, vcc_lo, v0
	ds_read_b32 v41, v42 offset:16
	v_and_b32_e32 v0, v18, v0
	v_and_b32_e32 v1, v3, v1
	v_mbcnt_lo_u32_b32 v2, v0, 0
	v_mbcnt_hi_u32_b32 v44, v1, v2
	v_cmp_eq_u32_e32 vcc, 0, v44
	v_cmp_ne_u64_e64 s[26:27], 0, v[0:1]
	s_and_b64 s[46:47], s[26:27], vcc
	; wave barrier
	s_and_saveexec_b64 s[26:27], s[46:47]
	s_cbranch_execz .LBB50_25
; %bb.24:                               ;   in Loop: Header=BB50_19 Depth=1
	v_bcnt_u32_b32 v0, v0, 0
	v_bcnt_u32_b32 v0, v1, v0
	s_waitcnt lgkmcnt(0)
	v_add_u32_e32 v0, v41, v0
	ds_write_b32 v42, v0 offset:16
.LBB50_25:                              ;   in Loop: Header=BB50_19 Depth=1
	s_or_b64 exec, exec, s[26:27]
	v_lshrrev_b32_e32 v43, 16, v33
	v_lshrrev_b32_e32 v0, s36, v43
	v_and_b32_e32 v2, s44, v0
	v_lshlrev_b32_e32 v0, 4, v2
	v_and_b32_e32 v18, 1, v2
	v_add_u32_e32 v46, v20, v0
	v_lshl_add_u64 v[0:1], v[18:19], 0, -1
	v_cmp_ne_u32_e32 vcc, 0, v18
	; wave barrier
	s_nop 1
	v_xor_b32_e32 v1, vcc_hi, v1
	v_xor_b32_e32 v0, vcc_lo, v0
	v_and_b32_e32 v3, exec_hi, v1
	v_and_b32_e32 v18, exec_lo, v0
	v_lshlrev_b32_e32 v1, 30, v2
	v_mov_b32_e32 v0, v19
	v_cmp_gt_i64_e32 vcc, 0, v[0:1]
	v_not_b32_e32 v0, v1
	v_ashrrev_i32_e32 v0, 31, v0
	v_xor_b32_e32 v1, vcc_hi, v0
	v_xor_b32_e32 v0, vcc_lo, v0
	v_and_b32_e32 v3, v3, v1
	v_and_b32_e32 v18, v18, v0
	v_lshlrev_b32_e32 v1, 29, v2
	v_mov_b32_e32 v0, v19
	v_cmp_gt_i64_e32 vcc, 0, v[0:1]
	v_not_b32_e32 v0, v1
	v_ashrrev_i32_e32 v0, 31, v0
	v_xor_b32_e32 v1, vcc_hi, v0
	v_xor_b32_e32 v0, vcc_lo, v0
	v_and_b32_e32 v3, v3, v1
	v_and_b32_e32 v18, v18, v0
	;; [unrolled: 9-line block ×6, first 2 shown]
	v_lshlrev_b32_e32 v1, 24, v2
	v_mov_b32_e32 v0, v19
	v_cmp_gt_i64_e32 vcc, 0, v[0:1]
	v_not_b32_e32 v0, v1
	v_ashrrev_i32_e32 v0, 31, v0
	v_xor_b32_e32 v1, vcc_hi, v0
	v_xor_b32_e32 v0, vcc_lo, v0
	ds_read_b32 v45, v46 offset:16
	v_and_b32_e32 v0, v18, v0
	v_and_b32_e32 v1, v3, v1
	v_mbcnt_lo_u32_b32 v2, v0, 0
	v_mbcnt_hi_u32_b32 v18, v1, v2
	v_cmp_eq_u32_e32 vcc, 0, v18
	v_cmp_ne_u64_e64 s[26:27], 0, v[0:1]
	s_and_b64 s[44:45], s[26:27], vcc
	; wave barrier
	s_and_saveexec_b64 s[26:27], s[44:45]
	s_cbranch_execz .LBB50_27
; %bb.26:                               ;   in Loop: Header=BB50_19 Depth=1
	v_bcnt_u32_b32 v0, v0, 0
	v_bcnt_u32_b32 v0, v1, v0
	s_waitcnt lgkmcnt(0)
	v_add_u32_e32 v0, v45, v0
	ds_write_b32 v46, v0 offset:16
.LBB50_27:                              ;   in Loop: Header=BB50_19 Depth=1
	s_or_b64 exec, exec, s[26:27]
	; wave barrier
	s_waitcnt lgkmcnt(0)
	s_barrier
	ds_read2_b64 v[0:3], v9 offset0:2 offset1:3
	s_waitcnt lgkmcnt(0)
	v_add_u32_e32 v47, v1, v0
	v_add3_u32 v3, v47, v2, v3
	s_nop 1
	v_mov_b32_dpp v47, v3 row_shr:1 row_mask:0xf bank_mask:0xf
	v_cndmask_b32_e64 v47, v47, 0, s[0:1]
	v_add_u32_e32 v3, v47, v3
	s_nop 1
	v_mov_b32_dpp v47, v3 row_shr:2 row_mask:0xf bank_mask:0xf
	v_cndmask_b32_e64 v47, 0, v47, s[2:3]
	v_add_u32_e32 v3, v3, v47
	;; [unrolled: 4-line block ×4, first 2 shown]
	s_nop 1
	v_mov_b32_dpp v47, v3 row_bcast:15 row_mask:0xf bank_mask:0xf
	v_cndmask_b32_e64 v47, v47, 0, s[8:9]
	v_add_u32_e32 v3, v3, v47
	s_nop 1
	v_mov_b32_dpp v47, v3 row_bcast:31 row_mask:0xf bank_mask:0xf
	v_cndmask_b32_e64 v47, 0, v47, s[10:11]
	v_add_u32_e32 v3, v3, v47
	s_and_saveexec_b64 s[26:27], s[12:13]
; %bb.28:                               ;   in Loop: Header=BB50_19 Depth=1
	ds_write_b32 v22, v3
; %bb.29:                               ;   in Loop: Header=BB50_19 Depth=1
	s_or_b64 exec, exec, s[26:27]
	s_waitcnt lgkmcnt(0)
	s_barrier
	s_and_saveexec_b64 s[26:27], s[14:15]
	s_cbranch_execz .LBB50_31
; %bb.30:                               ;   in Loop: Header=BB50_19 Depth=1
	ds_read_b32 v47, v28
	s_waitcnt lgkmcnt(0)
	s_nop 0
	v_mov_b32_dpp v48, v47 row_shr:1 row_mask:0xf bank_mask:0xf
	v_cndmask_b32_e64 v48, v48, 0, s[22:23]
	v_add_u32_e32 v47, v48, v47
	s_nop 1
	v_mov_b32_dpp v48, v47 row_shr:2 row_mask:0xf bank_mask:0xf
	v_cndmask_b32_e64 v48, 0, v48, s[24:25]
	v_add_u32_e32 v47, v47, v48
	ds_write_b32 v28, v47
.LBB50_31:                              ;   in Loop: Header=BB50_19 Depth=1
	s_or_b64 exec, exec, s[26:27]
	v_mov_b32_e32 v47, 0
	s_waitcnt lgkmcnt(0)
	s_barrier
	s_and_saveexec_b64 s[26:27], s[16:17]
; %bb.32:                               ;   in Loop: Header=BB50_19 Depth=1
	ds_read_b32 v47, v23
; %bb.33:                               ;   in Loop: Header=BB50_19 Depth=1
	s_or_b64 exec, exec, s[26:27]
	s_waitcnt lgkmcnt(0)
	v_add_u32_e32 v3, v47, v3
	ds_bpermute_b32 v3, v21, v3
	s_add_i32 s36, s36, 8
	s_cmp_ge_u32 s36, s40
	s_mov_b64 s[26:27], -1
                                        ; implicit-def: $vgpr50_vgpr51
	s_waitcnt lgkmcnt(0)
	v_cndmask_b32_e64 v3, v3, v47, s[18:19]
	v_cndmask_b32_e64 v48, v3, 0, s[20:21]
	v_add_u32_e32 v49, v48, v0
	v_add_u32_e32 v0, v49, v1
	;; [unrolled: 1-line block ×3, first 2 shown]
	ds_write2_b64 v9, v[48:49], v[0:1] offset0:2 offset1:3
	s_waitcnt lgkmcnt(0)
	s_barrier
	ds_read_b32 v0, v37 offset:16
	ds_read_b32 v1, v39 offset:16
	;; [unrolled: 1-line block ×4, first 2 shown]
	v_mov_b32_e32 v39, v34
	s_waitcnt lgkmcnt(3)
	v_add_u32_e32 v42, v0, v36
	s_waitcnt lgkmcnt(2)
	v_add3_u32 v36, v40, v38, v1
	s_waitcnt lgkmcnt(1)
	v_add3_u32 v3, v44, v41, v2
	;; [unrolled: 2-line block ×3, first 2 shown]
	v_lshlrev_b32_e32 v37, 1, v42
	v_lshlrev_b32_e32 v18, 1, v36
	;; [unrolled: 1-line block ×4, first 2 shown]
	v_mul_lo_u32 v38, v42, 6
                                        ; implicit-def: $vgpr40
                                        ; implicit-def: $vgpr44_vgpr45
                                        ; implicit-def: $vgpr46_vgpr47
                                        ; implicit-def: $vgpr48_vgpr49
	s_cbranch_scc1 .LBB50_18
; %bb.34:                               ;   in Loop: Header=BB50_19 Depth=1
	v_add_u32_e32 v40, v37, v38
	s_barrier
	ds_write_b16 v37, v34
	ds_write_b16 v18, v35
	;; [unrolled: 1-line block ×4, first 2 shown]
	s_waitcnt lgkmcnt(0)
	s_barrier
	ds_read_u16 v34, v24
	ds_read_u16 v42, v25
	;; [unrolled: 1-line block ×4, first 2 shown]
	s_waitcnt lgkmcnt(0)
	s_barrier
	ds_write_b64 v40, v[14:15]
	v_mad_u64_u32 v[40:41], s[26:27], v36, 6, v[18:19]
	ds_write_b64 v40, v[10:11]
	v_mad_u64_u32 v[40:41], s[26:27], v3, 6, v[2:3]
	;; [unrolled: 2-line block ×3, first 2 shown]
	ds_write_b64 v40, v[4:5]
	s_waitcnt lgkmcnt(0)
	s_barrier
	ds_read_b64 v[44:45], v29
	ds_read_b64 v[46:47], v30
	;; [unrolled: 1-line block ×4, first 2 shown]
	v_perm_b32 v34, v42, v34, s41
	v_perm_b32 v40, v53, v52, s41
	s_add_i32 s37, s37, -8
	s_mov_b64 s[26:27], 0
	s_waitcnt lgkmcnt(0)
	s_barrier
	s_branch .LBB50_18
.LBB50_35:
	v_lshlrev_b32_e32 v12, 1, v8
	s_barrier
	ds_write_b16 v37, v39
	ds_write_b16 v18, v35
	;; [unrolled: 1-line block ×4, first 2 shown]
	s_waitcnt lgkmcnt(0)
	s_barrier
	ds_read_u16 v9, v12
	ds_read_u16 v13, v12 offset:512
	ds_read_u16 v17, v12 offset:1024
	;; [unrolled: 1-line block ×3, first 2 shown]
	v_add_u32_e32 v16, v37, v38
	s_waitcnt lgkmcnt(0)
	s_barrier
	ds_write_b64 v16, v[14:15]
	v_mad_u64_u32 v[14:15], s[0:1], v36, 6, v[18:19]
	v_mad_u64_u32 v[2:3], s[0:1], v3, 6, v[2:3]
	;; [unrolled: 1-line block ×3, first 2 shown]
	ds_write_b64 v14, v[10:11]
	ds_write_b64 v2, v[6:7]
	;; [unrolled: 1-line block ×3, first 2 shown]
	v_mad_u32_u24 v0, v8, 6, v12
	s_waitcnt lgkmcnt(0)
	s_barrier
	ds_read2st64_b64 v[4:7], v0 offset1:4
	ds_read2st64_b64 v[0:3], v0 offset0:8 offset1:12
	s_add_u32 s0, s38, s34
	v_xor_b32_e32 v15, 0x7fff, v13
	s_addc_u32 s1, s39, s35
	v_mov_b32_e32 v13, 0
	v_xor_b32_e32 v16, 0x7fff, v9
	v_xor_b32_e32 v14, 0x7fff, v17
	;; [unrolled: 1-line block ×3, first 2 shown]
	v_lshl_add_u64 v[10:11], s[0:1], 0, v[12:13]
	s_andn2_b64 vcc, exec, s[30:31]
	v_lshlrev_b32_e32 v12, 3, v8
	s_cbranch_vccnz .LBB50_37
; %bb.36:
	s_lshl_b64 s[0:1], s[28:29], 3
	s_add_u32 s0, s42, s0
	s_addc_u32 s1, s43, s1
	v_lshl_add_u64 v[18:19], s[0:1], 0, v[12:13]
	v_add_co_u32_e32 v18, vcc, 0x1000, v18
	global_store_short v[10:11], v16, off
	global_store_short v[10:11], v15, off offset:512
	global_store_short v[10:11], v14, off offset:1024
	;; [unrolled: 1-line block ×3, first 2 shown]
	s_waitcnt lgkmcnt(1)
	global_store_dwordx2 v12, v[4:5], s[0:1]
	global_store_dwordx2 v12, v[6:7], s[0:1] offset:2048
	v_addc_co_u32_e32 v19, vcc, 0, v19, vcc
	s_mov_b64 s[4:5], -1
	s_waitcnt lgkmcnt(0)
	global_store_dwordx2 v[18:19], v[0:1], off
	s_cbranch_execz .LBB50_38
	s_branch .LBB50_51
.LBB50_37:
	s_mov_b64 s[4:5], 0
.LBB50_38:
	v_cmp_gt_u32_e32 vcc, s33, v8
	s_and_saveexec_b64 s[0:1], vcc
	s_cbranch_execz .LBB50_40
; %bb.39:
	global_store_short v[10:11], v16, off
.LBB50_40:
	s_or_b64 exec, exec, s[0:1]
	v_add_u32_e32 v13, 0x100, v8
	v_cmp_gt_u32_e64 s[0:1], s33, v13
	s_and_saveexec_b64 s[2:3], s[0:1]
	s_cbranch_execz .LBB50_42
; %bb.41:
	global_store_short v[10:11], v15, off offset:512
.LBB50_42:
	s_or_b64 exec, exec, s[2:3]
	v_add_u32_e32 v13, 0x200, v8
	v_cmp_gt_u32_e64 s[2:3], s33, v13
	s_and_saveexec_b64 s[4:5], s[2:3]
	s_cbranch_execz .LBB50_44
; %bb.43:
	global_store_short v[10:11], v14, off offset:1024
.LBB50_44:
	;; [unrolled: 8-line block ×3, first 2 shown]
	s_or_b64 exec, exec, s[6:7]
	s_lshl_b64 s[6:7], s[28:29], 3
	s_add_u32 s6, s42, s6
	s_addc_u32 s7, s43, s7
	v_mov_b32_e32 v13, 0
	v_lshl_add_u64 v[8:9], s[6:7], 0, v[12:13]
	s_and_saveexec_b64 s[6:7], vcc
	s_cbranch_execnz .LBB50_57
; %bb.47:
	s_or_b64 exec, exec, s[6:7]
	s_and_saveexec_b64 s[6:7], s[0:1]
	s_cbranch_execnz .LBB50_58
.LBB50_48:
	s_or_b64 exec, exec, s[6:7]
	s_and_saveexec_b64 s[0:1], s[2:3]
	s_cbranch_execz .LBB50_50
.LBB50_49:
	s_waitcnt lgkmcnt(1)
	v_add_co_u32_e32 v4, vcc, 0x1000, v8
	s_nop 1
	v_addc_co_u32_e32 v5, vcc, 0, v9, vcc
	s_waitcnt lgkmcnt(0)
	global_store_dwordx2 v[4:5], v[0:1], off
.LBB50_50:
	s_or_b64 exec, exec, s[0:1]
.LBB50_51:
	s_and_saveexec_b64 s[0:1], s[4:5]
	s_cbranch_execnz .LBB50_53
; %bb.52:
	s_endpgm
.LBB50_53:
	s_lshl_b64 s[0:1], s[28:29], 3
	s_add_u32 s0, s42, s0
	s_addc_u32 s1, s43, s1
	v_mov_b32_e32 v13, 0
	s_waitcnt lgkmcnt(0)
	v_lshl_add_u64 v[0:1], s[0:1], 0, v[12:13]
	v_add_co_u32_e32 v0, vcc, 0x1000, v0
	s_nop 1
	v_addc_co_u32_e32 v1, vcc, 0, v1, vcc
	global_store_dwordx2 v[0:1], v[2:3], off offset:2048
	s_endpgm
.LBB50_54:
	global_load_dwordx2 v[44:45], v[4:5], off
	s_or_b64 exec, exec, s[8:9]
                                        ; implicit-def: $vgpr46_vgpr47
	s_and_saveexec_b64 s[8:9], s[2:3]
	s_cbranch_execz .LBB50_13
.LBB50_55:
	global_load_dwordx2 v[46:47], v[4:5], off offset:512
	s_or_b64 exec, exec, s[8:9]
                                        ; implicit-def: $vgpr48_vgpr49
	s_and_saveexec_b64 s[2:3], s[4:5]
	s_cbranch_execz .LBB50_14
.LBB50_56:
	global_load_dwordx2 v[48:49], v[4:5], off offset:1024
	s_or_b64 exec, exec, s[2:3]
                                        ; implicit-def: $vgpr50_vgpr51
	s_and_saveexec_b64 s[2:3], s[6:7]
	s_cbranch_execnz .LBB50_15
	s_branch .LBB50_16
.LBB50_57:
	s_waitcnt lgkmcnt(1)
	global_store_dwordx2 v[8:9], v[4:5], off
	s_or_b64 exec, exec, s[6:7]
	s_and_saveexec_b64 s[6:7], s[0:1]
	s_cbranch_execz .LBB50_48
.LBB50_58:
	s_waitcnt lgkmcnt(1)
	global_store_dwordx2 v[8:9], v[6:7], off offset:2048
	s_or_b64 exec, exec, s[6:7]
	s_and_saveexec_b64 s[0:1], s[2:3]
	s_cbranch_execnz .LBB50_49
	s_branch .LBB50_50
	.section	.rodata,"a",@progbits
	.p2align	6, 0x0
	.amdhsa_kernel _ZN7rocprim17ROCPRIM_304000_NS6detail28radix_sort_block_sort_kernelINS1_36wrapped_radix_sort_block_sort_configINS0_13kernel_configILj256ELj4ELj4294967295EEEsN2at4cuda3cub6detail10OpaqueTypeILi8EEEEELb1EPKsPsPKSB_PSB_NS0_19identity_decomposerEEEvT1_T2_T3_T4_jT5_jj
		.amdhsa_group_segment_fixed_size 8192
		.amdhsa_private_segment_fixed_size 0
		.amdhsa_kernarg_size 304
		.amdhsa_user_sgpr_count 2
		.amdhsa_user_sgpr_dispatch_ptr 0
		.amdhsa_user_sgpr_queue_ptr 0
		.amdhsa_user_sgpr_kernarg_segment_ptr 1
		.amdhsa_user_sgpr_dispatch_id 0
		.amdhsa_user_sgpr_kernarg_preload_length 0
		.amdhsa_user_sgpr_kernarg_preload_offset 0
		.amdhsa_user_sgpr_private_segment_size 0
		.amdhsa_uses_dynamic_stack 0
		.amdhsa_enable_private_segment 0
		.amdhsa_system_sgpr_workgroup_id_x 1
		.amdhsa_system_sgpr_workgroup_id_y 0
		.amdhsa_system_sgpr_workgroup_id_z 0
		.amdhsa_system_sgpr_workgroup_info 0
		.amdhsa_system_vgpr_workitem_id 2
		.amdhsa_next_free_vgpr 54
		.amdhsa_next_free_sgpr 48
		.amdhsa_accum_offset 56
		.amdhsa_reserve_vcc 1
		.amdhsa_float_round_mode_32 0
		.amdhsa_float_round_mode_16_64 0
		.amdhsa_float_denorm_mode_32 3
		.amdhsa_float_denorm_mode_16_64 3
		.amdhsa_dx10_clamp 1
		.amdhsa_ieee_mode 1
		.amdhsa_fp16_overflow 0
		.amdhsa_tg_split 0
		.amdhsa_exception_fp_ieee_invalid_op 0
		.amdhsa_exception_fp_denorm_src 0
		.amdhsa_exception_fp_ieee_div_zero 0
		.amdhsa_exception_fp_ieee_overflow 0
		.amdhsa_exception_fp_ieee_underflow 0
		.amdhsa_exception_fp_ieee_inexact 0
		.amdhsa_exception_int_div_zero 0
	.end_amdhsa_kernel
	.section	.text._ZN7rocprim17ROCPRIM_304000_NS6detail28radix_sort_block_sort_kernelINS1_36wrapped_radix_sort_block_sort_configINS0_13kernel_configILj256ELj4ELj4294967295EEEsN2at4cuda3cub6detail10OpaqueTypeILi8EEEEELb1EPKsPsPKSB_PSB_NS0_19identity_decomposerEEEvT1_T2_T3_T4_jT5_jj,"axG",@progbits,_ZN7rocprim17ROCPRIM_304000_NS6detail28radix_sort_block_sort_kernelINS1_36wrapped_radix_sort_block_sort_configINS0_13kernel_configILj256ELj4ELj4294967295EEEsN2at4cuda3cub6detail10OpaqueTypeILi8EEEEELb1EPKsPsPKSB_PSB_NS0_19identity_decomposerEEEvT1_T2_T3_T4_jT5_jj,comdat
.Lfunc_end50:
	.size	_ZN7rocprim17ROCPRIM_304000_NS6detail28radix_sort_block_sort_kernelINS1_36wrapped_radix_sort_block_sort_configINS0_13kernel_configILj256ELj4ELj4294967295EEEsN2at4cuda3cub6detail10OpaqueTypeILi8EEEEELb1EPKsPsPKSB_PSB_NS0_19identity_decomposerEEEvT1_T2_T3_T4_jT5_jj, .Lfunc_end50-_ZN7rocprim17ROCPRIM_304000_NS6detail28radix_sort_block_sort_kernelINS1_36wrapped_radix_sort_block_sort_configINS0_13kernel_configILj256ELj4ELj4294967295EEEsN2at4cuda3cub6detail10OpaqueTypeILi8EEEEELb1EPKsPsPKSB_PSB_NS0_19identity_decomposerEEEvT1_T2_T3_T4_jT5_jj
                                        ; -- End function
	.set _ZN7rocprim17ROCPRIM_304000_NS6detail28radix_sort_block_sort_kernelINS1_36wrapped_radix_sort_block_sort_configINS0_13kernel_configILj256ELj4ELj4294967295EEEsN2at4cuda3cub6detail10OpaqueTypeILi8EEEEELb1EPKsPsPKSB_PSB_NS0_19identity_decomposerEEEvT1_T2_T3_T4_jT5_jj.num_vgpr, 54
	.set _ZN7rocprim17ROCPRIM_304000_NS6detail28radix_sort_block_sort_kernelINS1_36wrapped_radix_sort_block_sort_configINS0_13kernel_configILj256ELj4ELj4294967295EEEsN2at4cuda3cub6detail10OpaqueTypeILi8EEEEELb1EPKsPsPKSB_PSB_NS0_19identity_decomposerEEEvT1_T2_T3_T4_jT5_jj.num_agpr, 0
	.set _ZN7rocprim17ROCPRIM_304000_NS6detail28radix_sort_block_sort_kernelINS1_36wrapped_radix_sort_block_sort_configINS0_13kernel_configILj256ELj4ELj4294967295EEEsN2at4cuda3cub6detail10OpaqueTypeILi8EEEEELb1EPKsPsPKSB_PSB_NS0_19identity_decomposerEEEvT1_T2_T3_T4_jT5_jj.numbered_sgpr, 48
	.set _ZN7rocprim17ROCPRIM_304000_NS6detail28radix_sort_block_sort_kernelINS1_36wrapped_radix_sort_block_sort_configINS0_13kernel_configILj256ELj4ELj4294967295EEEsN2at4cuda3cub6detail10OpaqueTypeILi8EEEEELb1EPKsPsPKSB_PSB_NS0_19identity_decomposerEEEvT1_T2_T3_T4_jT5_jj.num_named_barrier, 0
	.set _ZN7rocprim17ROCPRIM_304000_NS6detail28radix_sort_block_sort_kernelINS1_36wrapped_radix_sort_block_sort_configINS0_13kernel_configILj256ELj4ELj4294967295EEEsN2at4cuda3cub6detail10OpaqueTypeILi8EEEEELb1EPKsPsPKSB_PSB_NS0_19identity_decomposerEEEvT1_T2_T3_T4_jT5_jj.private_seg_size, 0
	.set _ZN7rocprim17ROCPRIM_304000_NS6detail28radix_sort_block_sort_kernelINS1_36wrapped_radix_sort_block_sort_configINS0_13kernel_configILj256ELj4ELj4294967295EEEsN2at4cuda3cub6detail10OpaqueTypeILi8EEEEELb1EPKsPsPKSB_PSB_NS0_19identity_decomposerEEEvT1_T2_T3_T4_jT5_jj.uses_vcc, 1
	.set _ZN7rocprim17ROCPRIM_304000_NS6detail28radix_sort_block_sort_kernelINS1_36wrapped_radix_sort_block_sort_configINS0_13kernel_configILj256ELj4ELj4294967295EEEsN2at4cuda3cub6detail10OpaqueTypeILi8EEEEELb1EPKsPsPKSB_PSB_NS0_19identity_decomposerEEEvT1_T2_T3_T4_jT5_jj.uses_flat_scratch, 0
	.set _ZN7rocprim17ROCPRIM_304000_NS6detail28radix_sort_block_sort_kernelINS1_36wrapped_radix_sort_block_sort_configINS0_13kernel_configILj256ELj4ELj4294967295EEEsN2at4cuda3cub6detail10OpaqueTypeILi8EEEEELb1EPKsPsPKSB_PSB_NS0_19identity_decomposerEEEvT1_T2_T3_T4_jT5_jj.has_dyn_sized_stack, 0
	.set _ZN7rocprim17ROCPRIM_304000_NS6detail28radix_sort_block_sort_kernelINS1_36wrapped_radix_sort_block_sort_configINS0_13kernel_configILj256ELj4ELj4294967295EEEsN2at4cuda3cub6detail10OpaqueTypeILi8EEEEELb1EPKsPsPKSB_PSB_NS0_19identity_decomposerEEEvT1_T2_T3_T4_jT5_jj.has_recursion, 0
	.set _ZN7rocprim17ROCPRIM_304000_NS6detail28radix_sort_block_sort_kernelINS1_36wrapped_radix_sort_block_sort_configINS0_13kernel_configILj256ELj4ELj4294967295EEEsN2at4cuda3cub6detail10OpaqueTypeILi8EEEEELb1EPKsPsPKSB_PSB_NS0_19identity_decomposerEEEvT1_T2_T3_T4_jT5_jj.has_indirect_call, 0
	.section	.AMDGPU.csdata,"",@progbits
; Kernel info:
; codeLenInByte = 4128
; TotalNumSgprs: 54
; NumVgprs: 54
; NumAgprs: 0
; TotalNumVgprs: 54
; ScratchSize: 0
; MemoryBound: 0
; FloatMode: 240
; IeeeMode: 1
; LDSByteSize: 8192 bytes/workgroup (compile time only)
; SGPRBlocks: 6
; VGPRBlocks: 6
; NumSGPRsForWavesPerEU: 54
; NumVGPRsForWavesPerEU: 54
; AccumOffset: 56
; Occupancy: 8
; WaveLimiterHint : 1
; COMPUTE_PGM_RSRC2:SCRATCH_EN: 0
; COMPUTE_PGM_RSRC2:USER_SGPR: 2
; COMPUTE_PGM_RSRC2:TRAP_HANDLER: 0
; COMPUTE_PGM_RSRC2:TGID_X_EN: 1
; COMPUTE_PGM_RSRC2:TGID_Y_EN: 0
; COMPUTE_PGM_RSRC2:TGID_Z_EN: 0
; COMPUTE_PGM_RSRC2:TIDIG_COMP_CNT: 2
; COMPUTE_PGM_RSRC3_GFX90A:ACCUM_OFFSET: 13
; COMPUTE_PGM_RSRC3_GFX90A:TG_SPLIT: 0
	.section	.text._ZN7rocprim17ROCPRIM_304000_NS6detail39device_merge_sort_compile_time_verifierINS1_36wrapped_merge_sort_block_sort_configINS1_28merge_sort_block_sort_configILj256ELj4ELNS0_20block_sort_algorithmE0EEEsN2at4cuda3cub6detail10OpaqueTypeILi8EEEEENS1_37wrapped_merge_sort_block_merge_configINS0_14default_configEsSC_EEEEvv,"axG",@progbits,_ZN7rocprim17ROCPRIM_304000_NS6detail39device_merge_sort_compile_time_verifierINS1_36wrapped_merge_sort_block_sort_configINS1_28merge_sort_block_sort_configILj256ELj4ELNS0_20block_sort_algorithmE0EEEsN2at4cuda3cub6detail10OpaqueTypeILi8EEEEENS1_37wrapped_merge_sort_block_merge_configINS0_14default_configEsSC_EEEEvv,comdat
	.protected	_ZN7rocprim17ROCPRIM_304000_NS6detail39device_merge_sort_compile_time_verifierINS1_36wrapped_merge_sort_block_sort_configINS1_28merge_sort_block_sort_configILj256ELj4ELNS0_20block_sort_algorithmE0EEEsN2at4cuda3cub6detail10OpaqueTypeILi8EEEEENS1_37wrapped_merge_sort_block_merge_configINS0_14default_configEsSC_EEEEvv ; -- Begin function _ZN7rocprim17ROCPRIM_304000_NS6detail39device_merge_sort_compile_time_verifierINS1_36wrapped_merge_sort_block_sort_configINS1_28merge_sort_block_sort_configILj256ELj4ELNS0_20block_sort_algorithmE0EEEsN2at4cuda3cub6detail10OpaqueTypeILi8EEEEENS1_37wrapped_merge_sort_block_merge_configINS0_14default_configEsSC_EEEEvv
	.globl	_ZN7rocprim17ROCPRIM_304000_NS6detail39device_merge_sort_compile_time_verifierINS1_36wrapped_merge_sort_block_sort_configINS1_28merge_sort_block_sort_configILj256ELj4ELNS0_20block_sort_algorithmE0EEEsN2at4cuda3cub6detail10OpaqueTypeILi8EEEEENS1_37wrapped_merge_sort_block_merge_configINS0_14default_configEsSC_EEEEvv
	.p2align	8
	.type	_ZN7rocprim17ROCPRIM_304000_NS6detail39device_merge_sort_compile_time_verifierINS1_36wrapped_merge_sort_block_sort_configINS1_28merge_sort_block_sort_configILj256ELj4ELNS0_20block_sort_algorithmE0EEEsN2at4cuda3cub6detail10OpaqueTypeILi8EEEEENS1_37wrapped_merge_sort_block_merge_configINS0_14default_configEsSC_EEEEvv,@function
_ZN7rocprim17ROCPRIM_304000_NS6detail39device_merge_sort_compile_time_verifierINS1_36wrapped_merge_sort_block_sort_configINS1_28merge_sort_block_sort_configILj256ELj4ELNS0_20block_sort_algorithmE0EEEsN2at4cuda3cub6detail10OpaqueTypeILi8EEEEENS1_37wrapped_merge_sort_block_merge_configINS0_14default_configEsSC_EEEEvv: ; @_ZN7rocprim17ROCPRIM_304000_NS6detail39device_merge_sort_compile_time_verifierINS1_36wrapped_merge_sort_block_sort_configINS1_28merge_sort_block_sort_configILj256ELj4ELNS0_20block_sort_algorithmE0EEEsN2at4cuda3cub6detail10OpaqueTypeILi8EEEEENS1_37wrapped_merge_sort_block_merge_configINS0_14default_configEsSC_EEEEvv
; %bb.0:
	s_endpgm
	.section	.rodata,"a",@progbits
	.p2align	6, 0x0
	.amdhsa_kernel _ZN7rocprim17ROCPRIM_304000_NS6detail39device_merge_sort_compile_time_verifierINS1_36wrapped_merge_sort_block_sort_configINS1_28merge_sort_block_sort_configILj256ELj4ELNS0_20block_sort_algorithmE0EEEsN2at4cuda3cub6detail10OpaqueTypeILi8EEEEENS1_37wrapped_merge_sort_block_merge_configINS0_14default_configEsSC_EEEEvv
		.amdhsa_group_segment_fixed_size 0
		.amdhsa_private_segment_fixed_size 0
		.amdhsa_kernarg_size 0
		.amdhsa_user_sgpr_count 0
		.amdhsa_user_sgpr_dispatch_ptr 0
		.amdhsa_user_sgpr_queue_ptr 0
		.amdhsa_user_sgpr_kernarg_segment_ptr 0
		.amdhsa_user_sgpr_dispatch_id 0
		.amdhsa_user_sgpr_kernarg_preload_length 0
		.amdhsa_user_sgpr_kernarg_preload_offset 0
		.amdhsa_user_sgpr_private_segment_size 0
		.amdhsa_uses_dynamic_stack 0
		.amdhsa_enable_private_segment 0
		.amdhsa_system_sgpr_workgroup_id_x 1
		.amdhsa_system_sgpr_workgroup_id_y 0
		.amdhsa_system_sgpr_workgroup_id_z 0
		.amdhsa_system_sgpr_workgroup_info 0
		.amdhsa_system_vgpr_workitem_id 0
		.amdhsa_next_free_vgpr 1
		.amdhsa_next_free_sgpr 0
		.amdhsa_accum_offset 4
		.amdhsa_reserve_vcc 0
		.amdhsa_float_round_mode_32 0
		.amdhsa_float_round_mode_16_64 0
		.amdhsa_float_denorm_mode_32 3
		.amdhsa_float_denorm_mode_16_64 3
		.amdhsa_dx10_clamp 1
		.amdhsa_ieee_mode 1
		.amdhsa_fp16_overflow 0
		.amdhsa_tg_split 0
		.amdhsa_exception_fp_ieee_invalid_op 0
		.amdhsa_exception_fp_denorm_src 0
		.amdhsa_exception_fp_ieee_div_zero 0
		.amdhsa_exception_fp_ieee_overflow 0
		.amdhsa_exception_fp_ieee_underflow 0
		.amdhsa_exception_fp_ieee_inexact 0
		.amdhsa_exception_int_div_zero 0
	.end_amdhsa_kernel
	.section	.text._ZN7rocprim17ROCPRIM_304000_NS6detail39device_merge_sort_compile_time_verifierINS1_36wrapped_merge_sort_block_sort_configINS1_28merge_sort_block_sort_configILj256ELj4ELNS0_20block_sort_algorithmE0EEEsN2at4cuda3cub6detail10OpaqueTypeILi8EEEEENS1_37wrapped_merge_sort_block_merge_configINS0_14default_configEsSC_EEEEvv,"axG",@progbits,_ZN7rocprim17ROCPRIM_304000_NS6detail39device_merge_sort_compile_time_verifierINS1_36wrapped_merge_sort_block_sort_configINS1_28merge_sort_block_sort_configILj256ELj4ELNS0_20block_sort_algorithmE0EEEsN2at4cuda3cub6detail10OpaqueTypeILi8EEEEENS1_37wrapped_merge_sort_block_merge_configINS0_14default_configEsSC_EEEEvv,comdat
.Lfunc_end51:
	.size	_ZN7rocprim17ROCPRIM_304000_NS6detail39device_merge_sort_compile_time_verifierINS1_36wrapped_merge_sort_block_sort_configINS1_28merge_sort_block_sort_configILj256ELj4ELNS0_20block_sort_algorithmE0EEEsN2at4cuda3cub6detail10OpaqueTypeILi8EEEEENS1_37wrapped_merge_sort_block_merge_configINS0_14default_configEsSC_EEEEvv, .Lfunc_end51-_ZN7rocprim17ROCPRIM_304000_NS6detail39device_merge_sort_compile_time_verifierINS1_36wrapped_merge_sort_block_sort_configINS1_28merge_sort_block_sort_configILj256ELj4ELNS0_20block_sort_algorithmE0EEEsN2at4cuda3cub6detail10OpaqueTypeILi8EEEEENS1_37wrapped_merge_sort_block_merge_configINS0_14default_configEsSC_EEEEvv
                                        ; -- End function
	.set _ZN7rocprim17ROCPRIM_304000_NS6detail39device_merge_sort_compile_time_verifierINS1_36wrapped_merge_sort_block_sort_configINS1_28merge_sort_block_sort_configILj256ELj4ELNS0_20block_sort_algorithmE0EEEsN2at4cuda3cub6detail10OpaqueTypeILi8EEEEENS1_37wrapped_merge_sort_block_merge_configINS0_14default_configEsSC_EEEEvv.num_vgpr, 0
	.set _ZN7rocprim17ROCPRIM_304000_NS6detail39device_merge_sort_compile_time_verifierINS1_36wrapped_merge_sort_block_sort_configINS1_28merge_sort_block_sort_configILj256ELj4ELNS0_20block_sort_algorithmE0EEEsN2at4cuda3cub6detail10OpaqueTypeILi8EEEEENS1_37wrapped_merge_sort_block_merge_configINS0_14default_configEsSC_EEEEvv.num_agpr, 0
	.set _ZN7rocprim17ROCPRIM_304000_NS6detail39device_merge_sort_compile_time_verifierINS1_36wrapped_merge_sort_block_sort_configINS1_28merge_sort_block_sort_configILj256ELj4ELNS0_20block_sort_algorithmE0EEEsN2at4cuda3cub6detail10OpaqueTypeILi8EEEEENS1_37wrapped_merge_sort_block_merge_configINS0_14default_configEsSC_EEEEvv.numbered_sgpr, 0
	.set _ZN7rocprim17ROCPRIM_304000_NS6detail39device_merge_sort_compile_time_verifierINS1_36wrapped_merge_sort_block_sort_configINS1_28merge_sort_block_sort_configILj256ELj4ELNS0_20block_sort_algorithmE0EEEsN2at4cuda3cub6detail10OpaqueTypeILi8EEEEENS1_37wrapped_merge_sort_block_merge_configINS0_14default_configEsSC_EEEEvv.num_named_barrier, 0
	.set _ZN7rocprim17ROCPRIM_304000_NS6detail39device_merge_sort_compile_time_verifierINS1_36wrapped_merge_sort_block_sort_configINS1_28merge_sort_block_sort_configILj256ELj4ELNS0_20block_sort_algorithmE0EEEsN2at4cuda3cub6detail10OpaqueTypeILi8EEEEENS1_37wrapped_merge_sort_block_merge_configINS0_14default_configEsSC_EEEEvv.private_seg_size, 0
	.set _ZN7rocprim17ROCPRIM_304000_NS6detail39device_merge_sort_compile_time_verifierINS1_36wrapped_merge_sort_block_sort_configINS1_28merge_sort_block_sort_configILj256ELj4ELNS0_20block_sort_algorithmE0EEEsN2at4cuda3cub6detail10OpaqueTypeILi8EEEEENS1_37wrapped_merge_sort_block_merge_configINS0_14default_configEsSC_EEEEvv.uses_vcc, 0
	.set _ZN7rocprim17ROCPRIM_304000_NS6detail39device_merge_sort_compile_time_verifierINS1_36wrapped_merge_sort_block_sort_configINS1_28merge_sort_block_sort_configILj256ELj4ELNS0_20block_sort_algorithmE0EEEsN2at4cuda3cub6detail10OpaqueTypeILi8EEEEENS1_37wrapped_merge_sort_block_merge_configINS0_14default_configEsSC_EEEEvv.uses_flat_scratch, 0
	.set _ZN7rocprim17ROCPRIM_304000_NS6detail39device_merge_sort_compile_time_verifierINS1_36wrapped_merge_sort_block_sort_configINS1_28merge_sort_block_sort_configILj256ELj4ELNS0_20block_sort_algorithmE0EEEsN2at4cuda3cub6detail10OpaqueTypeILi8EEEEENS1_37wrapped_merge_sort_block_merge_configINS0_14default_configEsSC_EEEEvv.has_dyn_sized_stack, 0
	.set _ZN7rocprim17ROCPRIM_304000_NS6detail39device_merge_sort_compile_time_verifierINS1_36wrapped_merge_sort_block_sort_configINS1_28merge_sort_block_sort_configILj256ELj4ELNS0_20block_sort_algorithmE0EEEsN2at4cuda3cub6detail10OpaqueTypeILi8EEEEENS1_37wrapped_merge_sort_block_merge_configINS0_14default_configEsSC_EEEEvv.has_recursion, 0
	.set _ZN7rocprim17ROCPRIM_304000_NS6detail39device_merge_sort_compile_time_verifierINS1_36wrapped_merge_sort_block_sort_configINS1_28merge_sort_block_sort_configILj256ELj4ELNS0_20block_sort_algorithmE0EEEsN2at4cuda3cub6detail10OpaqueTypeILi8EEEEENS1_37wrapped_merge_sort_block_merge_configINS0_14default_configEsSC_EEEEvv.has_indirect_call, 0
	.section	.AMDGPU.csdata,"",@progbits
; Kernel info:
; codeLenInByte = 4
; TotalNumSgprs: 6
; NumVgprs: 0
; NumAgprs: 0
; TotalNumVgprs: 0
; ScratchSize: 0
; MemoryBound: 0
; FloatMode: 240
; IeeeMode: 1
; LDSByteSize: 0 bytes/workgroup (compile time only)
; SGPRBlocks: 0
; VGPRBlocks: 0
; NumSGPRsForWavesPerEU: 6
; NumVGPRsForWavesPerEU: 1
; AccumOffset: 4
; Occupancy: 8
; WaveLimiterHint : 0
; COMPUTE_PGM_RSRC2:SCRATCH_EN: 0
; COMPUTE_PGM_RSRC2:USER_SGPR: 0
; COMPUTE_PGM_RSRC2:TRAP_HANDLER: 0
; COMPUTE_PGM_RSRC2:TGID_X_EN: 1
; COMPUTE_PGM_RSRC2:TGID_Y_EN: 0
; COMPUTE_PGM_RSRC2:TGID_Z_EN: 0
; COMPUTE_PGM_RSRC2:TIDIG_COMP_CNT: 0
; COMPUTE_PGM_RSRC3_GFX90A:ACCUM_OFFSET: 0
; COMPUTE_PGM_RSRC3_GFX90A:TG_SPLIT: 0
	.section	.text._ZN7rocprim17ROCPRIM_304000_NS6detail45device_block_merge_mergepath_partition_kernelINS1_37wrapped_merge_sort_block_merge_configINS0_14default_configEsN2at4cuda3cub6detail10OpaqueTypeILi8EEEEEPsjNS1_19radix_merge_compareILb1ELb0EsNS0_19identity_decomposerEEEEEvT0_T1_jPSH_T2_SH_,"axG",@progbits,_ZN7rocprim17ROCPRIM_304000_NS6detail45device_block_merge_mergepath_partition_kernelINS1_37wrapped_merge_sort_block_merge_configINS0_14default_configEsN2at4cuda3cub6detail10OpaqueTypeILi8EEEEEPsjNS1_19radix_merge_compareILb1ELb0EsNS0_19identity_decomposerEEEEEvT0_T1_jPSH_T2_SH_,comdat
	.protected	_ZN7rocprim17ROCPRIM_304000_NS6detail45device_block_merge_mergepath_partition_kernelINS1_37wrapped_merge_sort_block_merge_configINS0_14default_configEsN2at4cuda3cub6detail10OpaqueTypeILi8EEEEEPsjNS1_19radix_merge_compareILb1ELb0EsNS0_19identity_decomposerEEEEEvT0_T1_jPSH_T2_SH_ ; -- Begin function _ZN7rocprim17ROCPRIM_304000_NS6detail45device_block_merge_mergepath_partition_kernelINS1_37wrapped_merge_sort_block_merge_configINS0_14default_configEsN2at4cuda3cub6detail10OpaqueTypeILi8EEEEEPsjNS1_19radix_merge_compareILb1ELb0EsNS0_19identity_decomposerEEEEEvT0_T1_jPSH_T2_SH_
	.globl	_ZN7rocprim17ROCPRIM_304000_NS6detail45device_block_merge_mergepath_partition_kernelINS1_37wrapped_merge_sort_block_merge_configINS0_14default_configEsN2at4cuda3cub6detail10OpaqueTypeILi8EEEEEPsjNS1_19radix_merge_compareILb1ELb0EsNS0_19identity_decomposerEEEEEvT0_T1_jPSH_T2_SH_
	.p2align	8
	.type	_ZN7rocprim17ROCPRIM_304000_NS6detail45device_block_merge_mergepath_partition_kernelINS1_37wrapped_merge_sort_block_merge_configINS0_14default_configEsN2at4cuda3cub6detail10OpaqueTypeILi8EEEEEPsjNS1_19radix_merge_compareILb1ELb0EsNS0_19identity_decomposerEEEEEvT0_T1_jPSH_T2_SH_,@function
_ZN7rocprim17ROCPRIM_304000_NS6detail45device_block_merge_mergepath_partition_kernelINS1_37wrapped_merge_sort_block_merge_configINS0_14default_configEsN2at4cuda3cub6detail10OpaqueTypeILi8EEEEEPsjNS1_19radix_merge_compareILb1ELb0EsNS0_19identity_decomposerEEEEEvT0_T1_jPSH_T2_SH_: ; @_ZN7rocprim17ROCPRIM_304000_NS6detail45device_block_merge_mergepath_partition_kernelINS1_37wrapped_merge_sort_block_merge_configINS0_14default_configEsN2at4cuda3cub6detail10OpaqueTypeILi8EEEEEPsjNS1_19radix_merge_compareILb1ELb0EsNS0_19identity_decomposerEEEEEvT0_T1_jPSH_T2_SH_
; %bb.0:
	s_load_dwordx2 s[4:5], s[0:1], 0x8
	v_lshl_or_b32 v0, s2, 7, v0
	s_waitcnt lgkmcnt(0)
	v_cmp_gt_u32_e32 vcc, s5, v0
	s_and_saveexec_b64 s[2:3], vcc
	s_cbranch_execz .LBB52_6
; %bb.1:
	s_load_dword s2, s[0:1], 0x1c
	s_waitcnt lgkmcnt(0)
	s_lshr_b32 s3, s2, 9
	s_and_b32 s3, s3, 0x7ffffe
	s_add_i32 s5, s3, -1
	s_sub_i32 s3, 0, s3
	v_and_b32_e32 v1, s3, v0
	v_and_b32_e32 v2, s5, v0
	v_lshlrev_b32_e32 v1, 10, v1
	v_lshlrev_b32_e32 v3, 10, v2
	v_min_u32_e32 v2, s4, v1
	v_add_u32_e32 v1, s2, v1
	v_min_u32_e32 v4, s4, v1
	v_add_u32_e32 v1, s2, v4
	v_min_u32_e32 v1, s4, v1
	v_sub_u32_e32 v5, v1, v2
	v_min_u32_e32 v10, v5, v3
	v_sub_u32_e32 v3, v4, v2
	v_sub_u32_e32 v1, v1, v4
	v_sub_u32_e64 v1, v10, v1 clamp
	v_min_u32_e32 v11, v10, v3
	v_cmp_lt_u32_e32 vcc, v1, v11
	s_and_saveexec_b64 s[2:3], vcc
	s_cbranch_execz .LBB52_5
; %bb.2:
	s_load_dwordx2 s[4:5], s[0:1], 0x0
	v_mov_b32_e32 v5, 0
	v_mov_b32_e32 v3, v5
	s_waitcnt lgkmcnt(0)
	v_lshl_add_u64 v[6:7], v[2:3], 1, s[4:5]
	v_lshl_add_u64 v[8:9], v[4:5], 1, s[4:5]
	s_mov_b64 s[4:5], 0
.LBB52_3:                               ; =>This Inner Loop Header: Depth=1
	v_add_u32_e32 v3, v11, v1
	v_lshrrev_b32_e32 v16, 1, v3
	v_and_b32_e32 v4, -2, v3
	v_mov_b32_e32 v13, v5
	v_xad_u32 v12, v16, -1, v10
	v_lshl_add_u64 v[14:15], v[6:7], 0, v[4:5]
	v_lshl_add_u64 v[12:13], v[12:13], 1, v[8:9]
	global_load_ushort v3, v[14:15], off
	global_load_ushort v4, v[12:13], off
	v_add_u32_e32 v12, 1, v16
	s_waitcnt vmcnt(0)
	v_cmp_gt_i16_e32 vcc, v4, v3
	s_nop 1
	v_cndmask_b32_e32 v11, v11, v16, vcc
	v_cndmask_b32_e32 v1, v12, v1, vcc
	v_cmp_ge_u32_e32 vcc, v1, v11
	s_or_b64 s[4:5], vcc, s[4:5]
	s_andn2_b64 exec, exec, s[4:5]
	s_cbranch_execnz .LBB52_3
; %bb.4:
	s_or_b64 exec, exec, s[4:5]
.LBB52_5:
	s_or_b64 exec, exec, s[2:3]
	s_load_dwordx2 s[0:1], s[0:1], 0x10
	v_add_u32_e32 v2, v1, v2
	v_mov_b32_e32 v1, 0
	s_waitcnt lgkmcnt(0)
	v_lshl_add_u64 v[0:1], v[0:1], 2, s[0:1]
	global_store_dword v[0:1], v2, off
.LBB52_6:
	s_endpgm
	.section	.rodata,"a",@progbits
	.p2align	6, 0x0
	.amdhsa_kernel _ZN7rocprim17ROCPRIM_304000_NS6detail45device_block_merge_mergepath_partition_kernelINS1_37wrapped_merge_sort_block_merge_configINS0_14default_configEsN2at4cuda3cub6detail10OpaqueTypeILi8EEEEEPsjNS1_19radix_merge_compareILb1ELb0EsNS0_19identity_decomposerEEEEEvT0_T1_jPSH_T2_SH_
		.amdhsa_group_segment_fixed_size 0
		.amdhsa_private_segment_fixed_size 0
		.amdhsa_kernarg_size 32
		.amdhsa_user_sgpr_count 2
		.amdhsa_user_sgpr_dispatch_ptr 0
		.amdhsa_user_sgpr_queue_ptr 0
		.amdhsa_user_sgpr_kernarg_segment_ptr 1
		.amdhsa_user_sgpr_dispatch_id 0
		.amdhsa_user_sgpr_kernarg_preload_length 0
		.amdhsa_user_sgpr_kernarg_preload_offset 0
		.amdhsa_user_sgpr_private_segment_size 0
		.amdhsa_uses_dynamic_stack 0
		.amdhsa_enable_private_segment 0
		.amdhsa_system_sgpr_workgroup_id_x 1
		.amdhsa_system_sgpr_workgroup_id_y 0
		.amdhsa_system_sgpr_workgroup_id_z 0
		.amdhsa_system_sgpr_workgroup_info 0
		.amdhsa_system_vgpr_workitem_id 0
		.amdhsa_next_free_vgpr 17
		.amdhsa_next_free_sgpr 6
		.amdhsa_accum_offset 20
		.amdhsa_reserve_vcc 1
		.amdhsa_float_round_mode_32 0
		.amdhsa_float_round_mode_16_64 0
		.amdhsa_float_denorm_mode_32 3
		.amdhsa_float_denorm_mode_16_64 3
		.amdhsa_dx10_clamp 1
		.amdhsa_ieee_mode 1
		.amdhsa_fp16_overflow 0
		.amdhsa_tg_split 0
		.amdhsa_exception_fp_ieee_invalid_op 0
		.amdhsa_exception_fp_denorm_src 0
		.amdhsa_exception_fp_ieee_div_zero 0
		.amdhsa_exception_fp_ieee_overflow 0
		.amdhsa_exception_fp_ieee_underflow 0
		.amdhsa_exception_fp_ieee_inexact 0
		.amdhsa_exception_int_div_zero 0
	.end_amdhsa_kernel
	.section	.text._ZN7rocprim17ROCPRIM_304000_NS6detail45device_block_merge_mergepath_partition_kernelINS1_37wrapped_merge_sort_block_merge_configINS0_14default_configEsN2at4cuda3cub6detail10OpaqueTypeILi8EEEEEPsjNS1_19radix_merge_compareILb1ELb0EsNS0_19identity_decomposerEEEEEvT0_T1_jPSH_T2_SH_,"axG",@progbits,_ZN7rocprim17ROCPRIM_304000_NS6detail45device_block_merge_mergepath_partition_kernelINS1_37wrapped_merge_sort_block_merge_configINS0_14default_configEsN2at4cuda3cub6detail10OpaqueTypeILi8EEEEEPsjNS1_19radix_merge_compareILb1ELb0EsNS0_19identity_decomposerEEEEEvT0_T1_jPSH_T2_SH_,comdat
.Lfunc_end52:
	.size	_ZN7rocprim17ROCPRIM_304000_NS6detail45device_block_merge_mergepath_partition_kernelINS1_37wrapped_merge_sort_block_merge_configINS0_14default_configEsN2at4cuda3cub6detail10OpaqueTypeILi8EEEEEPsjNS1_19radix_merge_compareILb1ELb0EsNS0_19identity_decomposerEEEEEvT0_T1_jPSH_T2_SH_, .Lfunc_end52-_ZN7rocprim17ROCPRIM_304000_NS6detail45device_block_merge_mergepath_partition_kernelINS1_37wrapped_merge_sort_block_merge_configINS0_14default_configEsN2at4cuda3cub6detail10OpaqueTypeILi8EEEEEPsjNS1_19radix_merge_compareILb1ELb0EsNS0_19identity_decomposerEEEEEvT0_T1_jPSH_T2_SH_
                                        ; -- End function
	.set _ZN7rocprim17ROCPRIM_304000_NS6detail45device_block_merge_mergepath_partition_kernelINS1_37wrapped_merge_sort_block_merge_configINS0_14default_configEsN2at4cuda3cub6detail10OpaqueTypeILi8EEEEEPsjNS1_19radix_merge_compareILb1ELb0EsNS0_19identity_decomposerEEEEEvT0_T1_jPSH_T2_SH_.num_vgpr, 17
	.set _ZN7rocprim17ROCPRIM_304000_NS6detail45device_block_merge_mergepath_partition_kernelINS1_37wrapped_merge_sort_block_merge_configINS0_14default_configEsN2at4cuda3cub6detail10OpaqueTypeILi8EEEEEPsjNS1_19radix_merge_compareILb1ELb0EsNS0_19identity_decomposerEEEEEvT0_T1_jPSH_T2_SH_.num_agpr, 0
	.set _ZN7rocprim17ROCPRIM_304000_NS6detail45device_block_merge_mergepath_partition_kernelINS1_37wrapped_merge_sort_block_merge_configINS0_14default_configEsN2at4cuda3cub6detail10OpaqueTypeILi8EEEEEPsjNS1_19radix_merge_compareILb1ELb0EsNS0_19identity_decomposerEEEEEvT0_T1_jPSH_T2_SH_.numbered_sgpr, 6
	.set _ZN7rocprim17ROCPRIM_304000_NS6detail45device_block_merge_mergepath_partition_kernelINS1_37wrapped_merge_sort_block_merge_configINS0_14default_configEsN2at4cuda3cub6detail10OpaqueTypeILi8EEEEEPsjNS1_19radix_merge_compareILb1ELb0EsNS0_19identity_decomposerEEEEEvT0_T1_jPSH_T2_SH_.num_named_barrier, 0
	.set _ZN7rocprim17ROCPRIM_304000_NS6detail45device_block_merge_mergepath_partition_kernelINS1_37wrapped_merge_sort_block_merge_configINS0_14default_configEsN2at4cuda3cub6detail10OpaqueTypeILi8EEEEEPsjNS1_19radix_merge_compareILb1ELb0EsNS0_19identity_decomposerEEEEEvT0_T1_jPSH_T2_SH_.private_seg_size, 0
	.set _ZN7rocprim17ROCPRIM_304000_NS6detail45device_block_merge_mergepath_partition_kernelINS1_37wrapped_merge_sort_block_merge_configINS0_14default_configEsN2at4cuda3cub6detail10OpaqueTypeILi8EEEEEPsjNS1_19radix_merge_compareILb1ELb0EsNS0_19identity_decomposerEEEEEvT0_T1_jPSH_T2_SH_.uses_vcc, 1
	.set _ZN7rocprim17ROCPRIM_304000_NS6detail45device_block_merge_mergepath_partition_kernelINS1_37wrapped_merge_sort_block_merge_configINS0_14default_configEsN2at4cuda3cub6detail10OpaqueTypeILi8EEEEEPsjNS1_19radix_merge_compareILb1ELb0EsNS0_19identity_decomposerEEEEEvT0_T1_jPSH_T2_SH_.uses_flat_scratch, 0
	.set _ZN7rocprim17ROCPRIM_304000_NS6detail45device_block_merge_mergepath_partition_kernelINS1_37wrapped_merge_sort_block_merge_configINS0_14default_configEsN2at4cuda3cub6detail10OpaqueTypeILi8EEEEEPsjNS1_19radix_merge_compareILb1ELb0EsNS0_19identity_decomposerEEEEEvT0_T1_jPSH_T2_SH_.has_dyn_sized_stack, 0
	.set _ZN7rocprim17ROCPRIM_304000_NS6detail45device_block_merge_mergepath_partition_kernelINS1_37wrapped_merge_sort_block_merge_configINS0_14default_configEsN2at4cuda3cub6detail10OpaqueTypeILi8EEEEEPsjNS1_19radix_merge_compareILb1ELb0EsNS0_19identity_decomposerEEEEEvT0_T1_jPSH_T2_SH_.has_recursion, 0
	.set _ZN7rocprim17ROCPRIM_304000_NS6detail45device_block_merge_mergepath_partition_kernelINS1_37wrapped_merge_sort_block_merge_configINS0_14default_configEsN2at4cuda3cub6detail10OpaqueTypeILi8EEEEEPsjNS1_19radix_merge_compareILb1ELb0EsNS0_19identity_decomposerEEEEEvT0_T1_jPSH_T2_SH_.has_indirect_call, 0
	.section	.AMDGPU.csdata,"",@progbits
; Kernel info:
; codeLenInByte = 324
; TotalNumSgprs: 12
; NumVgprs: 17
; NumAgprs: 0
; TotalNumVgprs: 17
; ScratchSize: 0
; MemoryBound: 0
; FloatMode: 240
; IeeeMode: 1
; LDSByteSize: 0 bytes/workgroup (compile time only)
; SGPRBlocks: 1
; VGPRBlocks: 2
; NumSGPRsForWavesPerEU: 12
; NumVGPRsForWavesPerEU: 17
; AccumOffset: 20
; Occupancy: 8
; WaveLimiterHint : 0
; COMPUTE_PGM_RSRC2:SCRATCH_EN: 0
; COMPUTE_PGM_RSRC2:USER_SGPR: 2
; COMPUTE_PGM_RSRC2:TRAP_HANDLER: 0
; COMPUTE_PGM_RSRC2:TGID_X_EN: 1
; COMPUTE_PGM_RSRC2:TGID_Y_EN: 0
; COMPUTE_PGM_RSRC2:TGID_Z_EN: 0
; COMPUTE_PGM_RSRC2:TIDIG_COMP_CNT: 0
; COMPUTE_PGM_RSRC3_GFX90A:ACCUM_OFFSET: 4
; COMPUTE_PGM_RSRC3_GFX90A:TG_SPLIT: 0
	.section	.text._ZN7rocprim17ROCPRIM_304000_NS6detail35device_block_merge_mergepath_kernelINS1_37wrapped_merge_sort_block_merge_configINS0_14default_configEsN2at4cuda3cub6detail10OpaqueTypeILi8EEEEEPsSC_PSA_SD_jNS1_19radix_merge_compareILb1ELb0EsNS0_19identity_decomposerEEEEEvT0_T1_T2_T3_T4_SL_jT5_PKSL_NS1_7vsmem_tE,"axG",@progbits,_ZN7rocprim17ROCPRIM_304000_NS6detail35device_block_merge_mergepath_kernelINS1_37wrapped_merge_sort_block_merge_configINS0_14default_configEsN2at4cuda3cub6detail10OpaqueTypeILi8EEEEEPsSC_PSA_SD_jNS1_19radix_merge_compareILb1ELb0EsNS0_19identity_decomposerEEEEEvT0_T1_T2_T3_T4_SL_jT5_PKSL_NS1_7vsmem_tE,comdat
	.protected	_ZN7rocprim17ROCPRIM_304000_NS6detail35device_block_merge_mergepath_kernelINS1_37wrapped_merge_sort_block_merge_configINS0_14default_configEsN2at4cuda3cub6detail10OpaqueTypeILi8EEEEEPsSC_PSA_SD_jNS1_19radix_merge_compareILb1ELb0EsNS0_19identity_decomposerEEEEEvT0_T1_T2_T3_T4_SL_jT5_PKSL_NS1_7vsmem_tE ; -- Begin function _ZN7rocprim17ROCPRIM_304000_NS6detail35device_block_merge_mergepath_kernelINS1_37wrapped_merge_sort_block_merge_configINS0_14default_configEsN2at4cuda3cub6detail10OpaqueTypeILi8EEEEEPsSC_PSA_SD_jNS1_19radix_merge_compareILb1ELb0EsNS0_19identity_decomposerEEEEEvT0_T1_T2_T3_T4_SL_jT5_PKSL_NS1_7vsmem_tE
	.globl	_ZN7rocprim17ROCPRIM_304000_NS6detail35device_block_merge_mergepath_kernelINS1_37wrapped_merge_sort_block_merge_configINS0_14default_configEsN2at4cuda3cub6detail10OpaqueTypeILi8EEEEEPsSC_PSA_SD_jNS1_19radix_merge_compareILb1ELb0EsNS0_19identity_decomposerEEEEEvT0_T1_T2_T3_T4_SL_jT5_PKSL_NS1_7vsmem_tE
	.p2align	8
	.type	_ZN7rocprim17ROCPRIM_304000_NS6detail35device_block_merge_mergepath_kernelINS1_37wrapped_merge_sort_block_merge_configINS0_14default_configEsN2at4cuda3cub6detail10OpaqueTypeILi8EEEEEPsSC_PSA_SD_jNS1_19radix_merge_compareILb1ELb0EsNS0_19identity_decomposerEEEEEvT0_T1_T2_T3_T4_SL_jT5_PKSL_NS1_7vsmem_tE,@function
_ZN7rocprim17ROCPRIM_304000_NS6detail35device_block_merge_mergepath_kernelINS1_37wrapped_merge_sort_block_merge_configINS0_14default_configEsN2at4cuda3cub6detail10OpaqueTypeILi8EEEEEPsSC_PSA_SD_jNS1_19radix_merge_compareILb1ELb0EsNS0_19identity_decomposerEEEEEvT0_T1_T2_T3_T4_SL_jT5_PKSL_NS1_7vsmem_tE: ; @_ZN7rocprim17ROCPRIM_304000_NS6detail35device_block_merge_mergepath_kernelINS1_37wrapped_merge_sort_block_merge_configINS0_14default_configEsN2at4cuda3cub6detail10OpaqueTypeILi8EEEEEPsSC_PSA_SD_jNS1_19radix_merge_compareILb1ELb0EsNS0_19identity_decomposerEEEEEvT0_T1_T2_T3_T4_SL_jT5_PKSL_NS1_7vsmem_tE
; %bb.0:
	s_load_dwordx2 s[26:27], s[0:1], 0x40
	s_load_dwordx4 s[12:15], s[0:1], 0x20
	s_add_u32 s24, s0, 64
	s_addc_u32 s25, s1, 0
	s_waitcnt lgkmcnt(0)
	s_mul_i32 s4, s27, s4
	s_add_i32 s3, s4, s3
	s_mul_i32 s3, s3, s26
	s_add_i32 s22, s3, s2
	s_cmp_ge_u32 s22, s14
	s_cbranch_scc1 .LBB53_51
; %bb.1:
	s_load_dwordx8 s[4:11], s[0:1], 0x0
	s_load_dwordx2 s[14:15], s[0:1], 0x30
	s_lshr_b32 s30, s12, 10
	s_cmp_lg_u32 s22, s30
	s_mov_b32 s23, 0
	s_cselect_b64 s[16:17], -1, 0
	s_lshl_b64 s[0:1], s[22:23], 2
	s_waitcnt lgkmcnt(0)
	s_add_u32 s0, s14, s0
	s_addc_u32 s1, s15, s1
	s_load_dwordx2 s[18:19], s[0:1], 0x0
	s_lshr_b32 s0, s13, 9
	s_and_b32 s0, s0, 0x7ffffe
	s_sub_i32 s0, 0, s0
	s_and_b32 s1, s22, s0
	s_lshl_b32 s3, s1, 10
	s_lshl_b32 s14, s22, 10
	;; [unrolled: 1-line block ×3, first 2 shown]
	s_sub_i32 s15, s14, s3
	s_add_i32 s1, s1, s13
	s_add_i32 s15, s1, s15
	s_waitcnt lgkmcnt(0)
	s_sub_i32 s20, s15, s18
	s_sub_i32 s15, s15, s19
	;; [unrolled: 1-line block ×3, first 2 shown]
	s_min_u32 s20, s12, s20
	s_addk_i32 s15, 0x400
	s_or_b32 s0, s22, s0
	s_min_u32 s3, s12, s1
	s_add_i32 s1, s1, s13
	s_cmp_eq_u32 s0, -1
	s_cselect_b32 s0, s1, s15
	s_cselect_b32 s1, s3, s19
	s_min_u32 s0, s0, s12
	s_mov_b32 s19, s23
	s_sub_i32 s15, s1, s18
	s_sub_i32 s27, s0, s20
	s_lshl_b64 s[0:1], s[18:19], 1
	s_add_u32 s0, s4, s0
	s_mov_b32 s21, s23
	s_addc_u32 s1, s5, s1
	s_lshl_b64 s[28:29], s[20:21], 1
	s_add_u32 s4, s4, s28
	s_addc_u32 s5, s5, s29
	s_cmp_lt_u32 s2, s26
	v_mov_b32_e32 v3, 0
	s_cselect_b32 s2, 12, 18
	global_load_dword v1, v3, s[24:25] offset:14
	s_add_u32 s2, s24, s2
	s_addc_u32 s3, s25, 0
	global_load_ushort v2, v3, s[2:3]
	v_cmp_gt_u32_e32 vcc, s15, v0
	s_cmp_eq_u32 s22, s30
	s_waitcnt vmcnt(1)
	v_lshrrev_b32_e32 v4, 16, v1
	v_and_b32_e32 v1, 0xffff, v1
	v_mul_lo_u32 v1, v1, v4
	s_waitcnt vmcnt(0)
	v_mul_lo_u32 v1, v1, v2
	v_lshlrev_b32_e32 v2, 1, v0
	v_add_u32_e32 v4, v1, v0
	s_cbranch_scc1 .LBB53_3
; %bb.2:
	v_subrev_u32_e32 v1, s15, v0
	v_lshlrev_b32_e32 v8, 1, v1
	v_mov_b32_e32 v9, v3
	v_lshl_add_u64 v[6:7], s[0:1], 0, v[2:3]
	v_lshl_add_u64 v[8:9], s[4:5], 0, v[8:9]
	v_cndmask_b32_e32 v7, v9, v7, vcc
	v_cndmask_b32_e32 v6, v8, v6, vcc
	v_mov_b32_e32 v5, v3
	v_subrev_co_u32_e32 v8, vcc, s15, v4
	v_mov_b32_e32 v9, v3
	global_load_ushort v1, v[6:7], off
	v_lshl_add_u64 v[6:7], v[4:5], 1, s[0:1]
	v_lshl_add_u64 v[8:9], v[8:9], 1, s[4:5]
	v_cndmask_b32_e32 v7, v9, v7, vcc
	v_cndmask_b32_e32 v6, v8, v6, vcc
	global_load_ushort v3, v[6:7], off
	s_mov_b32 s2, 0x5040100
	s_add_i32 s13, s27, s15
	s_waitcnt vmcnt(0)
	v_perm_b32 v1, v3, v1, s2
	s_cbranch_execz .LBB53_4
	s_branch .LBB53_9
.LBB53_3:
                                        ; implicit-def: $vgpr1
                                        ; implicit-def: $sgpr13
.LBB53_4:
	s_add_i32 s13, s27, s15
	v_cmp_gt_u32_e32 vcc, s13, v0
	v_mov_b32_e32 v1, 0
	s_and_saveexec_b64 s[2:3], vcc
	s_cbranch_execz .LBB53_6
; %bb.5:
	v_mov_b32_e32 v3, 0
	v_subrev_u32_e32 v1, s15, v0
	v_lshlrev_b32_e32 v8, 1, v1
	v_mov_b32_e32 v9, v3
	v_lshl_add_u64 v[6:7], s[0:1], 0, v[2:3]
	v_lshl_add_u64 v[8:9], s[4:5], 0, v[8:9]
	v_cmp_gt_u32_e32 vcc, s15, v0
	s_nop 1
	v_cndmask_b32_e32 v7, v9, v7, vcc
	v_cndmask_b32_e32 v6, v8, v6, vcc
	global_load_ushort v1, v[6:7], off
	s_waitcnt vmcnt(0)
	v_and_b32_e32 v1, 0xffff, v1
.LBB53_6:
	s_or_b64 exec, exec, s[2:3]
	v_cmp_gt_u32_e32 vcc, s13, v4
	s_and_saveexec_b64 s[2:3], vcc
	s_cbranch_execz .LBB53_8
; %bb.7:
	v_mov_b32_e32 v5, 0
	v_lshl_add_u64 v[6:7], v[4:5], 1, s[0:1]
	v_subrev_co_u32_e32 v4, vcc, s15, v4
	v_lshl_add_u64 v[4:5], v[4:5], 1, s[4:5]
	s_nop 0
	v_cndmask_b32_e32 v5, v5, v7, vcc
	v_cndmask_b32_e32 v4, v4, v6, vcc
	global_load_ushort v3, v[4:5], off
	s_mov_b32 s0, 0x5040100
	s_waitcnt vmcnt(0)
	v_perm_b32 v1, v3, v1, s0
.LBB53_8:
	s_or_b64 exec, exec, s[2:3]
.LBB53_9:
	v_min_u32_e32 v3, s13, v2
	v_sub_u32_e64 v4, v3, s27 clamp
	v_min_u32_e32 v5, s15, v3
	v_cmp_lt_u32_e32 vcc, v4, v5
	ds_write_b16 v2, v1
	ds_write_b16_d16_hi v2, v1 offset:1024
	s_waitcnt lgkmcnt(0)
	s_barrier
	s_and_saveexec_b64 s[0:1], vcc
	s_cbranch_execz .LBB53_13
; %bb.10:
	v_lshlrev_b32_e32 v6, 1, v3
	v_lshl_add_u32 v6, s15, 1, v6
	s_mov_b64 s[2:3], 0
.LBB53_11:                              ; =>This Inner Loop Header: Depth=1
	v_add_u32_e32 v7, v5, v4
	v_lshrrev_b32_e32 v8, 1, v7
	v_not_b32_e32 v9, v8
	v_and_b32_e32 v7, -2, v7
	v_lshl_add_u32 v9, v9, 1, v6
	ds_read_u16 v7, v7
	ds_read_u16 v9, v9
	v_add_u32_e32 v10, 1, v8
	s_waitcnt lgkmcnt(0)
	v_cmp_gt_i16_e32 vcc, v9, v7
	s_nop 1
	v_cndmask_b32_e32 v5, v5, v8, vcc
	v_cndmask_b32_e32 v4, v10, v4, vcc
	v_cmp_ge_u32_e32 vcc, v4, v5
	s_or_b64 s[2:3], vcc, s[2:3]
	s_andn2_b64 exec, exec, s[2:3]
	s_cbranch_execnz .LBB53_11
; %bb.12:
	s_or_b64 exec, exec, s[2:3]
.LBB53_13:
	s_or_b64 exec, exec, s[0:1]
	v_sub_u32_e32 v3, v3, v4
	v_add_u32_e32 v5, s15, v3
	v_cmp_ge_u32_e32 vcc, s15, v4
	v_cmp_ge_u32_e64 s[0:1], s13, v5
	s_or_b64 s[0:1], vcc, s[0:1]
	v_mov_b32_e32 v3, 0
	v_mov_b32_e32 v8, 0
	s_and_saveexec_b64 s[4:5], s[0:1]
	s_cbranch_execz .LBB53_19
; %bb.14:
	v_cmp_gt_u32_e32 vcc, s15, v4
                                        ; implicit-def: $vgpr1
	s_and_saveexec_b64 s[0:1], vcc
; %bb.15:
	v_lshlrev_b32_e32 v1, 1, v4
	ds_read_u16 v1, v1
; %bb.16:
	s_or_b64 exec, exec, s[0:1]
	v_cmp_le_u32_e64 s[0:1], s13, v5
	v_cmp_gt_u32_e64 s[2:3], s13, v5
                                        ; implicit-def: $vgpr3
	s_and_saveexec_b64 s[22:23], s[2:3]
; %bb.17:
	v_lshlrev_b32_e32 v3, 1, v5
	ds_read_u16 v3, v3
; %bb.18:
	s_or_b64 exec, exec, s[22:23]
	s_waitcnt lgkmcnt(0)
	v_cmp_le_i16_e64 s[2:3], v3, v1
	s_and_b64 s[2:3], vcc, s[2:3]
	s_or_b64 vcc, s[0:1], s[2:3]
	v_mov_b32_e32 v6, s13
	v_mov_b32_e32 v7, s15
	v_cndmask_b32_e32 v8, v5, v4, vcc
	v_cndmask_b32_e32 v6, v6, v7, vcc
	v_add_u32_e32 v7, 1, v8
	v_add_u32_e32 v6, -1, v6
	v_min_u32_e32 v6, v7, v6
	v_lshlrev_b32_e32 v6, 1, v6
	ds_read_u16 v6, v6
	v_cndmask_b32_e32 v9, v3, v1, vcc
	v_cndmask_b32_e32 v4, v4, v7, vcc
	v_cmp_gt_u32_e64 s[0:1], s15, v4
	s_waitcnt lgkmcnt(0)
	v_cndmask_b32_e32 v10, v6, v3, vcc
	v_cndmask_b32_e32 v1, v1, v6, vcc
	;; [unrolled: 1-line block ×3, first 2 shown]
	v_cmp_le_i16_e64 s[2:3], v10, v1
	v_cmp_le_u32_e32 vcc, s13, v3
	s_and_b64 s[0:1], s[0:1], s[2:3]
	s_or_b64 vcc, vcc, s[0:1]
	v_cndmask_b32_e32 v1, v10, v1, vcc
	s_mov_b32 s0, 0x5040100
	v_cndmask_b32_e32 v3, v3, v4, vcc
	v_perm_b32 v1, v1, v9, s0
.LBB53_19:
	s_or_b64 exec, exec, s[4:5]
	s_lshl_b64 s[0:1], s[18:19], 3
	s_add_u32 s18, s8, s0
	s_addc_u32 s19, s9, s1
	s_lshl_b64 s[0:1], s[20:21], 3
	s_add_u32 s8, s8, s0
	v_cndmask_b32_e64 v4, 0, 1, s[16:17]
	v_mov_b32_e32 v5, 0
	s_addc_u32 s9, s9, s1
	v_cmp_gt_u32_e64 s[4:5], s15, v0
	v_cmp_ne_u32_e64 s[0:1], 1, v4
	s_andn2_b64 vcc, exec, s[16:17]
	v_cmp_le_u32_e64 s[2:3], s15, v0
	s_barrier
	s_cbranch_vccnz .LBB53_21
; %bb.20:
	v_lshlrev_b32_e32 v4, 3, v0
	v_lshl_add_u64 v[6:7], s[18:19], 0, v[4:5]
	v_subrev_u32_e32 v4, s15, v0
	v_lshlrev_b32_e32 v4, 3, v4
	v_lshl_add_u64 v[4:5], s[8:9], 0, v[4:5]
	v_cndmask_b32_e64 v5, v5, v7, s[4:5]
	v_cndmask_b32_e64 v4, v4, v6, s[4:5]
	global_load_dwordx2 v[10:11], v[4:5], off
	v_or_b32_e32 v9, 0x200, v0
	v_mov_b32_e32 v4, s9
	v_mov_b32_e32 v5, s19
	;; [unrolled: 1-line block ×4, first 2 shown]
	v_subrev_u32_e32 v6, s15, v9
	v_cmp_gt_u32_e32 vcc, s15, v9
	v_mad_u32_u24 v7, v0, 6, v2
	s_nop 0
	v_cndmask_b32_e32 v5, v4, v5, vcc
	v_min_u32_e32 v6, v9, v6
	v_cndmask_b32_e32 v4, v12, v13, vcc
	s_mov_b64 s[4:5], -1
	s_waitcnt vmcnt(0)
	ds_write_b64 v7, v[10:11]
	s_cbranch_execz .LBB53_22
	s_branch .LBB53_31
.LBB53_21:
	s_mov_b64 s[4:5], 0
                                        ; implicit-def: $vgpr9
                                        ; implicit-def: $vgpr4_vgpr5
                                        ; implicit-def: $vgpr6
.LBB53_22:
	s_and_saveexec_b64 s[4:5], s[2:3]
	s_xor_b64 s[2:3], exec, s[4:5]
	s_cbranch_execz .LBB53_26
; %bb.23:
	v_subrev_u32_e32 v4, s15, v0
	v_cmp_gt_u32_e32 vcc, s27, v4
	s_and_saveexec_b64 s[4:5], vcc
	s_cbranch_execz .LBB53_25
; %bb.24:
	v_lshlrev_b32_e32 v4, 3, v4
	global_load_dwordx2 v[4:5], v4, s[8:9]
	v_mad_u32_u24 v6, v0, 6, v2
	s_waitcnt vmcnt(0)
	ds_write_b64 v6, v[4:5]
.LBB53_25:
	s_or_b64 exec, exec, s[4:5]
.LBB53_26:
	s_andn2_saveexec_b64 s[2:3], s[2:3]
	s_cbranch_execz .LBB53_28
; %bb.27:
	v_lshlrev_b32_e32 v4, 3, v0
	global_load_dwordx2 v[4:5], v4, s[18:19]
	v_mad_u32_u24 v6, v0, 6, v2
	s_waitcnt vmcnt(0)
	ds_write_b64 v6, v[4:5]
.LBB53_28:
	s_or_b64 exec, exec, s[2:3]
	v_or_b32_e32 v9, 0x200, v0
	v_cmp_le_u32_e32 vcc, s15, v9
	s_mov_b64 s[4:5], -1
	v_mov_b64_e32 v[4:5], s[18:19]
	v_mov_b32_e32 v6, v9
	s_and_saveexec_b64 s[2:3], vcc
; %bb.29:
	v_subrev_u32_e32 v6, s15, v9
	v_cmp_gt_u32_e32 vcc, s27, v6
	v_mov_b64_e32 v[4:5], s[8:9]
	s_orn2_b64 s[4:5], vcc, exec
; %bb.30:
	s_or_b64 exec, exec, s[2:3]
.LBB53_31:
	s_and_saveexec_b64 s[2:3], s[4:5]
	s_cbranch_execz .LBB53_33
; %bb.32:
	v_mov_b32_e32 v7, 0
	v_lshl_add_u64 v[4:5], v[6:7], 3, v[4:5]
	global_load_dwordx2 v[4:5], v[4:5], off
	v_lshlrev_b32_e32 v6, 3, v9
	s_waitcnt vmcnt(0)
	ds_write_b64 v6, v[4:5]
.LBB53_33:
	s_or_b64 exec, exec, s[2:3]
	s_and_b64 vcc, exec, s[0:1]
	v_add_u32_e32 v4, s14, v2
	s_waitcnt lgkmcnt(0)
	s_barrier
	s_cbranch_vccnz .LBB53_35
; %bb.34:
	v_lshlrev_b32_e32 v5, 3, v8
	ds_read_b64 v[6:7], v5
	v_mov_b32_e32 v5, 0
	v_lshl_add_u64 v[10:11], v[4:5], 3, s[10:11]
	s_mov_b64 s[0:1], -1
	s_waitcnt lgkmcnt(0)
	global_store_dwordx2 v[10:11], v[6:7], off
	s_cbranch_execz .LBB53_36
	s_branch .LBB53_41
.LBB53_35:
	s_mov_b64 s[0:1], 0
.LBB53_36:
	v_cmp_gt_u32_e32 vcc, s13, v2
	s_and_saveexec_b64 s[2:3], vcc
	s_cbranch_execz .LBB53_38
; %bb.37:
	v_lshlrev_b32_e32 v5, 3, v8
	ds_read_b64 v[6:7], v5
	v_mov_b32_e32 v5, 0
	v_lshl_add_u64 v[8:9], v[4:5], 3, s[10:11]
	s_waitcnt lgkmcnt(0)
	global_store_dwordx2 v[8:9], v[6:7], off
.LBB53_38:
	s_or_b64 exec, exec, s[2:3]
	v_or_b32_e32 v5, 1, v2
	v_cmp_gt_u32_e32 vcc, s13, v5
	s_and_saveexec_b64 s[2:3], vcc
; %bb.39:
	v_mov_b32_e32 v5, 0
	s_or_b64 s[0:1], s[0:1], exec
; %bb.40:
	s_or_b64 exec, exec, s[2:3]
.LBB53_41:
	s_and_saveexec_b64 s[2:3], s[0:1]
	s_cbranch_execz .LBB53_43
; %bb.42:
	v_lshlrev_b32_e32 v3, 3, v3
	ds_read_b64 v[6:7], v3
	v_lshl_add_u64 v[4:5], v[4:5], 3, s[10:11]
	s_waitcnt lgkmcnt(0)
	global_store_dwordx2 v[4:5], v[6:7], off offset:8
.LBB53_43:
	s_or_b64 exec, exec, s[2:3]
	v_lshrrev_b32_e32 v4, 3, v0
	v_and_b32_e32 v4, 60, v4
	v_lshrrev_b32_e32 v3, 4, v0
	v_lshl_add_u32 v4, v2, 1, v4
	s_barrier
	s_barrier
	ds_write_b32 v4, v1
	v_and_b32_e32 v1, 28, v3
	s_mov_b32 s15, 0
	v_add_u32_e32 v4, v1, v2
	v_or_b32_e32 v1, 0x200, v0
	s_lshl_b64 s[0:1], s[14:15], 1
	v_lshrrev_b32_e32 v3, 4, v1
	s_add_u32 s0, s6, s0
	v_and_b32_e32 v3, 60, v3
	s_addc_u32 s1, s7, s1
	v_add_u32_e32 v6, v3, v2
	v_mov_b32_e32 v3, 0
	v_lshl_add_u64 v[2:3], s[0:1], 0, v[2:3]
	s_and_b64 vcc, exec, s[16:17]
	s_waitcnt lgkmcnt(0)
	s_cbranch_vccz .LBB53_45
; %bb.44:
	s_barrier
	ds_read_u16 v7, v4
	ds_read_u16 v5, v6 offset:1024
	s_mov_b64 s[0:1], -1
	s_waitcnt lgkmcnt(1)
	global_store_short v[2:3], v7, off
	s_cbranch_execz .LBB53_46
	s_branch .LBB53_49
.LBB53_45:
	s_mov_b64 s[0:1], 0
                                        ; implicit-def: $vgpr5
.LBB53_46:
	s_barrier
	s_waitcnt lgkmcnt(0)
	ds_read_u16 v5, v6 offset:1024
	s_sub_i32 s2, s12, s14
	v_cmp_gt_u32_e32 vcc, s2, v0
	s_and_saveexec_b64 s[0:1], vcc
	s_cbranch_execz .LBB53_48
; %bb.47:
	ds_read_u16 v0, v4
	s_waitcnt lgkmcnt(0)
	global_store_short v[2:3], v0, off
.LBB53_48:
	s_or_b64 exec, exec, s[0:1]
	v_cmp_gt_u32_e64 s[0:1], s2, v1
.LBB53_49:
	s_and_saveexec_b64 s[2:3], s[0:1]
	s_cbranch_execz .LBB53_51
; %bb.50:
	s_waitcnt lgkmcnt(0)
	global_store_short v[2:3], v5, off offset:1024
.LBB53_51:
	s_endpgm
	.section	.rodata,"a",@progbits
	.p2align	6, 0x0
	.amdhsa_kernel _ZN7rocprim17ROCPRIM_304000_NS6detail35device_block_merge_mergepath_kernelINS1_37wrapped_merge_sort_block_merge_configINS0_14default_configEsN2at4cuda3cub6detail10OpaqueTypeILi8EEEEEPsSC_PSA_SD_jNS1_19radix_merge_compareILb1ELb0EsNS0_19identity_decomposerEEEEEvT0_T1_T2_T3_T4_SL_jT5_PKSL_NS1_7vsmem_tE
		.amdhsa_group_segment_fixed_size 8208
		.amdhsa_private_segment_fixed_size 0
		.amdhsa_kernarg_size 320
		.amdhsa_user_sgpr_count 2
		.amdhsa_user_sgpr_dispatch_ptr 0
		.amdhsa_user_sgpr_queue_ptr 0
		.amdhsa_user_sgpr_kernarg_segment_ptr 1
		.amdhsa_user_sgpr_dispatch_id 0
		.amdhsa_user_sgpr_kernarg_preload_length 0
		.amdhsa_user_sgpr_kernarg_preload_offset 0
		.amdhsa_user_sgpr_private_segment_size 0
		.amdhsa_uses_dynamic_stack 0
		.amdhsa_enable_private_segment 0
		.amdhsa_system_sgpr_workgroup_id_x 1
		.amdhsa_system_sgpr_workgroup_id_y 1
		.amdhsa_system_sgpr_workgroup_id_z 1
		.amdhsa_system_sgpr_workgroup_info 0
		.amdhsa_system_vgpr_workitem_id 0
		.amdhsa_next_free_vgpr 14
		.amdhsa_next_free_sgpr 31
		.amdhsa_accum_offset 16
		.amdhsa_reserve_vcc 1
		.amdhsa_float_round_mode_32 0
		.amdhsa_float_round_mode_16_64 0
		.amdhsa_float_denorm_mode_32 3
		.amdhsa_float_denorm_mode_16_64 3
		.amdhsa_dx10_clamp 1
		.amdhsa_ieee_mode 1
		.amdhsa_fp16_overflow 0
		.amdhsa_tg_split 0
		.amdhsa_exception_fp_ieee_invalid_op 0
		.amdhsa_exception_fp_denorm_src 0
		.amdhsa_exception_fp_ieee_div_zero 0
		.amdhsa_exception_fp_ieee_overflow 0
		.amdhsa_exception_fp_ieee_underflow 0
		.amdhsa_exception_fp_ieee_inexact 0
		.amdhsa_exception_int_div_zero 0
	.end_amdhsa_kernel
	.section	.text._ZN7rocprim17ROCPRIM_304000_NS6detail35device_block_merge_mergepath_kernelINS1_37wrapped_merge_sort_block_merge_configINS0_14default_configEsN2at4cuda3cub6detail10OpaqueTypeILi8EEEEEPsSC_PSA_SD_jNS1_19radix_merge_compareILb1ELb0EsNS0_19identity_decomposerEEEEEvT0_T1_T2_T3_T4_SL_jT5_PKSL_NS1_7vsmem_tE,"axG",@progbits,_ZN7rocprim17ROCPRIM_304000_NS6detail35device_block_merge_mergepath_kernelINS1_37wrapped_merge_sort_block_merge_configINS0_14default_configEsN2at4cuda3cub6detail10OpaqueTypeILi8EEEEEPsSC_PSA_SD_jNS1_19radix_merge_compareILb1ELb0EsNS0_19identity_decomposerEEEEEvT0_T1_T2_T3_T4_SL_jT5_PKSL_NS1_7vsmem_tE,comdat
.Lfunc_end53:
	.size	_ZN7rocprim17ROCPRIM_304000_NS6detail35device_block_merge_mergepath_kernelINS1_37wrapped_merge_sort_block_merge_configINS0_14default_configEsN2at4cuda3cub6detail10OpaqueTypeILi8EEEEEPsSC_PSA_SD_jNS1_19radix_merge_compareILb1ELb0EsNS0_19identity_decomposerEEEEEvT0_T1_T2_T3_T4_SL_jT5_PKSL_NS1_7vsmem_tE, .Lfunc_end53-_ZN7rocprim17ROCPRIM_304000_NS6detail35device_block_merge_mergepath_kernelINS1_37wrapped_merge_sort_block_merge_configINS0_14default_configEsN2at4cuda3cub6detail10OpaqueTypeILi8EEEEEPsSC_PSA_SD_jNS1_19radix_merge_compareILb1ELb0EsNS0_19identity_decomposerEEEEEvT0_T1_T2_T3_T4_SL_jT5_PKSL_NS1_7vsmem_tE
                                        ; -- End function
	.set _ZN7rocprim17ROCPRIM_304000_NS6detail35device_block_merge_mergepath_kernelINS1_37wrapped_merge_sort_block_merge_configINS0_14default_configEsN2at4cuda3cub6detail10OpaqueTypeILi8EEEEEPsSC_PSA_SD_jNS1_19radix_merge_compareILb1ELb0EsNS0_19identity_decomposerEEEEEvT0_T1_T2_T3_T4_SL_jT5_PKSL_NS1_7vsmem_tE.num_vgpr, 14
	.set _ZN7rocprim17ROCPRIM_304000_NS6detail35device_block_merge_mergepath_kernelINS1_37wrapped_merge_sort_block_merge_configINS0_14default_configEsN2at4cuda3cub6detail10OpaqueTypeILi8EEEEEPsSC_PSA_SD_jNS1_19radix_merge_compareILb1ELb0EsNS0_19identity_decomposerEEEEEvT0_T1_T2_T3_T4_SL_jT5_PKSL_NS1_7vsmem_tE.num_agpr, 0
	.set _ZN7rocprim17ROCPRIM_304000_NS6detail35device_block_merge_mergepath_kernelINS1_37wrapped_merge_sort_block_merge_configINS0_14default_configEsN2at4cuda3cub6detail10OpaqueTypeILi8EEEEEPsSC_PSA_SD_jNS1_19radix_merge_compareILb1ELb0EsNS0_19identity_decomposerEEEEEvT0_T1_T2_T3_T4_SL_jT5_PKSL_NS1_7vsmem_tE.numbered_sgpr, 31
	.set _ZN7rocprim17ROCPRIM_304000_NS6detail35device_block_merge_mergepath_kernelINS1_37wrapped_merge_sort_block_merge_configINS0_14default_configEsN2at4cuda3cub6detail10OpaqueTypeILi8EEEEEPsSC_PSA_SD_jNS1_19radix_merge_compareILb1ELb0EsNS0_19identity_decomposerEEEEEvT0_T1_T2_T3_T4_SL_jT5_PKSL_NS1_7vsmem_tE.num_named_barrier, 0
	.set _ZN7rocprim17ROCPRIM_304000_NS6detail35device_block_merge_mergepath_kernelINS1_37wrapped_merge_sort_block_merge_configINS0_14default_configEsN2at4cuda3cub6detail10OpaqueTypeILi8EEEEEPsSC_PSA_SD_jNS1_19radix_merge_compareILb1ELb0EsNS0_19identity_decomposerEEEEEvT0_T1_T2_T3_T4_SL_jT5_PKSL_NS1_7vsmem_tE.private_seg_size, 0
	.set _ZN7rocprim17ROCPRIM_304000_NS6detail35device_block_merge_mergepath_kernelINS1_37wrapped_merge_sort_block_merge_configINS0_14default_configEsN2at4cuda3cub6detail10OpaqueTypeILi8EEEEEPsSC_PSA_SD_jNS1_19radix_merge_compareILb1ELb0EsNS0_19identity_decomposerEEEEEvT0_T1_T2_T3_T4_SL_jT5_PKSL_NS1_7vsmem_tE.uses_vcc, 1
	.set _ZN7rocprim17ROCPRIM_304000_NS6detail35device_block_merge_mergepath_kernelINS1_37wrapped_merge_sort_block_merge_configINS0_14default_configEsN2at4cuda3cub6detail10OpaqueTypeILi8EEEEEPsSC_PSA_SD_jNS1_19radix_merge_compareILb1ELb0EsNS0_19identity_decomposerEEEEEvT0_T1_T2_T3_T4_SL_jT5_PKSL_NS1_7vsmem_tE.uses_flat_scratch, 0
	.set _ZN7rocprim17ROCPRIM_304000_NS6detail35device_block_merge_mergepath_kernelINS1_37wrapped_merge_sort_block_merge_configINS0_14default_configEsN2at4cuda3cub6detail10OpaqueTypeILi8EEEEEPsSC_PSA_SD_jNS1_19radix_merge_compareILb1ELb0EsNS0_19identity_decomposerEEEEEvT0_T1_T2_T3_T4_SL_jT5_PKSL_NS1_7vsmem_tE.has_dyn_sized_stack, 0
	.set _ZN7rocprim17ROCPRIM_304000_NS6detail35device_block_merge_mergepath_kernelINS1_37wrapped_merge_sort_block_merge_configINS0_14default_configEsN2at4cuda3cub6detail10OpaqueTypeILi8EEEEEPsSC_PSA_SD_jNS1_19radix_merge_compareILb1ELb0EsNS0_19identity_decomposerEEEEEvT0_T1_T2_T3_T4_SL_jT5_PKSL_NS1_7vsmem_tE.has_recursion, 0
	.set _ZN7rocprim17ROCPRIM_304000_NS6detail35device_block_merge_mergepath_kernelINS1_37wrapped_merge_sort_block_merge_configINS0_14default_configEsN2at4cuda3cub6detail10OpaqueTypeILi8EEEEEPsSC_PSA_SD_jNS1_19radix_merge_compareILb1ELb0EsNS0_19identity_decomposerEEEEEvT0_T1_T2_T3_T4_SL_jT5_PKSL_NS1_7vsmem_tE.has_indirect_call, 0
	.section	.AMDGPU.csdata,"",@progbits
; Kernel info:
; codeLenInByte = 1868
; TotalNumSgprs: 37
; NumVgprs: 14
; NumAgprs: 0
; TotalNumVgprs: 14
; ScratchSize: 0
; MemoryBound: 0
; FloatMode: 240
; IeeeMode: 1
; LDSByteSize: 8208 bytes/workgroup (compile time only)
; SGPRBlocks: 4
; VGPRBlocks: 1
; NumSGPRsForWavesPerEU: 37
; NumVGPRsForWavesPerEU: 14
; AccumOffset: 16
; Occupancy: 8
; WaveLimiterHint : 1
; COMPUTE_PGM_RSRC2:SCRATCH_EN: 0
; COMPUTE_PGM_RSRC2:USER_SGPR: 2
; COMPUTE_PGM_RSRC2:TRAP_HANDLER: 0
; COMPUTE_PGM_RSRC2:TGID_X_EN: 1
; COMPUTE_PGM_RSRC2:TGID_Y_EN: 1
; COMPUTE_PGM_RSRC2:TGID_Z_EN: 1
; COMPUTE_PGM_RSRC2:TIDIG_COMP_CNT: 0
; COMPUTE_PGM_RSRC3_GFX90A:ACCUM_OFFSET: 3
; COMPUTE_PGM_RSRC3_GFX90A:TG_SPLIT: 0
	.section	.text._ZN7rocprim17ROCPRIM_304000_NS6detail33device_block_merge_oddeven_kernelINS1_37wrapped_merge_sort_block_merge_configINS0_14default_configEsN2at4cuda3cub6detail10OpaqueTypeILi8EEEEEPsSC_PSA_SD_jNS1_19radix_merge_compareILb1ELb0EsNS0_19identity_decomposerEEEEEvT0_T1_T2_T3_T4_SL_T5_,"axG",@progbits,_ZN7rocprim17ROCPRIM_304000_NS6detail33device_block_merge_oddeven_kernelINS1_37wrapped_merge_sort_block_merge_configINS0_14default_configEsN2at4cuda3cub6detail10OpaqueTypeILi8EEEEEPsSC_PSA_SD_jNS1_19radix_merge_compareILb1ELb0EsNS0_19identity_decomposerEEEEEvT0_T1_T2_T3_T4_SL_T5_,comdat
	.protected	_ZN7rocprim17ROCPRIM_304000_NS6detail33device_block_merge_oddeven_kernelINS1_37wrapped_merge_sort_block_merge_configINS0_14default_configEsN2at4cuda3cub6detail10OpaqueTypeILi8EEEEEPsSC_PSA_SD_jNS1_19radix_merge_compareILb1ELb0EsNS0_19identity_decomposerEEEEEvT0_T1_T2_T3_T4_SL_T5_ ; -- Begin function _ZN7rocprim17ROCPRIM_304000_NS6detail33device_block_merge_oddeven_kernelINS1_37wrapped_merge_sort_block_merge_configINS0_14default_configEsN2at4cuda3cub6detail10OpaqueTypeILi8EEEEEPsSC_PSA_SD_jNS1_19radix_merge_compareILb1ELb0EsNS0_19identity_decomposerEEEEEvT0_T1_T2_T3_T4_SL_T5_
	.globl	_ZN7rocprim17ROCPRIM_304000_NS6detail33device_block_merge_oddeven_kernelINS1_37wrapped_merge_sort_block_merge_configINS0_14default_configEsN2at4cuda3cub6detail10OpaqueTypeILi8EEEEEPsSC_PSA_SD_jNS1_19radix_merge_compareILb1ELb0EsNS0_19identity_decomposerEEEEEvT0_T1_T2_T3_T4_SL_T5_
	.p2align	8
	.type	_ZN7rocprim17ROCPRIM_304000_NS6detail33device_block_merge_oddeven_kernelINS1_37wrapped_merge_sort_block_merge_configINS0_14default_configEsN2at4cuda3cub6detail10OpaqueTypeILi8EEEEEPsSC_PSA_SD_jNS1_19radix_merge_compareILb1ELb0EsNS0_19identity_decomposerEEEEEvT0_T1_T2_T3_T4_SL_T5_,@function
_ZN7rocprim17ROCPRIM_304000_NS6detail33device_block_merge_oddeven_kernelINS1_37wrapped_merge_sort_block_merge_configINS0_14default_configEsN2at4cuda3cub6detail10OpaqueTypeILi8EEEEEPsSC_PSA_SD_jNS1_19radix_merge_compareILb1ELb0EsNS0_19identity_decomposerEEEEEvT0_T1_T2_T3_T4_SL_T5_: ; @_ZN7rocprim17ROCPRIM_304000_NS6detail33device_block_merge_oddeven_kernelINS1_37wrapped_merge_sort_block_merge_configINS0_14default_configEsN2at4cuda3cub6detail10OpaqueTypeILi8EEEEEPsSC_PSA_SD_jNS1_19radix_merge_compareILb1ELb0EsNS0_19identity_decomposerEEEEEvT0_T1_T2_T3_T4_SL_T5_
; %bb.0:
	s_load_dwordx2 s[16:17], s[0:1], 0x20
	s_waitcnt lgkmcnt(0)
	s_lshr_b32 s3, s16, 8
	s_cmp_eq_u32 s2, s3
	s_cselect_b64 s[6:7], -1, 0
	s_cmp_lg_u32 s2, s3
	s_cselect_b64 s[8:9], -1, 0
	s_lshl_b32 s18, s2, 8
	s_sub_i32 s3, s16, s18
	v_cmp_gt_u32_e64 s[4:5], s3, v0
	s_or_b64 s[8:9], s[8:9], s[4:5]
	s_and_saveexec_b64 s[10:11], s[8:9]
	s_cbranch_execz .LBB54_24
; %bb.1:
	s_load_dwordx8 s[8:15], s[0:1], 0x0
	s_mov_b32 s19, 0
	s_lshl_b64 s[0:1], s[18:19], 1
	v_lshlrev_b32_e32 v5, 3, v0
	v_lshlrev_b32_e32 v1, 1, v0
	s_waitcnt lgkmcnt(0)
	s_add_u32 s0, s8, s0
	s_addc_u32 s1, s9, s1
	s_lshl_b64 s[20:21], s[18:19], 3
	s_add_u32 s12, s12, s20
	s_addc_u32 s13, s13, s21
	global_load_dwordx2 v[2:3], v5, s[12:13]
	global_load_ushort v4, v1, s[0:1]
	s_lshr_b32 s0, s17, 8
	s_sub_i32 s1, 0, s0
	s_and_b32 s1, s2, s1
	s_and_b32 s0, s1, s0
	s_lshl_b32 s19, s1, 8
	s_sub_i32 s12, 0, s17
	s_cmp_eq_u32 s0, 0
	s_cselect_b64 s[0:1], -1, 0
	s_and_b64 s[2:3], s[0:1], exec
	s_cselect_b32 s12, s17, s12
	s_add_i32 s12, s12, s19
	s_mov_b64 s[2:3], -1
	s_cmp_gt_u32 s16, s12
	v_add_u32_e32 v0, s18, v0
	s_cbranch_scc1 .LBB54_9
; %bb.2:
	s_and_b64 vcc, exec, s[6:7]
	s_cbranch_vccz .LBB54_6
; %bb.3:
	v_cmp_gt_u32_e32 vcc, s16, v0
	s_and_saveexec_b64 s[2:3], vcc
	s_cbranch_execz .LBB54_5
; %bb.4:
	v_mov_b32_e32 v1, 0
	v_lshl_add_u64 v[8:9], v[0:1], 1, s[10:11]
	v_lshl_add_u64 v[6:7], v[0:1], 3, s[14:15]
	s_waitcnt vmcnt(0)
	global_store_short v[8:9], v4, off
	global_store_dwordx2 v[6:7], v[2:3], off
.LBB54_5:
	s_or_b64 exec, exec, s[2:3]
	s_mov_b64 s[2:3], 0
.LBB54_6:
	s_andn2_b64 vcc, exec, s[2:3]
	s_cbranch_vccnz .LBB54_8
; %bb.7:
	v_mov_b32_e32 v1, 0
	v_lshl_add_u64 v[6:7], v[0:1], 1, s[10:11]
	v_lshl_add_u64 v[8:9], v[0:1], 3, s[14:15]
	s_waitcnt vmcnt(0)
	global_store_short v[6:7], v4, off
	global_store_dwordx2 v[8:9], v[2:3], off
.LBB54_8:
	s_mov_b64 s[2:3], 0
.LBB54_9:
	s_andn2_b64 vcc, exec, s[2:3]
	s_cbranch_vccnz .LBB54_24
; %bb.10:
	s_min_u32 s13, s12, s16
	s_add_i32 s2, s13, s17
	s_min_u32 s16, s2, s16
	s_min_u32 s2, s19, s13
	s_add_i32 s19, s19, s13
	v_subrev_u32_e32 v0, s19, v0
	v_add_u32_e32 v0, s2, v0
	s_andn2_b64 vcc, exec, s[6:7]
	s_mov_b64 s[2:3], -1
	s_cbranch_vccnz .LBB54_18
; %bb.11:
	s_and_saveexec_b64 s[2:3], s[4:5]
	s_cbranch_execz .LBB54_17
; %bb.12:
	s_cmp_ge_u32 s12, s16
	v_mov_b32_e32 v1, s13
	s_cbranch_scc1 .LBB54_16
; %bb.13:
	s_mov_b64 s[4:5], 0
	v_mov_b32_e32 v5, s16
	v_mov_b32_e32 v1, s13
.LBB54_14:                              ; =>This Inner Loop Header: Depth=1
	v_add_u32_e32 v6, v1, v5
	v_and_b32_e32 v7, -2, v6
	global_load_ushort v7, v7, s[8:9]
	v_lshrrev_b32_e32 v6, 1, v6
	v_add_u32_e32 v8, 1, v6
	s_waitcnt vmcnt(0)
	v_cmp_gt_i16_e32 vcc, v7, v4
	s_nop 1
	v_cndmask_b32_e64 v9, 0, 1, vcc
	v_cmp_le_i16_e32 vcc, v4, v7
	s_nop 1
	v_cndmask_b32_e64 v7, 0, 1, vcc
	v_cndmask_b32_e64 v7, v7, v9, s[0:1]
	v_and_b32_e32 v7, 1, v7
	v_cmp_eq_u32_e32 vcc, 1, v7
	s_nop 1
	v_cndmask_b32_e32 v5, v6, v5, vcc
	v_cndmask_b32_e32 v1, v1, v8, vcc
	v_cmp_ge_u32_e32 vcc, v1, v5
	s_or_b64 s[4:5], vcc, s[4:5]
	s_andn2_b64 exec, exec, s[4:5]
	s_cbranch_execnz .LBB54_14
; %bb.15:
	s_or_b64 exec, exec, s[4:5]
.LBB54_16:
	v_add_u32_e32 v6, v1, v0
	v_mov_b32_e32 v7, 0
	v_lshl_add_u64 v[8:9], v[6:7], 1, s[10:11]
	v_lshl_add_u64 v[6:7], v[6:7], 3, s[14:15]
	s_waitcnt vmcnt(0)
	global_store_short v[8:9], v4, off
	global_store_dwordx2 v[6:7], v[2:3], off
.LBB54_17:
	s_or_b64 exec, exec, s[2:3]
	s_mov_b64 s[2:3], 0
.LBB54_18:
	s_andn2_b64 vcc, exec, s[2:3]
	s_cbranch_vccnz .LBB54_24
; %bb.19:
	s_cmp_ge_u32 s12, s16
	v_mov_b32_e32 v1, s13
	s_cbranch_scc1 .LBB54_23
; %bb.20:
	s_mov_b64 s[2:3], 0
	v_mov_b32_e32 v5, s16
	v_mov_b32_e32 v1, s13
.LBB54_21:                              ; =>This Inner Loop Header: Depth=1
	v_add_u32_e32 v6, v1, v5
	v_and_b32_e32 v7, -2, v6
	global_load_ushort v7, v7, s[8:9]
	v_lshrrev_b32_e32 v6, 1, v6
	v_add_u32_e32 v8, 1, v6
	s_waitcnt vmcnt(0)
	v_cmp_gt_i16_e32 vcc, v7, v4
	s_nop 1
	v_cndmask_b32_e64 v9, 0, 1, vcc
	v_cmp_le_i16_e32 vcc, v4, v7
	s_nop 1
	v_cndmask_b32_e64 v7, 0, 1, vcc
	v_cndmask_b32_e64 v7, v7, v9, s[0:1]
	v_and_b32_e32 v7, 1, v7
	v_cmp_eq_u32_e32 vcc, 1, v7
	s_nop 1
	v_cndmask_b32_e32 v5, v6, v5, vcc
	v_cndmask_b32_e32 v1, v1, v8, vcc
	v_cmp_ge_u32_e32 vcc, v1, v5
	s_or_b64 s[2:3], vcc, s[2:3]
	s_andn2_b64 exec, exec, s[2:3]
	s_cbranch_execnz .LBB54_21
; %bb.22:
	s_or_b64 exec, exec, s[2:3]
.LBB54_23:
	v_add_u32_e32 v0, v1, v0
	v_mov_b32_e32 v1, 0
	v_lshl_add_u64 v[6:7], v[0:1], 1, s[10:11]
	v_lshl_add_u64 v[0:1], v[0:1], 3, s[14:15]
	s_waitcnt vmcnt(0)
	global_store_short v[6:7], v4, off
	global_store_dwordx2 v[0:1], v[2:3], off
.LBB54_24:
	s_endpgm
	.section	.rodata,"a",@progbits
	.p2align	6, 0x0
	.amdhsa_kernel _ZN7rocprim17ROCPRIM_304000_NS6detail33device_block_merge_oddeven_kernelINS1_37wrapped_merge_sort_block_merge_configINS0_14default_configEsN2at4cuda3cub6detail10OpaqueTypeILi8EEEEEPsSC_PSA_SD_jNS1_19radix_merge_compareILb1ELb0EsNS0_19identity_decomposerEEEEEvT0_T1_T2_T3_T4_SL_T5_
		.amdhsa_group_segment_fixed_size 0
		.amdhsa_private_segment_fixed_size 0
		.amdhsa_kernarg_size 44
		.amdhsa_user_sgpr_count 2
		.amdhsa_user_sgpr_dispatch_ptr 0
		.amdhsa_user_sgpr_queue_ptr 0
		.amdhsa_user_sgpr_kernarg_segment_ptr 1
		.amdhsa_user_sgpr_dispatch_id 0
		.amdhsa_user_sgpr_kernarg_preload_length 0
		.amdhsa_user_sgpr_kernarg_preload_offset 0
		.amdhsa_user_sgpr_private_segment_size 0
		.amdhsa_uses_dynamic_stack 0
		.amdhsa_enable_private_segment 0
		.amdhsa_system_sgpr_workgroup_id_x 1
		.amdhsa_system_sgpr_workgroup_id_y 0
		.amdhsa_system_sgpr_workgroup_id_z 0
		.amdhsa_system_sgpr_workgroup_info 0
		.amdhsa_system_vgpr_workitem_id 0
		.amdhsa_next_free_vgpr 10
		.amdhsa_next_free_sgpr 22
		.amdhsa_accum_offset 12
		.amdhsa_reserve_vcc 1
		.amdhsa_float_round_mode_32 0
		.amdhsa_float_round_mode_16_64 0
		.amdhsa_float_denorm_mode_32 3
		.amdhsa_float_denorm_mode_16_64 3
		.amdhsa_dx10_clamp 1
		.amdhsa_ieee_mode 1
		.amdhsa_fp16_overflow 0
		.amdhsa_tg_split 0
		.amdhsa_exception_fp_ieee_invalid_op 0
		.amdhsa_exception_fp_denorm_src 0
		.amdhsa_exception_fp_ieee_div_zero 0
		.amdhsa_exception_fp_ieee_overflow 0
		.amdhsa_exception_fp_ieee_underflow 0
		.amdhsa_exception_fp_ieee_inexact 0
		.amdhsa_exception_int_div_zero 0
	.end_amdhsa_kernel
	.section	.text._ZN7rocprim17ROCPRIM_304000_NS6detail33device_block_merge_oddeven_kernelINS1_37wrapped_merge_sort_block_merge_configINS0_14default_configEsN2at4cuda3cub6detail10OpaqueTypeILi8EEEEEPsSC_PSA_SD_jNS1_19radix_merge_compareILb1ELb0EsNS0_19identity_decomposerEEEEEvT0_T1_T2_T3_T4_SL_T5_,"axG",@progbits,_ZN7rocprim17ROCPRIM_304000_NS6detail33device_block_merge_oddeven_kernelINS1_37wrapped_merge_sort_block_merge_configINS0_14default_configEsN2at4cuda3cub6detail10OpaqueTypeILi8EEEEEPsSC_PSA_SD_jNS1_19radix_merge_compareILb1ELb0EsNS0_19identity_decomposerEEEEEvT0_T1_T2_T3_T4_SL_T5_,comdat
.Lfunc_end54:
	.size	_ZN7rocprim17ROCPRIM_304000_NS6detail33device_block_merge_oddeven_kernelINS1_37wrapped_merge_sort_block_merge_configINS0_14default_configEsN2at4cuda3cub6detail10OpaqueTypeILi8EEEEEPsSC_PSA_SD_jNS1_19radix_merge_compareILb1ELb0EsNS0_19identity_decomposerEEEEEvT0_T1_T2_T3_T4_SL_T5_, .Lfunc_end54-_ZN7rocprim17ROCPRIM_304000_NS6detail33device_block_merge_oddeven_kernelINS1_37wrapped_merge_sort_block_merge_configINS0_14default_configEsN2at4cuda3cub6detail10OpaqueTypeILi8EEEEEPsSC_PSA_SD_jNS1_19radix_merge_compareILb1ELb0EsNS0_19identity_decomposerEEEEEvT0_T1_T2_T3_T4_SL_T5_
                                        ; -- End function
	.set _ZN7rocprim17ROCPRIM_304000_NS6detail33device_block_merge_oddeven_kernelINS1_37wrapped_merge_sort_block_merge_configINS0_14default_configEsN2at4cuda3cub6detail10OpaqueTypeILi8EEEEEPsSC_PSA_SD_jNS1_19radix_merge_compareILb1ELb0EsNS0_19identity_decomposerEEEEEvT0_T1_T2_T3_T4_SL_T5_.num_vgpr, 10
	.set _ZN7rocprim17ROCPRIM_304000_NS6detail33device_block_merge_oddeven_kernelINS1_37wrapped_merge_sort_block_merge_configINS0_14default_configEsN2at4cuda3cub6detail10OpaqueTypeILi8EEEEEPsSC_PSA_SD_jNS1_19radix_merge_compareILb1ELb0EsNS0_19identity_decomposerEEEEEvT0_T1_T2_T3_T4_SL_T5_.num_agpr, 0
	.set _ZN7rocprim17ROCPRIM_304000_NS6detail33device_block_merge_oddeven_kernelINS1_37wrapped_merge_sort_block_merge_configINS0_14default_configEsN2at4cuda3cub6detail10OpaqueTypeILi8EEEEEPsSC_PSA_SD_jNS1_19radix_merge_compareILb1ELb0EsNS0_19identity_decomposerEEEEEvT0_T1_T2_T3_T4_SL_T5_.numbered_sgpr, 22
	.set _ZN7rocprim17ROCPRIM_304000_NS6detail33device_block_merge_oddeven_kernelINS1_37wrapped_merge_sort_block_merge_configINS0_14default_configEsN2at4cuda3cub6detail10OpaqueTypeILi8EEEEEPsSC_PSA_SD_jNS1_19radix_merge_compareILb1ELb0EsNS0_19identity_decomposerEEEEEvT0_T1_T2_T3_T4_SL_T5_.num_named_barrier, 0
	.set _ZN7rocprim17ROCPRIM_304000_NS6detail33device_block_merge_oddeven_kernelINS1_37wrapped_merge_sort_block_merge_configINS0_14default_configEsN2at4cuda3cub6detail10OpaqueTypeILi8EEEEEPsSC_PSA_SD_jNS1_19radix_merge_compareILb1ELb0EsNS0_19identity_decomposerEEEEEvT0_T1_T2_T3_T4_SL_T5_.private_seg_size, 0
	.set _ZN7rocprim17ROCPRIM_304000_NS6detail33device_block_merge_oddeven_kernelINS1_37wrapped_merge_sort_block_merge_configINS0_14default_configEsN2at4cuda3cub6detail10OpaqueTypeILi8EEEEEPsSC_PSA_SD_jNS1_19radix_merge_compareILb1ELb0EsNS0_19identity_decomposerEEEEEvT0_T1_T2_T3_T4_SL_T5_.uses_vcc, 1
	.set _ZN7rocprim17ROCPRIM_304000_NS6detail33device_block_merge_oddeven_kernelINS1_37wrapped_merge_sort_block_merge_configINS0_14default_configEsN2at4cuda3cub6detail10OpaqueTypeILi8EEEEEPsSC_PSA_SD_jNS1_19radix_merge_compareILb1ELb0EsNS0_19identity_decomposerEEEEEvT0_T1_T2_T3_T4_SL_T5_.uses_flat_scratch, 0
	.set _ZN7rocprim17ROCPRIM_304000_NS6detail33device_block_merge_oddeven_kernelINS1_37wrapped_merge_sort_block_merge_configINS0_14default_configEsN2at4cuda3cub6detail10OpaqueTypeILi8EEEEEPsSC_PSA_SD_jNS1_19radix_merge_compareILb1ELb0EsNS0_19identity_decomposerEEEEEvT0_T1_T2_T3_T4_SL_T5_.has_dyn_sized_stack, 0
	.set _ZN7rocprim17ROCPRIM_304000_NS6detail33device_block_merge_oddeven_kernelINS1_37wrapped_merge_sort_block_merge_configINS0_14default_configEsN2at4cuda3cub6detail10OpaqueTypeILi8EEEEEPsSC_PSA_SD_jNS1_19radix_merge_compareILb1ELb0EsNS0_19identity_decomposerEEEEEvT0_T1_T2_T3_T4_SL_T5_.has_recursion, 0
	.set _ZN7rocprim17ROCPRIM_304000_NS6detail33device_block_merge_oddeven_kernelINS1_37wrapped_merge_sort_block_merge_configINS0_14default_configEsN2at4cuda3cub6detail10OpaqueTypeILi8EEEEEPsSC_PSA_SD_jNS1_19radix_merge_compareILb1ELb0EsNS0_19identity_decomposerEEEEEvT0_T1_T2_T3_T4_SL_T5_.has_indirect_call, 0
	.section	.AMDGPU.csdata,"",@progbits
; Kernel info:
; codeLenInByte = 732
; TotalNumSgprs: 28
; NumVgprs: 10
; NumAgprs: 0
; TotalNumVgprs: 10
; ScratchSize: 0
; MemoryBound: 0
; FloatMode: 240
; IeeeMode: 1
; LDSByteSize: 0 bytes/workgroup (compile time only)
; SGPRBlocks: 3
; VGPRBlocks: 1
; NumSGPRsForWavesPerEU: 28
; NumVGPRsForWavesPerEU: 10
; AccumOffset: 12
; Occupancy: 8
; WaveLimiterHint : 0
; COMPUTE_PGM_RSRC2:SCRATCH_EN: 0
; COMPUTE_PGM_RSRC2:USER_SGPR: 2
; COMPUTE_PGM_RSRC2:TRAP_HANDLER: 0
; COMPUTE_PGM_RSRC2:TGID_X_EN: 1
; COMPUTE_PGM_RSRC2:TGID_Y_EN: 0
; COMPUTE_PGM_RSRC2:TGID_Z_EN: 0
; COMPUTE_PGM_RSRC2:TIDIG_COMP_CNT: 0
; COMPUTE_PGM_RSRC3_GFX90A:ACCUM_OFFSET: 2
; COMPUTE_PGM_RSRC3_GFX90A:TG_SPLIT: 0
	.section	.text._ZN7rocprim17ROCPRIM_304000_NS6detail16transform_kernelINS1_24wrapped_transform_configINS0_14default_configEsEEsPsS6_NS0_8identityIsEEEEvT1_mT2_T3_,"axG",@progbits,_ZN7rocprim17ROCPRIM_304000_NS6detail16transform_kernelINS1_24wrapped_transform_configINS0_14default_configEsEEsPsS6_NS0_8identityIsEEEEvT1_mT2_T3_,comdat
	.protected	_ZN7rocprim17ROCPRIM_304000_NS6detail16transform_kernelINS1_24wrapped_transform_configINS0_14default_configEsEEsPsS6_NS0_8identityIsEEEEvT1_mT2_T3_ ; -- Begin function _ZN7rocprim17ROCPRIM_304000_NS6detail16transform_kernelINS1_24wrapped_transform_configINS0_14default_configEsEEsPsS6_NS0_8identityIsEEEEvT1_mT2_T3_
	.globl	_ZN7rocprim17ROCPRIM_304000_NS6detail16transform_kernelINS1_24wrapped_transform_configINS0_14default_configEsEEsPsS6_NS0_8identityIsEEEEvT1_mT2_T3_
	.p2align	8
	.type	_ZN7rocprim17ROCPRIM_304000_NS6detail16transform_kernelINS1_24wrapped_transform_configINS0_14default_configEsEEsPsS6_NS0_8identityIsEEEEvT1_mT2_T3_,@function
_ZN7rocprim17ROCPRIM_304000_NS6detail16transform_kernelINS1_24wrapped_transform_configINS0_14default_configEsEEsPsS6_NS0_8identityIsEEEEvT1_mT2_T3_: ; @_ZN7rocprim17ROCPRIM_304000_NS6detail16transform_kernelINS1_24wrapped_transform_configINS0_14default_configEsEEsPsS6_NS0_8identityIsEEEEvT1_mT2_T3_
; %bb.0:
	s_load_dword s3, s[0:1], 0x20
	s_load_dwordx4 s[4:7], s[0:1], 0x0
	s_load_dwordx2 s[8:9], s[0:1], 0x10
	s_lshl_b32 s0, s2, 9
	s_mov_b32 s1, 0
	s_waitcnt lgkmcnt(0)
	s_add_i32 s3, s3, -1
	s_lshl_b64 s[10:11], s[0:1], 1
	s_add_u32 s4, s4, s10
	s_addc_u32 s5, s5, s11
	v_mov_b32_e32 v3, 0
	v_lshlrev_b32_e32 v2, 1, v0
	s_cmp_lg_u32 s2, s3
	v_lshl_add_u64 v[6:7], s[4:5], 0, v[2:3]
	s_cbranch_scc0 .LBB55_2
; %bb.1:
	global_load_ushort v3, v[6:7], off
	global_load_ushort v4, v[6:7], off offset:256
	global_load_ushort v5, v[6:7], off offset:512
	;; [unrolled: 1-line block ×3, first 2 shown]
	s_add_u32 s4, s8, s10
	s_addc_u32 s5, s9, s11
	s_mov_b64 s[12:13], -1
	s_waitcnt vmcnt(3)
	global_store_short v2, v3, s[4:5]
	s_waitcnt vmcnt(3)
	global_store_short v2, v4, s[4:5] offset:256
	s_waitcnt vmcnt(3)
	global_store_short v2, v5, s[4:5] offset:512
	s_cbranch_execz .LBB55_3
	s_branch .LBB55_17
.LBB55_2:
	s_mov_b64 s[12:13], 0
                                        ; implicit-def: $vgpr1
.LBB55_3:
	s_sub_i32 s6, s6, s0
	v_mov_b32_e32 v4, 0
	v_cmp_gt_u32_e32 vcc, s6, v0
	v_mov_b32_e32 v5, v4
	s_and_saveexec_b64 s[0:1], vcc
	s_cbranch_execz .LBB55_5
; %bb.4:
	global_load_ushort v1, v[6:7], off
	v_mov_b32_e32 v9, v4
	s_waitcnt vmcnt(0)
	v_and_b32_e32 v8, 0xffff, v1
	v_mov_b64_e32 v[4:5], v[8:9]
.LBB55_5:
	s_or_b64 exec, exec, s[0:1]
	s_waitcnt vmcnt(3)
	v_or_b32_e32 v1, 0x80, v0
	v_cmp_gt_u32_e64 s[0:1], s6, v1
	s_and_saveexec_b64 s[2:3], s[0:1]
	s_cbranch_execz .LBB55_7
; %bb.6:
	global_load_ushort v1, v[6:7], off offset:256
	s_mov_b32 s4, 0x5040100
	s_waitcnt vmcnt(0)
	v_perm_b32 v4, v1, v4, s4
.LBB55_7:
	s_or_b64 exec, exec, s[2:3]
	v_or_b32_e32 v1, 0x100, v0
	v_cmp_gt_u32_e64 s[2:3], s6, v1
	s_and_saveexec_b64 s[4:5], s[2:3]
	s_cbranch_execz .LBB55_9
; %bb.8:
	global_load_ushort v1, v[6:7], off offset:512
	s_mov_b32 s7, 0xffff
	s_waitcnt vmcnt(0)
	v_bfi_b32 v5, s7, v1, v5
.LBB55_9:
	s_or_b64 exec, exec, s[4:5]
	v_or_b32_e32 v0, 0x180, v0
	v_cmp_gt_u32_e64 s[4:5], s6, v0
	s_and_saveexec_b64 s[6:7], s[4:5]
	s_cbranch_execz .LBB55_11
; %bb.10:
	global_load_ushort v0, v[6:7], off offset:768
	s_mov_b32 s14, 0x5040100
	s_waitcnt vmcnt(0)
	v_perm_b32 v5, v0, v5, s14
.LBB55_11:
	s_or_b64 exec, exec, s[6:7]
	s_add_u32 s6, s8, s10
	v_mov_b32_e32 v3, 0
	s_addc_u32 s7, s9, s11
	v_cndmask_b32_sdwa v6, v3, v4, vcc dst_sel:DWORD dst_unused:UNUSED_PAD src0_sel:DWORD src1_sel:WORD_0
	v_lshl_add_u64 v[0:1], s[6:7], 0, v[2:3]
	s_and_saveexec_b64 s[6:7], vcc
	s_cbranch_execnz .LBB55_20
; %bb.12:
	s_or_b64 exec, exec, s[6:7]
	v_cndmask_b32_e64 v3, v6, v4, s[0:1]
	s_and_saveexec_b64 s[6:7], s[0:1]
	s_cbranch_execnz .LBB55_21
.LBB55_13:
	s_or_b64 exec, exec, s[6:7]
	s_and_saveexec_b64 s[0:1], s[2:3]
	s_cbranch_execnz .LBB55_22
.LBB55_14:
	s_or_b64 exec, exec, s[0:1]
                                        ; implicit-def: $vgpr1
	s_and_saveexec_b64 s[0:1], s[4:5]
.LBB55_15:
	v_cndmask_b32_e64 v0, 0, v5, s[4:5]
	v_lshrrev_b32_e32 v1, 16, v0
	s_or_b64 s[12:13], s[12:13], exec
.LBB55_16:
	s_or_b64 exec, exec, s[0:1]
.LBB55_17:
	s_and_saveexec_b64 s[0:1], s[12:13]
	s_cbranch_execnz .LBB55_19
; %bb.18:
	s_endpgm
.LBB55_19:
	s_add_u32 s0, s8, s10
	s_addc_u32 s1, s9, s11
	s_waitcnt vmcnt(3)
	global_store_short v2, v1, s[0:1] offset:768
	s_endpgm
.LBB55_20:
	global_store_short v[0:1], v6, off
	s_or_b64 exec, exec, s[6:7]
	v_cndmask_b32_e64 v3, v6, v4, s[0:1]
	s_and_saveexec_b64 s[6:7], s[0:1]
	s_cbranch_execz .LBB55_13
.LBB55_21:
	global_store_short_d16_hi v[0:1], v3, off offset:256
	s_or_b64 exec, exec, s[6:7]
	s_and_saveexec_b64 s[0:1], s[2:3]
	s_cbranch_execz .LBB55_14
.LBB55_22:
	v_cndmask_b32_e64 v3, 0, v5, s[2:3]
	global_store_short v[0:1], v3, off offset:512
	s_or_b64 exec, exec, s[0:1]
                                        ; implicit-def: $vgpr1
	s_and_saveexec_b64 s[0:1], s[4:5]
	s_cbranch_execnz .LBB55_15
	s_branch .LBB55_16
	.section	.rodata,"a",@progbits
	.p2align	6, 0x0
	.amdhsa_kernel _ZN7rocprim17ROCPRIM_304000_NS6detail16transform_kernelINS1_24wrapped_transform_configINS0_14default_configEsEEsPsS6_NS0_8identityIsEEEEvT1_mT2_T3_
		.amdhsa_group_segment_fixed_size 0
		.amdhsa_private_segment_fixed_size 0
		.amdhsa_kernarg_size 288
		.amdhsa_user_sgpr_count 2
		.amdhsa_user_sgpr_dispatch_ptr 0
		.amdhsa_user_sgpr_queue_ptr 0
		.amdhsa_user_sgpr_kernarg_segment_ptr 1
		.amdhsa_user_sgpr_dispatch_id 0
		.amdhsa_user_sgpr_kernarg_preload_length 0
		.amdhsa_user_sgpr_kernarg_preload_offset 0
		.amdhsa_user_sgpr_private_segment_size 0
		.amdhsa_uses_dynamic_stack 0
		.amdhsa_enable_private_segment 0
		.amdhsa_system_sgpr_workgroup_id_x 1
		.amdhsa_system_sgpr_workgroup_id_y 0
		.amdhsa_system_sgpr_workgroup_id_z 0
		.amdhsa_system_sgpr_workgroup_info 0
		.amdhsa_system_vgpr_workitem_id 0
		.amdhsa_next_free_vgpr 10
		.amdhsa_next_free_sgpr 15
		.amdhsa_accum_offset 12
		.amdhsa_reserve_vcc 1
		.amdhsa_float_round_mode_32 0
		.amdhsa_float_round_mode_16_64 0
		.amdhsa_float_denorm_mode_32 3
		.amdhsa_float_denorm_mode_16_64 3
		.amdhsa_dx10_clamp 1
		.amdhsa_ieee_mode 1
		.amdhsa_fp16_overflow 0
		.amdhsa_tg_split 0
		.amdhsa_exception_fp_ieee_invalid_op 0
		.amdhsa_exception_fp_denorm_src 0
		.amdhsa_exception_fp_ieee_div_zero 0
		.amdhsa_exception_fp_ieee_overflow 0
		.amdhsa_exception_fp_ieee_underflow 0
		.amdhsa_exception_fp_ieee_inexact 0
		.amdhsa_exception_int_div_zero 0
	.end_amdhsa_kernel
	.section	.text._ZN7rocprim17ROCPRIM_304000_NS6detail16transform_kernelINS1_24wrapped_transform_configINS0_14default_configEsEEsPsS6_NS0_8identityIsEEEEvT1_mT2_T3_,"axG",@progbits,_ZN7rocprim17ROCPRIM_304000_NS6detail16transform_kernelINS1_24wrapped_transform_configINS0_14default_configEsEEsPsS6_NS0_8identityIsEEEEvT1_mT2_T3_,comdat
.Lfunc_end55:
	.size	_ZN7rocprim17ROCPRIM_304000_NS6detail16transform_kernelINS1_24wrapped_transform_configINS0_14default_configEsEEsPsS6_NS0_8identityIsEEEEvT1_mT2_T3_, .Lfunc_end55-_ZN7rocprim17ROCPRIM_304000_NS6detail16transform_kernelINS1_24wrapped_transform_configINS0_14default_configEsEEsPsS6_NS0_8identityIsEEEEvT1_mT2_T3_
                                        ; -- End function
	.set _ZN7rocprim17ROCPRIM_304000_NS6detail16transform_kernelINS1_24wrapped_transform_configINS0_14default_configEsEEsPsS6_NS0_8identityIsEEEEvT1_mT2_T3_.num_vgpr, 10
	.set _ZN7rocprim17ROCPRIM_304000_NS6detail16transform_kernelINS1_24wrapped_transform_configINS0_14default_configEsEEsPsS6_NS0_8identityIsEEEEvT1_mT2_T3_.num_agpr, 0
	.set _ZN7rocprim17ROCPRIM_304000_NS6detail16transform_kernelINS1_24wrapped_transform_configINS0_14default_configEsEEsPsS6_NS0_8identityIsEEEEvT1_mT2_T3_.numbered_sgpr, 15
	.set _ZN7rocprim17ROCPRIM_304000_NS6detail16transform_kernelINS1_24wrapped_transform_configINS0_14default_configEsEEsPsS6_NS0_8identityIsEEEEvT1_mT2_T3_.num_named_barrier, 0
	.set _ZN7rocprim17ROCPRIM_304000_NS6detail16transform_kernelINS1_24wrapped_transform_configINS0_14default_configEsEEsPsS6_NS0_8identityIsEEEEvT1_mT2_T3_.private_seg_size, 0
	.set _ZN7rocprim17ROCPRIM_304000_NS6detail16transform_kernelINS1_24wrapped_transform_configINS0_14default_configEsEEsPsS6_NS0_8identityIsEEEEvT1_mT2_T3_.uses_vcc, 1
	.set _ZN7rocprim17ROCPRIM_304000_NS6detail16transform_kernelINS1_24wrapped_transform_configINS0_14default_configEsEEsPsS6_NS0_8identityIsEEEEvT1_mT2_T3_.uses_flat_scratch, 0
	.set _ZN7rocprim17ROCPRIM_304000_NS6detail16transform_kernelINS1_24wrapped_transform_configINS0_14default_configEsEEsPsS6_NS0_8identityIsEEEEvT1_mT2_T3_.has_dyn_sized_stack, 0
	.set _ZN7rocprim17ROCPRIM_304000_NS6detail16transform_kernelINS1_24wrapped_transform_configINS0_14default_configEsEEsPsS6_NS0_8identityIsEEEEvT1_mT2_T3_.has_recursion, 0
	.set _ZN7rocprim17ROCPRIM_304000_NS6detail16transform_kernelINS1_24wrapped_transform_configINS0_14default_configEsEEsPsS6_NS0_8identityIsEEEEvT1_mT2_T3_.has_indirect_call, 0
	.section	.AMDGPU.csdata,"",@progbits
; Kernel info:
; codeLenInByte = 608
; TotalNumSgprs: 21
; NumVgprs: 10
; NumAgprs: 0
; TotalNumVgprs: 10
; ScratchSize: 0
; MemoryBound: 0
; FloatMode: 240
; IeeeMode: 1
; LDSByteSize: 0 bytes/workgroup (compile time only)
; SGPRBlocks: 2
; VGPRBlocks: 1
; NumSGPRsForWavesPerEU: 21
; NumVGPRsForWavesPerEU: 10
; AccumOffset: 12
; Occupancy: 8
; WaveLimiterHint : 1
; COMPUTE_PGM_RSRC2:SCRATCH_EN: 0
; COMPUTE_PGM_RSRC2:USER_SGPR: 2
; COMPUTE_PGM_RSRC2:TRAP_HANDLER: 0
; COMPUTE_PGM_RSRC2:TGID_X_EN: 1
; COMPUTE_PGM_RSRC2:TGID_Y_EN: 0
; COMPUTE_PGM_RSRC2:TGID_Z_EN: 0
; COMPUTE_PGM_RSRC2:TIDIG_COMP_CNT: 0
; COMPUTE_PGM_RSRC3_GFX90A:ACCUM_OFFSET: 2
; COMPUTE_PGM_RSRC3_GFX90A:TG_SPLIT: 0
	.section	.text._ZN7rocprim17ROCPRIM_304000_NS6detail45device_block_merge_mergepath_partition_kernelINS1_37wrapped_merge_sort_block_merge_configINS0_14default_configEsN2at4cuda3cub6detail10OpaqueTypeILi8EEEEEPsjNS1_19radix_merge_compareILb1ELb1EsNS0_19identity_decomposerEEEEEvT0_T1_jPSH_T2_SH_,"axG",@progbits,_ZN7rocprim17ROCPRIM_304000_NS6detail45device_block_merge_mergepath_partition_kernelINS1_37wrapped_merge_sort_block_merge_configINS0_14default_configEsN2at4cuda3cub6detail10OpaqueTypeILi8EEEEEPsjNS1_19radix_merge_compareILb1ELb1EsNS0_19identity_decomposerEEEEEvT0_T1_jPSH_T2_SH_,comdat
	.protected	_ZN7rocprim17ROCPRIM_304000_NS6detail45device_block_merge_mergepath_partition_kernelINS1_37wrapped_merge_sort_block_merge_configINS0_14default_configEsN2at4cuda3cub6detail10OpaqueTypeILi8EEEEEPsjNS1_19radix_merge_compareILb1ELb1EsNS0_19identity_decomposerEEEEEvT0_T1_jPSH_T2_SH_ ; -- Begin function _ZN7rocprim17ROCPRIM_304000_NS6detail45device_block_merge_mergepath_partition_kernelINS1_37wrapped_merge_sort_block_merge_configINS0_14default_configEsN2at4cuda3cub6detail10OpaqueTypeILi8EEEEEPsjNS1_19radix_merge_compareILb1ELb1EsNS0_19identity_decomposerEEEEEvT0_T1_jPSH_T2_SH_
	.globl	_ZN7rocprim17ROCPRIM_304000_NS6detail45device_block_merge_mergepath_partition_kernelINS1_37wrapped_merge_sort_block_merge_configINS0_14default_configEsN2at4cuda3cub6detail10OpaqueTypeILi8EEEEEPsjNS1_19radix_merge_compareILb1ELb1EsNS0_19identity_decomposerEEEEEvT0_T1_jPSH_T2_SH_
	.p2align	8
	.type	_ZN7rocprim17ROCPRIM_304000_NS6detail45device_block_merge_mergepath_partition_kernelINS1_37wrapped_merge_sort_block_merge_configINS0_14default_configEsN2at4cuda3cub6detail10OpaqueTypeILi8EEEEEPsjNS1_19radix_merge_compareILb1ELb1EsNS0_19identity_decomposerEEEEEvT0_T1_jPSH_T2_SH_,@function
_ZN7rocprim17ROCPRIM_304000_NS6detail45device_block_merge_mergepath_partition_kernelINS1_37wrapped_merge_sort_block_merge_configINS0_14default_configEsN2at4cuda3cub6detail10OpaqueTypeILi8EEEEEPsjNS1_19radix_merge_compareILb1ELb1EsNS0_19identity_decomposerEEEEEvT0_T1_jPSH_T2_SH_: ; @_ZN7rocprim17ROCPRIM_304000_NS6detail45device_block_merge_mergepath_partition_kernelINS1_37wrapped_merge_sort_block_merge_configINS0_14default_configEsN2at4cuda3cub6detail10OpaqueTypeILi8EEEEEPsjNS1_19radix_merge_compareILb1ELb1EsNS0_19identity_decomposerEEEEEvT0_T1_jPSH_T2_SH_
; %bb.0:
	s_load_dwordx2 s[4:5], s[0:1], 0x8
	v_lshl_or_b32 v0, s2, 7, v0
	s_waitcnt lgkmcnt(0)
	v_cmp_gt_u32_e32 vcc, s5, v0
	s_and_saveexec_b64 s[2:3], vcc
	s_cbranch_execz .LBB56_6
; %bb.1:
	s_load_dwordx2 s[2:3], s[0:1], 0x18
	s_waitcnt lgkmcnt(0)
	s_lshr_b32 s5, s3, 9
	s_and_b32 s5, s5, 0x7ffffe
	s_add_i32 s6, s5, -1
	s_sub_i32 s5, 0, s5
	v_and_b32_e32 v1, s5, v0
	v_and_b32_e32 v2, s6, v0
	v_lshlrev_b32_e32 v1, 10, v1
	v_lshlrev_b32_e32 v3, 10, v2
	v_min_u32_e32 v2, s4, v1
	v_add_u32_e32 v1, s3, v1
	v_min_u32_e32 v4, s4, v1
	v_add_u32_e32 v1, s3, v4
	v_min_u32_e32 v1, s4, v1
	v_sub_u32_e32 v5, v1, v2
	v_min_u32_e32 v10, v5, v3
	v_sub_u32_e32 v3, v4, v2
	v_sub_u32_e32 v1, v1, v4
	v_sub_u32_e64 v1, v10, v1 clamp
	v_min_u32_e32 v11, v10, v3
	v_cmp_lt_u32_e32 vcc, v1, v11
	s_and_saveexec_b64 s[4:5], vcc
	s_cbranch_execz .LBB56_5
; %bb.2:
	s_load_dwordx2 s[6:7], s[0:1], 0x0
	v_mov_b32_e32 v5, 0
	v_mov_b32_e32 v3, v5
	s_waitcnt lgkmcnt(0)
	v_lshl_add_u64 v[6:7], v[2:3], 1, s[6:7]
	v_lshl_add_u64 v[8:9], v[4:5], 1, s[6:7]
	s_mov_b64 s[6:7], 0
.LBB56_3:                               ; =>This Inner Loop Header: Depth=1
	v_add_u32_e32 v3, v11, v1
	v_lshrrev_b32_e32 v16, 1, v3
	v_and_b32_e32 v4, -2, v3
	v_mov_b32_e32 v13, v5
	v_xad_u32 v12, v16, -1, v10
	v_lshl_add_u64 v[14:15], v[6:7], 0, v[4:5]
	v_lshl_add_u64 v[12:13], v[12:13], 1, v[8:9]
	global_load_ushort v3, v[14:15], off
	global_load_ushort v4, v[12:13], off
	v_add_u32_e32 v12, 1, v16
	s_waitcnt vmcnt(1)
	v_and_b32_e32 v3, s2, v3
	s_waitcnt vmcnt(0)
	v_and_b32_e32 v4, s2, v4
	v_cmp_gt_i16_e32 vcc, v4, v3
	s_nop 1
	v_cndmask_b32_e32 v11, v11, v16, vcc
	v_cndmask_b32_e32 v1, v12, v1, vcc
	v_cmp_ge_u32_e32 vcc, v1, v11
	s_or_b64 s[6:7], vcc, s[6:7]
	s_andn2_b64 exec, exec, s[6:7]
	s_cbranch_execnz .LBB56_3
; %bb.4:
	s_or_b64 exec, exec, s[6:7]
.LBB56_5:
	s_or_b64 exec, exec, s[4:5]
	s_load_dwordx2 s[0:1], s[0:1], 0x10
	v_add_u32_e32 v2, v1, v2
	v_mov_b32_e32 v1, 0
	s_waitcnt lgkmcnt(0)
	v_lshl_add_u64 v[0:1], v[0:1], 2, s[0:1]
	global_store_dword v[0:1], v2, off
.LBB56_6:
	s_endpgm
	.section	.rodata,"a",@progbits
	.p2align	6, 0x0
	.amdhsa_kernel _ZN7rocprim17ROCPRIM_304000_NS6detail45device_block_merge_mergepath_partition_kernelINS1_37wrapped_merge_sort_block_merge_configINS0_14default_configEsN2at4cuda3cub6detail10OpaqueTypeILi8EEEEEPsjNS1_19radix_merge_compareILb1ELb1EsNS0_19identity_decomposerEEEEEvT0_T1_jPSH_T2_SH_
		.amdhsa_group_segment_fixed_size 0
		.amdhsa_private_segment_fixed_size 0
		.amdhsa_kernarg_size 32
		.amdhsa_user_sgpr_count 2
		.amdhsa_user_sgpr_dispatch_ptr 0
		.amdhsa_user_sgpr_queue_ptr 0
		.amdhsa_user_sgpr_kernarg_segment_ptr 1
		.amdhsa_user_sgpr_dispatch_id 0
		.amdhsa_user_sgpr_kernarg_preload_length 0
		.amdhsa_user_sgpr_kernarg_preload_offset 0
		.amdhsa_user_sgpr_private_segment_size 0
		.amdhsa_uses_dynamic_stack 0
		.amdhsa_enable_private_segment 0
		.amdhsa_system_sgpr_workgroup_id_x 1
		.amdhsa_system_sgpr_workgroup_id_y 0
		.amdhsa_system_sgpr_workgroup_id_z 0
		.amdhsa_system_sgpr_workgroup_info 0
		.amdhsa_system_vgpr_workitem_id 0
		.amdhsa_next_free_vgpr 17
		.amdhsa_next_free_sgpr 8
		.amdhsa_accum_offset 20
		.amdhsa_reserve_vcc 1
		.amdhsa_float_round_mode_32 0
		.amdhsa_float_round_mode_16_64 0
		.amdhsa_float_denorm_mode_32 3
		.amdhsa_float_denorm_mode_16_64 3
		.amdhsa_dx10_clamp 1
		.amdhsa_ieee_mode 1
		.amdhsa_fp16_overflow 0
		.amdhsa_tg_split 0
		.amdhsa_exception_fp_ieee_invalid_op 0
		.amdhsa_exception_fp_denorm_src 0
		.amdhsa_exception_fp_ieee_div_zero 0
		.amdhsa_exception_fp_ieee_overflow 0
		.amdhsa_exception_fp_ieee_underflow 0
		.amdhsa_exception_fp_ieee_inexact 0
		.amdhsa_exception_int_div_zero 0
	.end_amdhsa_kernel
	.section	.text._ZN7rocprim17ROCPRIM_304000_NS6detail45device_block_merge_mergepath_partition_kernelINS1_37wrapped_merge_sort_block_merge_configINS0_14default_configEsN2at4cuda3cub6detail10OpaqueTypeILi8EEEEEPsjNS1_19radix_merge_compareILb1ELb1EsNS0_19identity_decomposerEEEEEvT0_T1_jPSH_T2_SH_,"axG",@progbits,_ZN7rocprim17ROCPRIM_304000_NS6detail45device_block_merge_mergepath_partition_kernelINS1_37wrapped_merge_sort_block_merge_configINS0_14default_configEsN2at4cuda3cub6detail10OpaqueTypeILi8EEEEEPsjNS1_19radix_merge_compareILb1ELb1EsNS0_19identity_decomposerEEEEEvT0_T1_jPSH_T2_SH_,comdat
.Lfunc_end56:
	.size	_ZN7rocprim17ROCPRIM_304000_NS6detail45device_block_merge_mergepath_partition_kernelINS1_37wrapped_merge_sort_block_merge_configINS0_14default_configEsN2at4cuda3cub6detail10OpaqueTypeILi8EEEEEPsjNS1_19radix_merge_compareILb1ELb1EsNS0_19identity_decomposerEEEEEvT0_T1_jPSH_T2_SH_, .Lfunc_end56-_ZN7rocprim17ROCPRIM_304000_NS6detail45device_block_merge_mergepath_partition_kernelINS1_37wrapped_merge_sort_block_merge_configINS0_14default_configEsN2at4cuda3cub6detail10OpaqueTypeILi8EEEEEPsjNS1_19radix_merge_compareILb1ELb1EsNS0_19identity_decomposerEEEEEvT0_T1_jPSH_T2_SH_
                                        ; -- End function
	.set _ZN7rocprim17ROCPRIM_304000_NS6detail45device_block_merge_mergepath_partition_kernelINS1_37wrapped_merge_sort_block_merge_configINS0_14default_configEsN2at4cuda3cub6detail10OpaqueTypeILi8EEEEEPsjNS1_19radix_merge_compareILb1ELb1EsNS0_19identity_decomposerEEEEEvT0_T1_jPSH_T2_SH_.num_vgpr, 17
	.set _ZN7rocprim17ROCPRIM_304000_NS6detail45device_block_merge_mergepath_partition_kernelINS1_37wrapped_merge_sort_block_merge_configINS0_14default_configEsN2at4cuda3cub6detail10OpaqueTypeILi8EEEEEPsjNS1_19radix_merge_compareILb1ELb1EsNS0_19identity_decomposerEEEEEvT0_T1_jPSH_T2_SH_.num_agpr, 0
	.set _ZN7rocprim17ROCPRIM_304000_NS6detail45device_block_merge_mergepath_partition_kernelINS1_37wrapped_merge_sort_block_merge_configINS0_14default_configEsN2at4cuda3cub6detail10OpaqueTypeILi8EEEEEPsjNS1_19radix_merge_compareILb1ELb1EsNS0_19identity_decomposerEEEEEvT0_T1_jPSH_T2_SH_.numbered_sgpr, 8
	.set _ZN7rocprim17ROCPRIM_304000_NS6detail45device_block_merge_mergepath_partition_kernelINS1_37wrapped_merge_sort_block_merge_configINS0_14default_configEsN2at4cuda3cub6detail10OpaqueTypeILi8EEEEEPsjNS1_19radix_merge_compareILb1ELb1EsNS0_19identity_decomposerEEEEEvT0_T1_jPSH_T2_SH_.num_named_barrier, 0
	.set _ZN7rocprim17ROCPRIM_304000_NS6detail45device_block_merge_mergepath_partition_kernelINS1_37wrapped_merge_sort_block_merge_configINS0_14default_configEsN2at4cuda3cub6detail10OpaqueTypeILi8EEEEEPsjNS1_19radix_merge_compareILb1ELb1EsNS0_19identity_decomposerEEEEEvT0_T1_jPSH_T2_SH_.private_seg_size, 0
	.set _ZN7rocprim17ROCPRIM_304000_NS6detail45device_block_merge_mergepath_partition_kernelINS1_37wrapped_merge_sort_block_merge_configINS0_14default_configEsN2at4cuda3cub6detail10OpaqueTypeILi8EEEEEPsjNS1_19radix_merge_compareILb1ELb1EsNS0_19identity_decomposerEEEEEvT0_T1_jPSH_T2_SH_.uses_vcc, 1
	.set _ZN7rocprim17ROCPRIM_304000_NS6detail45device_block_merge_mergepath_partition_kernelINS1_37wrapped_merge_sort_block_merge_configINS0_14default_configEsN2at4cuda3cub6detail10OpaqueTypeILi8EEEEEPsjNS1_19radix_merge_compareILb1ELb1EsNS0_19identity_decomposerEEEEEvT0_T1_jPSH_T2_SH_.uses_flat_scratch, 0
	.set _ZN7rocprim17ROCPRIM_304000_NS6detail45device_block_merge_mergepath_partition_kernelINS1_37wrapped_merge_sort_block_merge_configINS0_14default_configEsN2at4cuda3cub6detail10OpaqueTypeILi8EEEEEPsjNS1_19radix_merge_compareILb1ELb1EsNS0_19identity_decomposerEEEEEvT0_T1_jPSH_T2_SH_.has_dyn_sized_stack, 0
	.set _ZN7rocprim17ROCPRIM_304000_NS6detail45device_block_merge_mergepath_partition_kernelINS1_37wrapped_merge_sort_block_merge_configINS0_14default_configEsN2at4cuda3cub6detail10OpaqueTypeILi8EEEEEPsjNS1_19radix_merge_compareILb1ELb1EsNS0_19identity_decomposerEEEEEvT0_T1_jPSH_T2_SH_.has_recursion, 0
	.set _ZN7rocprim17ROCPRIM_304000_NS6detail45device_block_merge_mergepath_partition_kernelINS1_37wrapped_merge_sort_block_merge_configINS0_14default_configEsN2at4cuda3cub6detail10OpaqueTypeILi8EEEEEPsjNS1_19radix_merge_compareILb1ELb1EsNS0_19identity_decomposerEEEEEvT0_T1_jPSH_T2_SH_.has_indirect_call, 0
	.section	.AMDGPU.csdata,"",@progbits
; Kernel info:
; codeLenInByte = 336
; TotalNumSgprs: 14
; NumVgprs: 17
; NumAgprs: 0
; TotalNumVgprs: 17
; ScratchSize: 0
; MemoryBound: 0
; FloatMode: 240
; IeeeMode: 1
; LDSByteSize: 0 bytes/workgroup (compile time only)
; SGPRBlocks: 1
; VGPRBlocks: 2
; NumSGPRsForWavesPerEU: 14
; NumVGPRsForWavesPerEU: 17
; AccumOffset: 20
; Occupancy: 8
; WaveLimiterHint : 0
; COMPUTE_PGM_RSRC2:SCRATCH_EN: 0
; COMPUTE_PGM_RSRC2:USER_SGPR: 2
; COMPUTE_PGM_RSRC2:TRAP_HANDLER: 0
; COMPUTE_PGM_RSRC2:TGID_X_EN: 1
; COMPUTE_PGM_RSRC2:TGID_Y_EN: 0
; COMPUTE_PGM_RSRC2:TGID_Z_EN: 0
; COMPUTE_PGM_RSRC2:TIDIG_COMP_CNT: 0
; COMPUTE_PGM_RSRC3_GFX90A:ACCUM_OFFSET: 4
; COMPUTE_PGM_RSRC3_GFX90A:TG_SPLIT: 0
	.section	.text._ZN7rocprim17ROCPRIM_304000_NS6detail35device_block_merge_mergepath_kernelINS1_37wrapped_merge_sort_block_merge_configINS0_14default_configEsN2at4cuda3cub6detail10OpaqueTypeILi8EEEEEPsSC_PSA_SD_jNS1_19radix_merge_compareILb1ELb1EsNS0_19identity_decomposerEEEEEvT0_T1_T2_T3_T4_SL_jT5_PKSL_NS1_7vsmem_tE,"axG",@progbits,_ZN7rocprim17ROCPRIM_304000_NS6detail35device_block_merge_mergepath_kernelINS1_37wrapped_merge_sort_block_merge_configINS0_14default_configEsN2at4cuda3cub6detail10OpaqueTypeILi8EEEEEPsSC_PSA_SD_jNS1_19radix_merge_compareILb1ELb1EsNS0_19identity_decomposerEEEEEvT0_T1_T2_T3_T4_SL_jT5_PKSL_NS1_7vsmem_tE,comdat
	.protected	_ZN7rocprim17ROCPRIM_304000_NS6detail35device_block_merge_mergepath_kernelINS1_37wrapped_merge_sort_block_merge_configINS0_14default_configEsN2at4cuda3cub6detail10OpaqueTypeILi8EEEEEPsSC_PSA_SD_jNS1_19radix_merge_compareILb1ELb1EsNS0_19identity_decomposerEEEEEvT0_T1_T2_T3_T4_SL_jT5_PKSL_NS1_7vsmem_tE ; -- Begin function _ZN7rocprim17ROCPRIM_304000_NS6detail35device_block_merge_mergepath_kernelINS1_37wrapped_merge_sort_block_merge_configINS0_14default_configEsN2at4cuda3cub6detail10OpaqueTypeILi8EEEEEPsSC_PSA_SD_jNS1_19radix_merge_compareILb1ELb1EsNS0_19identity_decomposerEEEEEvT0_T1_T2_T3_T4_SL_jT5_PKSL_NS1_7vsmem_tE
	.globl	_ZN7rocprim17ROCPRIM_304000_NS6detail35device_block_merge_mergepath_kernelINS1_37wrapped_merge_sort_block_merge_configINS0_14default_configEsN2at4cuda3cub6detail10OpaqueTypeILi8EEEEEPsSC_PSA_SD_jNS1_19radix_merge_compareILb1ELb1EsNS0_19identity_decomposerEEEEEvT0_T1_T2_T3_T4_SL_jT5_PKSL_NS1_7vsmem_tE
	.p2align	8
	.type	_ZN7rocprim17ROCPRIM_304000_NS6detail35device_block_merge_mergepath_kernelINS1_37wrapped_merge_sort_block_merge_configINS0_14default_configEsN2at4cuda3cub6detail10OpaqueTypeILi8EEEEEPsSC_PSA_SD_jNS1_19radix_merge_compareILb1ELb1EsNS0_19identity_decomposerEEEEEvT0_T1_T2_T3_T4_SL_jT5_PKSL_NS1_7vsmem_tE,@function
_ZN7rocprim17ROCPRIM_304000_NS6detail35device_block_merge_mergepath_kernelINS1_37wrapped_merge_sort_block_merge_configINS0_14default_configEsN2at4cuda3cub6detail10OpaqueTypeILi8EEEEEPsSC_PSA_SD_jNS1_19radix_merge_compareILb1ELb1EsNS0_19identity_decomposerEEEEEvT0_T1_T2_T3_T4_SL_jT5_PKSL_NS1_7vsmem_tE: ; @_ZN7rocprim17ROCPRIM_304000_NS6detail35device_block_merge_mergepath_kernelINS1_37wrapped_merge_sort_block_merge_configINS0_14default_configEsN2at4cuda3cub6detail10OpaqueTypeILi8EEEEEPsSC_PSA_SD_jNS1_19radix_merge_compareILb1ELb1EsNS0_19identity_decomposerEEEEEvT0_T1_T2_T3_T4_SL_jT5_PKSL_NS1_7vsmem_tE
; %bb.0:
	s_load_dwordx2 s[26:27], s[0:1], 0x40
	s_load_dwordx4 s[12:15], s[0:1], 0x20
	s_add_u32 s24, s0, 64
	s_addc_u32 s25, s1, 0
	s_waitcnt lgkmcnt(0)
	s_mul_i32 s4, s27, s4
	s_add_i32 s3, s4, s3
	s_mul_i32 s3, s3, s26
	s_add_i32 s22, s3, s2
	s_cmp_ge_u32 s22, s14
	s_cbranch_scc1 .LBB57_51
; %bb.1:
	s_load_dwordx8 s[4:11], s[0:1], 0x0
	s_load_dwordx2 s[18:19], s[0:1], 0x30
	s_lshr_b32 s29, s12, 10
	s_cmp_lg_u32 s22, s29
	s_mov_b32 s23, 0
	s_cselect_b64 s[16:17], -1, 0
	s_lshl_b64 s[0:1], s[22:23], 2
	s_waitcnt lgkmcnt(0)
	s_add_u32 s0, s18, s0
	s_addc_u32 s1, s19, s1
	s_load_dwordx2 s[18:19], s[0:1], 0x0
	s_lshr_b32 s0, s13, 9
	s_and_b32 s0, s0, 0x7ffffe
	s_sub_i32 s0, 0, s0
	s_and_b32 s1, s22, s0
	s_lshl_b32 s3, s1, 10
	s_lshl_b32 s14, s22, 10
	;; [unrolled: 1-line block ×3, first 2 shown]
	s_sub_i32 s20, s14, s3
	s_add_i32 s1, s1, s13
	s_add_i32 s21, s1, s20
	s_waitcnt lgkmcnt(0)
	s_sub_i32 s20, s21, s18
	s_sub_i32 s21, s21, s19
	;; [unrolled: 1-line block ×3, first 2 shown]
	s_min_u32 s20, s12, s20
	s_addk_i32 s21, 0x400
	s_or_b32 s0, s22, s0
	s_min_u32 s3, s12, s1
	s_add_i32 s1, s1, s13
	s_cmp_eq_u32 s0, -1
	s_cselect_b32 s0, s1, s21
	s_cselect_b32 s1, s3, s19
	s_min_u32 s0, s0, s12
	s_mov_b32 s19, s23
	s_sub_i32 s27, s1, s18
	s_sub_i32 s28, s0, s20
	s_lshl_b64 s[0:1], s[18:19], 1
	s_add_u32 s0, s4, s0
	s_mov_b32 s21, s23
	s_addc_u32 s1, s5, s1
	s_lshl_b64 s[30:31], s[20:21], 1
	s_add_u32 s4, s4, s30
	s_addc_u32 s5, s5, s31
	s_cmp_lt_u32 s2, s26
	v_mov_b32_e32 v3, 0
	s_cselect_b32 s2, 12, 18
	global_load_dword v1, v3, s[24:25] offset:14
	s_add_u32 s2, s24, s2
	s_addc_u32 s3, s25, 0
	global_load_ushort v2, v3, s[2:3]
	v_cmp_gt_u32_e32 vcc, s27, v0
	s_cmp_eq_u32 s22, s29
	s_waitcnt vmcnt(1)
	v_lshrrev_b32_e32 v4, 16, v1
	v_and_b32_e32 v1, 0xffff, v1
	v_mul_lo_u32 v1, v1, v4
	s_waitcnt vmcnt(0)
	v_mul_lo_u32 v1, v1, v2
	v_lshlrev_b32_e32 v2, 1, v0
	v_add_u32_e32 v4, v1, v0
	s_cbranch_scc1 .LBB57_3
; %bb.2:
	v_subrev_u32_e32 v1, s27, v0
	v_lshlrev_b32_e32 v8, 1, v1
	v_mov_b32_e32 v9, v3
	v_lshl_add_u64 v[6:7], s[0:1], 0, v[2:3]
	v_lshl_add_u64 v[8:9], s[4:5], 0, v[8:9]
	v_cndmask_b32_e32 v7, v9, v7, vcc
	v_cndmask_b32_e32 v6, v8, v6, vcc
	v_mov_b32_e32 v5, v3
	v_subrev_co_u32_e32 v8, vcc, s27, v4
	v_mov_b32_e32 v9, v3
	global_load_ushort v1, v[6:7], off
	v_lshl_add_u64 v[6:7], v[4:5], 1, s[0:1]
	v_lshl_add_u64 v[8:9], v[8:9], 1, s[4:5]
	v_cndmask_b32_e32 v7, v9, v7, vcc
	v_cndmask_b32_e32 v6, v8, v6, vcc
	global_load_ushort v3, v[6:7], off
	s_mov_b32 s2, 0x5040100
	s_add_i32 s13, s28, s27
	s_waitcnt vmcnt(0)
	v_perm_b32 v1, v3, v1, s2
	s_cbranch_execz .LBB57_4
	s_branch .LBB57_9
.LBB57_3:
                                        ; implicit-def: $vgpr1
                                        ; implicit-def: $sgpr13
.LBB57_4:
	s_add_i32 s13, s28, s27
	v_cmp_gt_u32_e32 vcc, s13, v0
	v_mov_b32_e32 v1, 0
	s_and_saveexec_b64 s[2:3], vcc
	s_cbranch_execz .LBB57_6
; %bb.5:
	v_mov_b32_e32 v3, 0
	v_subrev_u32_e32 v1, s27, v0
	v_lshlrev_b32_e32 v8, 1, v1
	v_mov_b32_e32 v9, v3
	v_lshl_add_u64 v[6:7], s[0:1], 0, v[2:3]
	v_lshl_add_u64 v[8:9], s[4:5], 0, v[8:9]
	v_cmp_gt_u32_e32 vcc, s27, v0
	s_nop 1
	v_cndmask_b32_e32 v7, v9, v7, vcc
	v_cndmask_b32_e32 v6, v8, v6, vcc
	global_load_ushort v1, v[6:7], off
	s_waitcnt vmcnt(0)
	v_and_b32_e32 v1, 0xffff, v1
.LBB57_6:
	s_or_b64 exec, exec, s[2:3]
	v_cmp_gt_u32_e32 vcc, s13, v4
	s_and_saveexec_b64 s[2:3], vcc
	s_cbranch_execz .LBB57_8
; %bb.7:
	v_mov_b32_e32 v5, 0
	v_lshl_add_u64 v[6:7], v[4:5], 1, s[0:1]
	v_subrev_co_u32_e32 v4, vcc, s27, v4
	v_lshl_add_u64 v[4:5], v[4:5], 1, s[4:5]
	s_nop 0
	v_cndmask_b32_e32 v5, v5, v7, vcc
	v_cndmask_b32_e32 v4, v4, v6, vcc
	global_load_ushort v3, v[4:5], off
	s_mov_b32 s0, 0x5040100
	s_waitcnt vmcnt(0)
	v_perm_b32 v1, v3, v1, s0
.LBB57_8:
	s_or_b64 exec, exec, s[2:3]
.LBB57_9:
	v_min_u32_e32 v3, s13, v2
	v_sub_u32_e64 v4, v3, s28 clamp
	v_min_u32_e32 v5, s27, v3
	v_cmp_lt_u32_e32 vcc, v4, v5
	ds_write_b16 v2, v1
	ds_write_b16_d16_hi v2, v1 offset:1024
	s_waitcnt lgkmcnt(0)
	s_barrier
	s_and_saveexec_b64 s[0:1], vcc
	s_cbranch_execz .LBB57_13
; %bb.10:
	v_lshlrev_b32_e32 v6, 1, v3
	v_lshl_add_u32 v6, s27, 1, v6
	s_mov_b64 s[2:3], 0
.LBB57_11:                              ; =>This Inner Loop Header: Depth=1
	v_add_u32_e32 v7, v5, v4
	v_lshrrev_b32_e32 v8, 1, v7
	v_not_b32_e32 v9, v8
	v_and_b32_e32 v7, -2, v7
	v_lshl_add_u32 v9, v9, 1, v6
	ds_read_u16 v7, v7
	ds_read_u16 v9, v9
	v_add_u32_e32 v10, 1, v8
	s_waitcnt lgkmcnt(1)
	v_and_b32_e32 v7, s15, v7
	s_waitcnt lgkmcnt(0)
	v_and_b32_e32 v9, s15, v9
	v_cmp_gt_i16_e32 vcc, v9, v7
	s_nop 1
	v_cndmask_b32_e32 v5, v5, v8, vcc
	v_cndmask_b32_e32 v4, v10, v4, vcc
	v_cmp_ge_u32_e32 vcc, v4, v5
	s_or_b64 s[2:3], vcc, s[2:3]
	s_andn2_b64 exec, exec, s[2:3]
	s_cbranch_execnz .LBB57_11
; %bb.12:
	s_or_b64 exec, exec, s[2:3]
.LBB57_13:
	s_or_b64 exec, exec, s[0:1]
	v_sub_u32_e32 v3, v3, v4
	v_add_u32_e32 v5, s27, v3
	v_cmp_ge_u32_e32 vcc, s27, v4
	v_cmp_ge_u32_e64 s[0:1], s13, v5
	s_or_b64 s[0:1], vcc, s[0:1]
	v_mov_b32_e32 v3, 0
	v_mov_b32_e32 v8, 0
	s_and_saveexec_b64 s[4:5], s[0:1]
	s_cbranch_execz .LBB57_19
; %bb.14:
	v_cmp_gt_u32_e32 vcc, s27, v4
                                        ; implicit-def: $vgpr1
	s_and_saveexec_b64 s[0:1], vcc
; %bb.15:
	v_lshlrev_b32_e32 v1, 1, v4
	ds_read_u16 v1, v1
; %bb.16:
	s_or_b64 exec, exec, s[0:1]
	v_cmp_le_u32_e64 s[0:1], s13, v5
	v_cmp_gt_u32_e64 s[2:3], s13, v5
                                        ; implicit-def: $vgpr3
	s_and_saveexec_b64 s[22:23], s[2:3]
; %bb.17:
	v_lshlrev_b32_e32 v3, 1, v5
	ds_read_u16 v3, v3
; %bb.18:
	s_or_b64 exec, exec, s[22:23]
	s_waitcnt lgkmcnt(0)
	v_and_b32_e32 v6, s15, v3
	v_and_b32_e32 v7, s15, v1
	v_cmp_le_i16_e64 s[2:3], v6, v7
	s_and_b64 s[2:3], vcc, s[2:3]
	s_or_b64 vcc, s[0:1], s[2:3]
	v_mov_b32_e32 v6, s13
	v_mov_b32_e32 v7, s27
	v_cndmask_b32_e32 v8, v5, v4, vcc
	v_cndmask_b32_e32 v6, v6, v7, vcc
	v_add_u32_e32 v7, 1, v8
	v_add_u32_e32 v6, -1, v6
	v_min_u32_e32 v6, v7, v6
	v_lshlrev_b32_e32 v6, 1, v6
	ds_read_u16 v6, v6
	v_cndmask_b32_e32 v9, v3, v1, vcc
	v_cndmask_b32_e32 v4, v4, v7, vcc
	v_cmp_gt_u32_e64 s[0:1], s27, v4
	s_waitcnt lgkmcnt(0)
	v_cndmask_b32_e32 v10, v6, v3, vcc
	v_cndmask_b32_e32 v1, v1, v6, vcc
	;; [unrolled: 1-line block ×3, first 2 shown]
	v_and_b32_e32 v5, s15, v10
	v_and_b32_e32 v6, s15, v1
	v_cmp_le_i16_e64 s[2:3], v5, v6
	v_cmp_le_u32_e32 vcc, s13, v3
	s_and_b64 s[0:1], s[0:1], s[2:3]
	s_or_b64 vcc, vcc, s[0:1]
	v_cndmask_b32_e32 v1, v10, v1, vcc
	s_mov_b32 s0, 0x5040100
	v_cndmask_b32_e32 v3, v3, v4, vcc
	v_perm_b32 v1, v1, v9, s0
.LBB57_19:
	s_or_b64 exec, exec, s[4:5]
	s_lshl_b64 s[0:1], s[18:19], 3
	s_add_u32 s18, s8, s0
	s_addc_u32 s19, s9, s1
	s_lshl_b64 s[0:1], s[20:21], 3
	s_add_u32 s8, s8, s0
	v_cndmask_b32_e64 v4, 0, 1, s[16:17]
	v_mov_b32_e32 v5, 0
	s_addc_u32 s9, s9, s1
	v_cmp_gt_u32_e64 s[4:5], s27, v0
	v_cmp_ne_u32_e64 s[0:1], 1, v4
	s_andn2_b64 vcc, exec, s[16:17]
	v_cmp_le_u32_e64 s[2:3], s27, v0
	s_barrier
	s_cbranch_vccnz .LBB57_21
; %bb.20:
	v_lshlrev_b32_e32 v4, 3, v0
	v_lshl_add_u64 v[6:7], s[18:19], 0, v[4:5]
	v_subrev_u32_e32 v4, s27, v0
	v_lshlrev_b32_e32 v4, 3, v4
	v_lshl_add_u64 v[4:5], s[8:9], 0, v[4:5]
	v_cndmask_b32_e64 v5, v5, v7, s[4:5]
	v_cndmask_b32_e64 v4, v4, v6, s[4:5]
	global_load_dwordx2 v[10:11], v[4:5], off
	v_or_b32_e32 v9, 0x200, v0
	v_mov_b32_e32 v4, s9
	v_mov_b32_e32 v5, s19
	;; [unrolled: 1-line block ×4, first 2 shown]
	v_subrev_u32_e32 v6, s27, v9
	v_cmp_gt_u32_e32 vcc, s27, v9
	v_mad_u32_u24 v7, v0, 6, v2
	s_nop 0
	v_cndmask_b32_e32 v5, v4, v5, vcc
	v_min_u32_e32 v6, v9, v6
	v_cndmask_b32_e32 v4, v12, v13, vcc
	s_mov_b64 s[4:5], -1
	s_waitcnt vmcnt(0)
	ds_write_b64 v7, v[10:11]
	s_cbranch_execz .LBB57_22
	s_branch .LBB57_31
.LBB57_21:
	s_mov_b64 s[4:5], 0
                                        ; implicit-def: $vgpr9
                                        ; implicit-def: $vgpr4_vgpr5
                                        ; implicit-def: $vgpr6
.LBB57_22:
	s_and_saveexec_b64 s[4:5], s[2:3]
	s_xor_b64 s[2:3], exec, s[4:5]
	s_cbranch_execz .LBB57_26
; %bb.23:
	v_subrev_u32_e32 v4, s27, v0
	v_cmp_gt_u32_e32 vcc, s28, v4
	s_and_saveexec_b64 s[4:5], vcc
	s_cbranch_execz .LBB57_25
; %bb.24:
	v_lshlrev_b32_e32 v4, 3, v4
	global_load_dwordx2 v[4:5], v4, s[8:9]
	v_mad_u32_u24 v6, v0, 6, v2
	s_waitcnt vmcnt(0)
	ds_write_b64 v6, v[4:5]
.LBB57_25:
	s_or_b64 exec, exec, s[4:5]
.LBB57_26:
	s_andn2_saveexec_b64 s[2:3], s[2:3]
	s_cbranch_execz .LBB57_28
; %bb.27:
	v_lshlrev_b32_e32 v4, 3, v0
	global_load_dwordx2 v[4:5], v4, s[18:19]
	v_mad_u32_u24 v6, v0, 6, v2
	s_waitcnt vmcnt(0)
	ds_write_b64 v6, v[4:5]
.LBB57_28:
	s_or_b64 exec, exec, s[2:3]
	v_or_b32_e32 v9, 0x200, v0
	v_cmp_le_u32_e32 vcc, s27, v9
	s_mov_b64 s[4:5], -1
	v_mov_b64_e32 v[4:5], s[18:19]
	v_mov_b32_e32 v6, v9
	s_and_saveexec_b64 s[2:3], vcc
; %bb.29:
	v_subrev_u32_e32 v6, s27, v9
	v_cmp_gt_u32_e32 vcc, s28, v6
	v_mov_b64_e32 v[4:5], s[8:9]
	s_orn2_b64 s[4:5], vcc, exec
; %bb.30:
	s_or_b64 exec, exec, s[2:3]
.LBB57_31:
	s_and_saveexec_b64 s[2:3], s[4:5]
	s_cbranch_execz .LBB57_33
; %bb.32:
	v_mov_b32_e32 v7, 0
	v_lshl_add_u64 v[4:5], v[6:7], 3, v[4:5]
	global_load_dwordx2 v[4:5], v[4:5], off
	v_lshlrev_b32_e32 v6, 3, v9
	s_waitcnt vmcnt(0)
	ds_write_b64 v6, v[4:5]
.LBB57_33:
	s_or_b64 exec, exec, s[2:3]
	s_and_b64 vcc, exec, s[0:1]
	v_add_u32_e32 v4, s14, v2
	s_waitcnt lgkmcnt(0)
	s_barrier
	s_cbranch_vccnz .LBB57_35
; %bb.34:
	v_lshlrev_b32_e32 v5, 3, v8
	ds_read_b64 v[6:7], v5
	v_mov_b32_e32 v5, 0
	v_lshl_add_u64 v[10:11], v[4:5], 3, s[10:11]
	s_mov_b64 s[0:1], -1
	s_waitcnt lgkmcnt(0)
	global_store_dwordx2 v[10:11], v[6:7], off
	s_cbranch_execz .LBB57_36
	s_branch .LBB57_41
.LBB57_35:
	s_mov_b64 s[0:1], 0
.LBB57_36:
	v_cmp_gt_u32_e32 vcc, s13, v2
	s_and_saveexec_b64 s[2:3], vcc
	s_cbranch_execz .LBB57_38
; %bb.37:
	v_lshlrev_b32_e32 v5, 3, v8
	ds_read_b64 v[6:7], v5
	v_mov_b32_e32 v5, 0
	v_lshl_add_u64 v[8:9], v[4:5], 3, s[10:11]
	s_waitcnt lgkmcnt(0)
	global_store_dwordx2 v[8:9], v[6:7], off
.LBB57_38:
	s_or_b64 exec, exec, s[2:3]
	v_or_b32_e32 v5, 1, v2
	v_cmp_gt_u32_e32 vcc, s13, v5
	s_and_saveexec_b64 s[2:3], vcc
; %bb.39:
	v_mov_b32_e32 v5, 0
	s_or_b64 s[0:1], s[0:1], exec
; %bb.40:
	s_or_b64 exec, exec, s[2:3]
.LBB57_41:
	s_and_saveexec_b64 s[2:3], s[0:1]
	s_cbranch_execz .LBB57_43
; %bb.42:
	v_lshlrev_b32_e32 v3, 3, v3
	ds_read_b64 v[6:7], v3
	v_lshl_add_u64 v[4:5], v[4:5], 3, s[10:11]
	s_waitcnt lgkmcnt(0)
	global_store_dwordx2 v[4:5], v[6:7], off offset:8
.LBB57_43:
	s_or_b64 exec, exec, s[2:3]
	v_lshrrev_b32_e32 v4, 3, v0
	v_and_b32_e32 v4, 60, v4
	v_lshrrev_b32_e32 v3, 4, v0
	v_lshl_add_u32 v4, v2, 1, v4
	s_barrier
	s_barrier
	ds_write_b32 v4, v1
	v_and_b32_e32 v1, 28, v3
	s_mov_b32 s15, 0
	v_add_u32_e32 v4, v1, v2
	v_or_b32_e32 v1, 0x200, v0
	s_lshl_b64 s[0:1], s[14:15], 1
	v_lshrrev_b32_e32 v3, 4, v1
	s_add_u32 s0, s6, s0
	v_and_b32_e32 v3, 60, v3
	s_addc_u32 s1, s7, s1
	v_add_u32_e32 v6, v3, v2
	v_mov_b32_e32 v3, 0
	v_lshl_add_u64 v[2:3], s[0:1], 0, v[2:3]
	s_and_b64 vcc, exec, s[16:17]
	s_waitcnt lgkmcnt(0)
	s_cbranch_vccz .LBB57_45
; %bb.44:
	s_barrier
	ds_read_u16 v7, v4
	ds_read_u16 v5, v6 offset:1024
	s_mov_b64 s[0:1], -1
	s_waitcnt lgkmcnt(1)
	global_store_short v[2:3], v7, off
	s_cbranch_execz .LBB57_46
	s_branch .LBB57_49
.LBB57_45:
	s_mov_b64 s[0:1], 0
                                        ; implicit-def: $vgpr5
.LBB57_46:
	s_barrier
	s_waitcnt lgkmcnt(0)
	ds_read_u16 v5, v6 offset:1024
	s_sub_i32 s2, s12, s14
	v_cmp_gt_u32_e32 vcc, s2, v0
	s_and_saveexec_b64 s[0:1], vcc
	s_cbranch_execz .LBB57_48
; %bb.47:
	ds_read_u16 v0, v4
	s_waitcnt lgkmcnt(0)
	global_store_short v[2:3], v0, off
.LBB57_48:
	s_or_b64 exec, exec, s[0:1]
	v_cmp_gt_u32_e64 s[0:1], s2, v1
.LBB57_49:
	s_and_saveexec_b64 s[2:3], s[0:1]
	s_cbranch_execz .LBB57_51
; %bb.50:
	s_waitcnt lgkmcnt(0)
	global_store_short v[2:3], v5, off offset:1024
.LBB57_51:
	s_endpgm
	.section	.rodata,"a",@progbits
	.p2align	6, 0x0
	.amdhsa_kernel _ZN7rocprim17ROCPRIM_304000_NS6detail35device_block_merge_mergepath_kernelINS1_37wrapped_merge_sort_block_merge_configINS0_14default_configEsN2at4cuda3cub6detail10OpaqueTypeILi8EEEEEPsSC_PSA_SD_jNS1_19radix_merge_compareILb1ELb1EsNS0_19identity_decomposerEEEEEvT0_T1_T2_T3_T4_SL_jT5_PKSL_NS1_7vsmem_tE
		.amdhsa_group_segment_fixed_size 8208
		.amdhsa_private_segment_fixed_size 0
		.amdhsa_kernarg_size 320
		.amdhsa_user_sgpr_count 2
		.amdhsa_user_sgpr_dispatch_ptr 0
		.amdhsa_user_sgpr_queue_ptr 0
		.amdhsa_user_sgpr_kernarg_segment_ptr 1
		.amdhsa_user_sgpr_dispatch_id 0
		.amdhsa_user_sgpr_kernarg_preload_length 0
		.amdhsa_user_sgpr_kernarg_preload_offset 0
		.amdhsa_user_sgpr_private_segment_size 0
		.amdhsa_uses_dynamic_stack 0
		.amdhsa_enable_private_segment 0
		.amdhsa_system_sgpr_workgroup_id_x 1
		.amdhsa_system_sgpr_workgroup_id_y 1
		.amdhsa_system_sgpr_workgroup_id_z 1
		.amdhsa_system_sgpr_workgroup_info 0
		.amdhsa_system_vgpr_workitem_id 0
		.amdhsa_next_free_vgpr 14
		.amdhsa_next_free_sgpr 32
		.amdhsa_accum_offset 16
		.amdhsa_reserve_vcc 1
		.amdhsa_float_round_mode_32 0
		.amdhsa_float_round_mode_16_64 0
		.amdhsa_float_denorm_mode_32 3
		.amdhsa_float_denorm_mode_16_64 3
		.amdhsa_dx10_clamp 1
		.amdhsa_ieee_mode 1
		.amdhsa_fp16_overflow 0
		.amdhsa_tg_split 0
		.amdhsa_exception_fp_ieee_invalid_op 0
		.amdhsa_exception_fp_denorm_src 0
		.amdhsa_exception_fp_ieee_div_zero 0
		.amdhsa_exception_fp_ieee_overflow 0
		.amdhsa_exception_fp_ieee_underflow 0
		.amdhsa_exception_fp_ieee_inexact 0
		.amdhsa_exception_int_div_zero 0
	.end_amdhsa_kernel
	.section	.text._ZN7rocprim17ROCPRIM_304000_NS6detail35device_block_merge_mergepath_kernelINS1_37wrapped_merge_sort_block_merge_configINS0_14default_configEsN2at4cuda3cub6detail10OpaqueTypeILi8EEEEEPsSC_PSA_SD_jNS1_19radix_merge_compareILb1ELb1EsNS0_19identity_decomposerEEEEEvT0_T1_T2_T3_T4_SL_jT5_PKSL_NS1_7vsmem_tE,"axG",@progbits,_ZN7rocprim17ROCPRIM_304000_NS6detail35device_block_merge_mergepath_kernelINS1_37wrapped_merge_sort_block_merge_configINS0_14default_configEsN2at4cuda3cub6detail10OpaqueTypeILi8EEEEEPsSC_PSA_SD_jNS1_19radix_merge_compareILb1ELb1EsNS0_19identity_decomposerEEEEEvT0_T1_T2_T3_T4_SL_jT5_PKSL_NS1_7vsmem_tE,comdat
.Lfunc_end57:
	.size	_ZN7rocprim17ROCPRIM_304000_NS6detail35device_block_merge_mergepath_kernelINS1_37wrapped_merge_sort_block_merge_configINS0_14default_configEsN2at4cuda3cub6detail10OpaqueTypeILi8EEEEEPsSC_PSA_SD_jNS1_19radix_merge_compareILb1ELb1EsNS0_19identity_decomposerEEEEEvT0_T1_T2_T3_T4_SL_jT5_PKSL_NS1_7vsmem_tE, .Lfunc_end57-_ZN7rocprim17ROCPRIM_304000_NS6detail35device_block_merge_mergepath_kernelINS1_37wrapped_merge_sort_block_merge_configINS0_14default_configEsN2at4cuda3cub6detail10OpaqueTypeILi8EEEEEPsSC_PSA_SD_jNS1_19radix_merge_compareILb1ELb1EsNS0_19identity_decomposerEEEEEvT0_T1_T2_T3_T4_SL_jT5_PKSL_NS1_7vsmem_tE
                                        ; -- End function
	.set _ZN7rocprim17ROCPRIM_304000_NS6detail35device_block_merge_mergepath_kernelINS1_37wrapped_merge_sort_block_merge_configINS0_14default_configEsN2at4cuda3cub6detail10OpaqueTypeILi8EEEEEPsSC_PSA_SD_jNS1_19radix_merge_compareILb1ELb1EsNS0_19identity_decomposerEEEEEvT0_T1_T2_T3_T4_SL_jT5_PKSL_NS1_7vsmem_tE.num_vgpr, 14
	.set _ZN7rocprim17ROCPRIM_304000_NS6detail35device_block_merge_mergepath_kernelINS1_37wrapped_merge_sort_block_merge_configINS0_14default_configEsN2at4cuda3cub6detail10OpaqueTypeILi8EEEEEPsSC_PSA_SD_jNS1_19radix_merge_compareILb1ELb1EsNS0_19identity_decomposerEEEEEvT0_T1_T2_T3_T4_SL_jT5_PKSL_NS1_7vsmem_tE.num_agpr, 0
	.set _ZN7rocprim17ROCPRIM_304000_NS6detail35device_block_merge_mergepath_kernelINS1_37wrapped_merge_sort_block_merge_configINS0_14default_configEsN2at4cuda3cub6detail10OpaqueTypeILi8EEEEEPsSC_PSA_SD_jNS1_19radix_merge_compareILb1ELb1EsNS0_19identity_decomposerEEEEEvT0_T1_T2_T3_T4_SL_jT5_PKSL_NS1_7vsmem_tE.numbered_sgpr, 32
	.set _ZN7rocprim17ROCPRIM_304000_NS6detail35device_block_merge_mergepath_kernelINS1_37wrapped_merge_sort_block_merge_configINS0_14default_configEsN2at4cuda3cub6detail10OpaqueTypeILi8EEEEEPsSC_PSA_SD_jNS1_19radix_merge_compareILb1ELb1EsNS0_19identity_decomposerEEEEEvT0_T1_T2_T3_T4_SL_jT5_PKSL_NS1_7vsmem_tE.num_named_barrier, 0
	.set _ZN7rocprim17ROCPRIM_304000_NS6detail35device_block_merge_mergepath_kernelINS1_37wrapped_merge_sort_block_merge_configINS0_14default_configEsN2at4cuda3cub6detail10OpaqueTypeILi8EEEEEPsSC_PSA_SD_jNS1_19radix_merge_compareILb1ELb1EsNS0_19identity_decomposerEEEEEvT0_T1_T2_T3_T4_SL_jT5_PKSL_NS1_7vsmem_tE.private_seg_size, 0
	.set _ZN7rocprim17ROCPRIM_304000_NS6detail35device_block_merge_mergepath_kernelINS1_37wrapped_merge_sort_block_merge_configINS0_14default_configEsN2at4cuda3cub6detail10OpaqueTypeILi8EEEEEPsSC_PSA_SD_jNS1_19radix_merge_compareILb1ELb1EsNS0_19identity_decomposerEEEEEvT0_T1_T2_T3_T4_SL_jT5_PKSL_NS1_7vsmem_tE.uses_vcc, 1
	.set _ZN7rocprim17ROCPRIM_304000_NS6detail35device_block_merge_mergepath_kernelINS1_37wrapped_merge_sort_block_merge_configINS0_14default_configEsN2at4cuda3cub6detail10OpaqueTypeILi8EEEEEPsSC_PSA_SD_jNS1_19radix_merge_compareILb1ELb1EsNS0_19identity_decomposerEEEEEvT0_T1_T2_T3_T4_SL_jT5_PKSL_NS1_7vsmem_tE.uses_flat_scratch, 0
	.set _ZN7rocprim17ROCPRIM_304000_NS6detail35device_block_merge_mergepath_kernelINS1_37wrapped_merge_sort_block_merge_configINS0_14default_configEsN2at4cuda3cub6detail10OpaqueTypeILi8EEEEEPsSC_PSA_SD_jNS1_19radix_merge_compareILb1ELb1EsNS0_19identity_decomposerEEEEEvT0_T1_T2_T3_T4_SL_jT5_PKSL_NS1_7vsmem_tE.has_dyn_sized_stack, 0
	.set _ZN7rocprim17ROCPRIM_304000_NS6detail35device_block_merge_mergepath_kernelINS1_37wrapped_merge_sort_block_merge_configINS0_14default_configEsN2at4cuda3cub6detail10OpaqueTypeILi8EEEEEPsSC_PSA_SD_jNS1_19radix_merge_compareILb1ELb1EsNS0_19identity_decomposerEEEEEvT0_T1_T2_T3_T4_SL_jT5_PKSL_NS1_7vsmem_tE.has_recursion, 0
	.set _ZN7rocprim17ROCPRIM_304000_NS6detail35device_block_merge_mergepath_kernelINS1_37wrapped_merge_sort_block_merge_configINS0_14default_configEsN2at4cuda3cub6detail10OpaqueTypeILi8EEEEEPsSC_PSA_SD_jNS1_19radix_merge_compareILb1ELb1EsNS0_19identity_decomposerEEEEEvT0_T1_T2_T3_T4_SL_jT5_PKSL_NS1_7vsmem_tE.has_indirect_call, 0
	.section	.AMDGPU.csdata,"",@progbits
; Kernel info:
; codeLenInByte = 1896
; TotalNumSgprs: 38
; NumVgprs: 14
; NumAgprs: 0
; TotalNumVgprs: 14
; ScratchSize: 0
; MemoryBound: 0
; FloatMode: 240
; IeeeMode: 1
; LDSByteSize: 8208 bytes/workgroup (compile time only)
; SGPRBlocks: 4
; VGPRBlocks: 1
; NumSGPRsForWavesPerEU: 38
; NumVGPRsForWavesPerEU: 14
; AccumOffset: 16
; Occupancy: 8
; WaveLimiterHint : 1
; COMPUTE_PGM_RSRC2:SCRATCH_EN: 0
; COMPUTE_PGM_RSRC2:USER_SGPR: 2
; COMPUTE_PGM_RSRC2:TRAP_HANDLER: 0
; COMPUTE_PGM_RSRC2:TGID_X_EN: 1
; COMPUTE_PGM_RSRC2:TGID_Y_EN: 1
; COMPUTE_PGM_RSRC2:TGID_Z_EN: 1
; COMPUTE_PGM_RSRC2:TIDIG_COMP_CNT: 0
; COMPUTE_PGM_RSRC3_GFX90A:ACCUM_OFFSET: 3
; COMPUTE_PGM_RSRC3_GFX90A:TG_SPLIT: 0
	.section	.text._ZN7rocprim17ROCPRIM_304000_NS6detail33device_block_merge_oddeven_kernelINS1_37wrapped_merge_sort_block_merge_configINS0_14default_configEsN2at4cuda3cub6detail10OpaqueTypeILi8EEEEEPsSC_PSA_SD_jNS1_19radix_merge_compareILb1ELb1EsNS0_19identity_decomposerEEEEEvT0_T1_T2_T3_T4_SL_T5_,"axG",@progbits,_ZN7rocprim17ROCPRIM_304000_NS6detail33device_block_merge_oddeven_kernelINS1_37wrapped_merge_sort_block_merge_configINS0_14default_configEsN2at4cuda3cub6detail10OpaqueTypeILi8EEEEEPsSC_PSA_SD_jNS1_19radix_merge_compareILb1ELb1EsNS0_19identity_decomposerEEEEEvT0_T1_T2_T3_T4_SL_T5_,comdat
	.protected	_ZN7rocprim17ROCPRIM_304000_NS6detail33device_block_merge_oddeven_kernelINS1_37wrapped_merge_sort_block_merge_configINS0_14default_configEsN2at4cuda3cub6detail10OpaqueTypeILi8EEEEEPsSC_PSA_SD_jNS1_19radix_merge_compareILb1ELb1EsNS0_19identity_decomposerEEEEEvT0_T1_T2_T3_T4_SL_T5_ ; -- Begin function _ZN7rocprim17ROCPRIM_304000_NS6detail33device_block_merge_oddeven_kernelINS1_37wrapped_merge_sort_block_merge_configINS0_14default_configEsN2at4cuda3cub6detail10OpaqueTypeILi8EEEEEPsSC_PSA_SD_jNS1_19radix_merge_compareILb1ELb1EsNS0_19identity_decomposerEEEEEvT0_T1_T2_T3_T4_SL_T5_
	.globl	_ZN7rocprim17ROCPRIM_304000_NS6detail33device_block_merge_oddeven_kernelINS1_37wrapped_merge_sort_block_merge_configINS0_14default_configEsN2at4cuda3cub6detail10OpaqueTypeILi8EEEEEPsSC_PSA_SD_jNS1_19radix_merge_compareILb1ELb1EsNS0_19identity_decomposerEEEEEvT0_T1_T2_T3_T4_SL_T5_
	.p2align	8
	.type	_ZN7rocprim17ROCPRIM_304000_NS6detail33device_block_merge_oddeven_kernelINS1_37wrapped_merge_sort_block_merge_configINS0_14default_configEsN2at4cuda3cub6detail10OpaqueTypeILi8EEEEEPsSC_PSA_SD_jNS1_19radix_merge_compareILb1ELb1EsNS0_19identity_decomposerEEEEEvT0_T1_T2_T3_T4_SL_T5_,@function
_ZN7rocprim17ROCPRIM_304000_NS6detail33device_block_merge_oddeven_kernelINS1_37wrapped_merge_sort_block_merge_configINS0_14default_configEsN2at4cuda3cub6detail10OpaqueTypeILi8EEEEEPsSC_PSA_SD_jNS1_19radix_merge_compareILb1ELb1EsNS0_19identity_decomposerEEEEEvT0_T1_T2_T3_T4_SL_T5_: ; @_ZN7rocprim17ROCPRIM_304000_NS6detail33device_block_merge_oddeven_kernelINS1_37wrapped_merge_sort_block_merge_configINS0_14default_configEsN2at4cuda3cub6detail10OpaqueTypeILi8EEEEEPsSC_PSA_SD_jNS1_19radix_merge_compareILb1ELb1EsNS0_19identity_decomposerEEEEEvT0_T1_T2_T3_T4_SL_T5_
; %bb.0:
	s_load_dwordx4 s[16:19], s[0:1], 0x20
	s_waitcnt lgkmcnt(0)
	s_lshr_b32 s3, s16, 8
	s_cmp_eq_u32 s2, s3
	s_cselect_b64 s[6:7], -1, 0
	s_cmp_lg_u32 s2, s3
	s_cselect_b64 s[8:9], -1, 0
	s_lshl_b32 s20, s2, 8
	s_sub_i32 s3, s16, s20
	v_cmp_gt_u32_e64 s[4:5], s3, v0
	s_or_b64 s[8:9], s[8:9], s[4:5]
	s_and_saveexec_b64 s[10:11], s[8:9]
	s_cbranch_execz .LBB58_24
; %bb.1:
	s_load_dwordx8 s[8:15], s[0:1], 0x0
	s_mov_b32 s21, 0
	s_lshl_b64 s[0:1], s[20:21], 1
	v_lshlrev_b32_e32 v5, 3, v0
	v_lshlrev_b32_e32 v1, 1, v0
	s_waitcnt lgkmcnt(0)
	s_add_u32 s0, s8, s0
	s_addc_u32 s1, s9, s1
	s_lshl_b64 s[22:23], s[20:21], 3
	s_add_u32 s12, s12, s22
	s_addc_u32 s13, s13, s23
	global_load_dwordx2 v[2:3], v5, s[12:13]
	global_load_ushort v4, v1, s[0:1]
	s_lshr_b32 s0, s17, 8
	s_sub_i32 s1, 0, s0
	s_and_b32 s1, s2, s1
	s_and_b32 s0, s1, s0
	s_lshl_b32 s19, s1, 8
	s_sub_i32 s12, 0, s17
	s_cmp_eq_u32 s0, 0
	s_cselect_b64 s[0:1], -1, 0
	s_and_b64 s[2:3], s[0:1], exec
	s_cselect_b32 s12, s17, s12
	s_add_i32 s12, s12, s19
	s_mov_b64 s[2:3], -1
	s_cmp_gt_u32 s16, s12
	v_add_u32_e32 v0, s20, v0
	s_cbranch_scc1 .LBB58_9
; %bb.2:
	s_and_b64 vcc, exec, s[6:7]
	s_cbranch_vccz .LBB58_6
; %bb.3:
	v_cmp_gt_u32_e32 vcc, s16, v0
	s_and_saveexec_b64 s[2:3], vcc
	s_cbranch_execz .LBB58_5
; %bb.4:
	v_mov_b32_e32 v1, 0
	v_lshl_add_u64 v[8:9], v[0:1], 1, s[10:11]
	v_lshl_add_u64 v[6:7], v[0:1], 3, s[14:15]
	s_waitcnt vmcnt(0)
	global_store_short v[8:9], v4, off
	global_store_dwordx2 v[6:7], v[2:3], off
.LBB58_5:
	s_or_b64 exec, exec, s[2:3]
	s_mov_b64 s[2:3], 0
.LBB58_6:
	s_andn2_b64 vcc, exec, s[2:3]
	s_cbranch_vccnz .LBB58_8
; %bb.7:
	v_mov_b32_e32 v1, 0
	v_lshl_add_u64 v[6:7], v[0:1], 1, s[10:11]
	v_lshl_add_u64 v[8:9], v[0:1], 3, s[14:15]
	s_waitcnt vmcnt(0)
	global_store_short v[6:7], v4, off
	global_store_dwordx2 v[8:9], v[2:3], off
.LBB58_8:
	s_mov_b64 s[2:3], 0
.LBB58_9:
	s_andn2_b64 vcc, exec, s[2:3]
	s_cbranch_vccnz .LBB58_24
; %bb.10:
	s_min_u32 s13, s12, s16
	s_add_i32 s2, s13, s17
	s_min_u32 s16, s2, s16
	s_min_u32 s2, s19, s13
	s_add_i32 s19, s19, s13
	v_subrev_u32_e32 v0, s19, v0
	v_add_u32_e32 v0, s2, v0
	s_waitcnt vmcnt(0)
	v_and_b32_e32 v1, s18, v4
	s_mov_b64 s[2:3], -1
	s_and_b64 vcc, exec, s[6:7]
	s_cbranch_vccz .LBB58_18
; %bb.11:
	s_and_saveexec_b64 s[2:3], s[4:5]
	s_cbranch_execz .LBB58_17
; %bb.12:
	s_cmp_ge_u32 s12, s16
	v_mov_b32_e32 v5, s13
	s_cbranch_scc1 .LBB58_16
; %bb.13:
	s_mov_b64 s[4:5], 0
	v_mov_b32_e32 v6, s16
	v_mov_b32_e32 v5, s13
.LBB58_14:                              ; =>This Inner Loop Header: Depth=1
	v_add_u32_e32 v7, v5, v6
	v_and_b32_e32 v8, -2, v7
	global_load_ushort v8, v8, s[8:9]
	v_lshrrev_b32_e32 v7, 1, v7
	v_add_u32_e32 v9, 1, v7
	s_waitcnt vmcnt(0)
	v_and_b32_e32 v8, s18, v8
	v_cmp_gt_i16_e32 vcc, v8, v1
	s_nop 1
	v_cndmask_b32_e64 v10, 0, 1, vcc
	v_cmp_le_i16_e32 vcc, v1, v8
	s_nop 1
	v_cndmask_b32_e64 v8, 0, 1, vcc
	v_cndmask_b32_e64 v8, v8, v10, s[0:1]
	v_and_b32_e32 v8, 1, v8
	v_cmp_eq_u32_e32 vcc, 1, v8
	s_nop 1
	v_cndmask_b32_e32 v6, v7, v6, vcc
	v_cndmask_b32_e32 v5, v5, v9, vcc
	v_cmp_ge_u32_e32 vcc, v5, v6
	s_or_b64 s[4:5], vcc, s[4:5]
	s_andn2_b64 exec, exec, s[4:5]
	s_cbranch_execnz .LBB58_14
; %bb.15:
	s_or_b64 exec, exec, s[4:5]
.LBB58_16:
	v_add_u32_e32 v6, v5, v0
	v_mov_b32_e32 v7, 0
	v_lshl_add_u64 v[8:9], v[6:7], 1, s[10:11]
	v_lshl_add_u64 v[6:7], v[6:7], 3, s[14:15]
	global_store_short v[8:9], v4, off
	global_store_dwordx2 v[6:7], v[2:3], off
.LBB58_17:
	s_or_b64 exec, exec, s[2:3]
	s_mov_b64 s[2:3], 0
.LBB58_18:
	s_andn2_b64 vcc, exec, s[2:3]
	s_cbranch_vccnz .LBB58_24
; %bb.19:
	s_cmp_ge_u32 s12, s16
	v_mov_b32_e32 v5, s13
	s_cbranch_scc1 .LBB58_23
; %bb.20:
	s_mov_b64 s[2:3], 0
	v_mov_b32_e32 v6, s16
	v_mov_b32_e32 v5, s13
.LBB58_21:                              ; =>This Inner Loop Header: Depth=1
	v_add_u32_e32 v7, v5, v6
	v_and_b32_e32 v8, -2, v7
	global_load_ushort v8, v8, s[8:9]
	v_lshrrev_b32_e32 v7, 1, v7
	v_add_u32_e32 v9, 1, v7
	s_waitcnt vmcnt(0)
	v_and_b32_e32 v8, s18, v8
	v_cmp_gt_i16_e32 vcc, v8, v1
	s_nop 1
	v_cndmask_b32_e64 v10, 0, 1, vcc
	v_cmp_le_i16_e32 vcc, v1, v8
	s_nop 1
	v_cndmask_b32_e64 v8, 0, 1, vcc
	v_cndmask_b32_e64 v8, v8, v10, s[0:1]
	v_and_b32_e32 v8, 1, v8
	v_cmp_eq_u32_e32 vcc, 1, v8
	s_nop 1
	v_cndmask_b32_e32 v6, v7, v6, vcc
	v_cndmask_b32_e32 v5, v5, v9, vcc
	v_cmp_ge_u32_e32 vcc, v5, v6
	s_or_b64 s[2:3], vcc, s[2:3]
	s_andn2_b64 exec, exec, s[2:3]
	s_cbranch_execnz .LBB58_21
; %bb.22:
	s_or_b64 exec, exec, s[2:3]
.LBB58_23:
	v_add_u32_e32 v0, v5, v0
	v_mov_b32_e32 v1, 0
	v_lshl_add_u64 v[6:7], v[0:1], 1, s[10:11]
	v_lshl_add_u64 v[0:1], v[0:1], 3, s[14:15]
	global_store_short v[6:7], v4, off
	global_store_dwordx2 v[0:1], v[2:3], off
.LBB58_24:
	s_endpgm
	.section	.rodata,"a",@progbits
	.p2align	6, 0x0
	.amdhsa_kernel _ZN7rocprim17ROCPRIM_304000_NS6detail33device_block_merge_oddeven_kernelINS1_37wrapped_merge_sort_block_merge_configINS0_14default_configEsN2at4cuda3cub6detail10OpaqueTypeILi8EEEEEPsSC_PSA_SD_jNS1_19radix_merge_compareILb1ELb1EsNS0_19identity_decomposerEEEEEvT0_T1_T2_T3_T4_SL_T5_
		.amdhsa_group_segment_fixed_size 0
		.amdhsa_private_segment_fixed_size 0
		.amdhsa_kernarg_size 44
		.amdhsa_user_sgpr_count 2
		.amdhsa_user_sgpr_dispatch_ptr 0
		.amdhsa_user_sgpr_queue_ptr 0
		.amdhsa_user_sgpr_kernarg_segment_ptr 1
		.amdhsa_user_sgpr_dispatch_id 0
		.amdhsa_user_sgpr_kernarg_preload_length 0
		.amdhsa_user_sgpr_kernarg_preload_offset 0
		.amdhsa_user_sgpr_private_segment_size 0
		.amdhsa_uses_dynamic_stack 0
		.amdhsa_enable_private_segment 0
		.amdhsa_system_sgpr_workgroup_id_x 1
		.amdhsa_system_sgpr_workgroup_id_y 0
		.amdhsa_system_sgpr_workgroup_id_z 0
		.amdhsa_system_sgpr_workgroup_info 0
		.amdhsa_system_vgpr_workitem_id 0
		.amdhsa_next_free_vgpr 11
		.amdhsa_next_free_sgpr 24
		.amdhsa_accum_offset 12
		.amdhsa_reserve_vcc 1
		.amdhsa_float_round_mode_32 0
		.amdhsa_float_round_mode_16_64 0
		.amdhsa_float_denorm_mode_32 3
		.amdhsa_float_denorm_mode_16_64 3
		.amdhsa_dx10_clamp 1
		.amdhsa_ieee_mode 1
		.amdhsa_fp16_overflow 0
		.amdhsa_tg_split 0
		.amdhsa_exception_fp_ieee_invalid_op 0
		.amdhsa_exception_fp_denorm_src 0
		.amdhsa_exception_fp_ieee_div_zero 0
		.amdhsa_exception_fp_ieee_overflow 0
		.amdhsa_exception_fp_ieee_underflow 0
		.amdhsa_exception_fp_ieee_inexact 0
		.amdhsa_exception_int_div_zero 0
	.end_amdhsa_kernel
	.section	.text._ZN7rocprim17ROCPRIM_304000_NS6detail33device_block_merge_oddeven_kernelINS1_37wrapped_merge_sort_block_merge_configINS0_14default_configEsN2at4cuda3cub6detail10OpaqueTypeILi8EEEEEPsSC_PSA_SD_jNS1_19radix_merge_compareILb1ELb1EsNS0_19identity_decomposerEEEEEvT0_T1_T2_T3_T4_SL_T5_,"axG",@progbits,_ZN7rocprim17ROCPRIM_304000_NS6detail33device_block_merge_oddeven_kernelINS1_37wrapped_merge_sort_block_merge_configINS0_14default_configEsN2at4cuda3cub6detail10OpaqueTypeILi8EEEEEPsSC_PSA_SD_jNS1_19radix_merge_compareILb1ELb1EsNS0_19identity_decomposerEEEEEvT0_T1_T2_T3_T4_SL_T5_,comdat
.Lfunc_end58:
	.size	_ZN7rocprim17ROCPRIM_304000_NS6detail33device_block_merge_oddeven_kernelINS1_37wrapped_merge_sort_block_merge_configINS0_14default_configEsN2at4cuda3cub6detail10OpaqueTypeILi8EEEEEPsSC_PSA_SD_jNS1_19radix_merge_compareILb1ELb1EsNS0_19identity_decomposerEEEEEvT0_T1_T2_T3_T4_SL_T5_, .Lfunc_end58-_ZN7rocprim17ROCPRIM_304000_NS6detail33device_block_merge_oddeven_kernelINS1_37wrapped_merge_sort_block_merge_configINS0_14default_configEsN2at4cuda3cub6detail10OpaqueTypeILi8EEEEEPsSC_PSA_SD_jNS1_19radix_merge_compareILb1ELb1EsNS0_19identity_decomposerEEEEEvT0_T1_T2_T3_T4_SL_T5_
                                        ; -- End function
	.set _ZN7rocprim17ROCPRIM_304000_NS6detail33device_block_merge_oddeven_kernelINS1_37wrapped_merge_sort_block_merge_configINS0_14default_configEsN2at4cuda3cub6detail10OpaqueTypeILi8EEEEEPsSC_PSA_SD_jNS1_19radix_merge_compareILb1ELb1EsNS0_19identity_decomposerEEEEEvT0_T1_T2_T3_T4_SL_T5_.num_vgpr, 11
	.set _ZN7rocprim17ROCPRIM_304000_NS6detail33device_block_merge_oddeven_kernelINS1_37wrapped_merge_sort_block_merge_configINS0_14default_configEsN2at4cuda3cub6detail10OpaqueTypeILi8EEEEEPsSC_PSA_SD_jNS1_19radix_merge_compareILb1ELb1EsNS0_19identity_decomposerEEEEEvT0_T1_T2_T3_T4_SL_T5_.num_agpr, 0
	.set _ZN7rocprim17ROCPRIM_304000_NS6detail33device_block_merge_oddeven_kernelINS1_37wrapped_merge_sort_block_merge_configINS0_14default_configEsN2at4cuda3cub6detail10OpaqueTypeILi8EEEEEPsSC_PSA_SD_jNS1_19radix_merge_compareILb1ELb1EsNS0_19identity_decomposerEEEEEvT0_T1_T2_T3_T4_SL_T5_.numbered_sgpr, 24
	.set _ZN7rocprim17ROCPRIM_304000_NS6detail33device_block_merge_oddeven_kernelINS1_37wrapped_merge_sort_block_merge_configINS0_14default_configEsN2at4cuda3cub6detail10OpaqueTypeILi8EEEEEPsSC_PSA_SD_jNS1_19radix_merge_compareILb1ELb1EsNS0_19identity_decomposerEEEEEvT0_T1_T2_T3_T4_SL_T5_.num_named_barrier, 0
	.set _ZN7rocprim17ROCPRIM_304000_NS6detail33device_block_merge_oddeven_kernelINS1_37wrapped_merge_sort_block_merge_configINS0_14default_configEsN2at4cuda3cub6detail10OpaqueTypeILi8EEEEEPsSC_PSA_SD_jNS1_19radix_merge_compareILb1ELb1EsNS0_19identity_decomposerEEEEEvT0_T1_T2_T3_T4_SL_T5_.private_seg_size, 0
	.set _ZN7rocprim17ROCPRIM_304000_NS6detail33device_block_merge_oddeven_kernelINS1_37wrapped_merge_sort_block_merge_configINS0_14default_configEsN2at4cuda3cub6detail10OpaqueTypeILi8EEEEEPsSC_PSA_SD_jNS1_19radix_merge_compareILb1ELb1EsNS0_19identity_decomposerEEEEEvT0_T1_T2_T3_T4_SL_T5_.uses_vcc, 1
	.set _ZN7rocprim17ROCPRIM_304000_NS6detail33device_block_merge_oddeven_kernelINS1_37wrapped_merge_sort_block_merge_configINS0_14default_configEsN2at4cuda3cub6detail10OpaqueTypeILi8EEEEEPsSC_PSA_SD_jNS1_19radix_merge_compareILb1ELb1EsNS0_19identity_decomposerEEEEEvT0_T1_T2_T3_T4_SL_T5_.uses_flat_scratch, 0
	.set _ZN7rocprim17ROCPRIM_304000_NS6detail33device_block_merge_oddeven_kernelINS1_37wrapped_merge_sort_block_merge_configINS0_14default_configEsN2at4cuda3cub6detail10OpaqueTypeILi8EEEEEPsSC_PSA_SD_jNS1_19radix_merge_compareILb1ELb1EsNS0_19identity_decomposerEEEEEvT0_T1_T2_T3_T4_SL_T5_.has_dyn_sized_stack, 0
	.set _ZN7rocprim17ROCPRIM_304000_NS6detail33device_block_merge_oddeven_kernelINS1_37wrapped_merge_sort_block_merge_configINS0_14default_configEsN2at4cuda3cub6detail10OpaqueTypeILi8EEEEEPsSC_PSA_SD_jNS1_19radix_merge_compareILb1ELb1EsNS0_19identity_decomposerEEEEEvT0_T1_T2_T3_T4_SL_T5_.has_recursion, 0
	.set _ZN7rocprim17ROCPRIM_304000_NS6detail33device_block_merge_oddeven_kernelINS1_37wrapped_merge_sort_block_merge_configINS0_14default_configEsN2at4cuda3cub6detail10OpaqueTypeILi8EEEEEPsSC_PSA_SD_jNS1_19radix_merge_compareILb1ELb1EsNS0_19identity_decomposerEEEEEvT0_T1_T2_T3_T4_SL_T5_.has_indirect_call, 0
	.section	.AMDGPU.csdata,"",@progbits
; Kernel info:
; codeLenInByte = 740
; TotalNumSgprs: 30
; NumVgprs: 11
; NumAgprs: 0
; TotalNumVgprs: 11
; ScratchSize: 0
; MemoryBound: 0
; FloatMode: 240
; IeeeMode: 1
; LDSByteSize: 0 bytes/workgroup (compile time only)
; SGPRBlocks: 3
; VGPRBlocks: 1
; NumSGPRsForWavesPerEU: 30
; NumVGPRsForWavesPerEU: 11
; AccumOffset: 12
; Occupancy: 8
; WaveLimiterHint : 0
; COMPUTE_PGM_RSRC2:SCRATCH_EN: 0
; COMPUTE_PGM_RSRC2:USER_SGPR: 2
; COMPUTE_PGM_RSRC2:TRAP_HANDLER: 0
; COMPUTE_PGM_RSRC2:TGID_X_EN: 1
; COMPUTE_PGM_RSRC2:TGID_Y_EN: 0
; COMPUTE_PGM_RSRC2:TGID_Z_EN: 0
; COMPUTE_PGM_RSRC2:TIDIG_COMP_CNT: 0
; COMPUTE_PGM_RSRC3_GFX90A:ACCUM_OFFSET: 2
; COMPUTE_PGM_RSRC3_GFX90A:TG_SPLIT: 0
	.section	.text._ZN7rocprim17ROCPRIM_304000_NS6detail26onesweep_histograms_kernelINS1_34wrapped_radix_sort_onesweep_configINS0_14default_configEsN2at4cuda3cub6detail10OpaqueTypeILi8EEEEELb1EPKsmNS0_19identity_decomposerEEEvT1_PT2_SG_SG_T3_jj,"axG",@progbits,_ZN7rocprim17ROCPRIM_304000_NS6detail26onesweep_histograms_kernelINS1_34wrapped_radix_sort_onesweep_configINS0_14default_configEsN2at4cuda3cub6detail10OpaqueTypeILi8EEEEELb1EPKsmNS0_19identity_decomposerEEEvT1_PT2_SG_SG_T3_jj,comdat
	.protected	_ZN7rocprim17ROCPRIM_304000_NS6detail26onesweep_histograms_kernelINS1_34wrapped_radix_sort_onesweep_configINS0_14default_configEsN2at4cuda3cub6detail10OpaqueTypeILi8EEEEELb1EPKsmNS0_19identity_decomposerEEEvT1_PT2_SG_SG_T3_jj ; -- Begin function _ZN7rocprim17ROCPRIM_304000_NS6detail26onesweep_histograms_kernelINS1_34wrapped_radix_sort_onesweep_configINS0_14default_configEsN2at4cuda3cub6detail10OpaqueTypeILi8EEEEELb1EPKsmNS0_19identity_decomposerEEEvT1_PT2_SG_SG_T3_jj
	.globl	_ZN7rocprim17ROCPRIM_304000_NS6detail26onesweep_histograms_kernelINS1_34wrapped_radix_sort_onesweep_configINS0_14default_configEsN2at4cuda3cub6detail10OpaqueTypeILi8EEEEELb1EPKsmNS0_19identity_decomposerEEEvT1_PT2_SG_SG_T3_jj
	.p2align	8
	.type	_ZN7rocprim17ROCPRIM_304000_NS6detail26onesweep_histograms_kernelINS1_34wrapped_radix_sort_onesweep_configINS0_14default_configEsN2at4cuda3cub6detail10OpaqueTypeILi8EEEEELb1EPKsmNS0_19identity_decomposerEEEvT1_PT2_SG_SG_T3_jj,@function
_ZN7rocprim17ROCPRIM_304000_NS6detail26onesweep_histograms_kernelINS1_34wrapped_radix_sort_onesweep_configINS0_14default_configEsN2at4cuda3cub6detail10OpaqueTypeILi8EEEEELb1EPKsmNS0_19identity_decomposerEEEvT1_PT2_SG_SG_T3_jj: ; @_ZN7rocprim17ROCPRIM_304000_NS6detail26onesweep_histograms_kernelINS1_34wrapped_radix_sort_onesweep_configINS0_14default_configEsN2at4cuda3cub6detail10OpaqueTypeILi8EEEEELb1EPKsmNS0_19identity_decomposerEEEvT1_PT2_SG_SG_T3_jj
; %bb.0:
	s_load_dwordx8 s[36:43], s[0:1], 0x0
	s_load_dwordx2 s[44:45], s[0:1], 0x24
	v_mov_b32_e32 v2, s2
	v_mov_b32_e32 v3, 0
	s_mul_hi_u32 s0, s2, 0x2400
	s_mulk_i32 s2, 0x2400
	s_waitcnt lgkmcnt(0)
	v_cmp_le_u64_e32 vcc, s[42:43], v[2:3]
	s_add_u32 s46, s36, s2
	s_addc_u32 s47, s37, s0
	s_mov_b64 s[0:1], -1
	v_lshlrev_b32_e32 v2, 1, v0
	s_cbranch_vccz .LBB59_122
; %bb.1:
	s_mul_i32 s33, s42, 0xffffee00
	s_add_i32 s33, s33, s40
	v_lshl_add_u64 v[4:5], s[46:47], 0, v[2:3]
	v_cmp_gt_u32_e64 s[36:37], s33, v0
	v_mov_b32_e32 v21, 0
	s_and_saveexec_b64 s[0:1], s[36:37]
	s_cbranch_execz .LBB59_3
; %bb.2:
	global_load_ushort v1, v[4:5], off
	s_waitcnt vmcnt(0)
	v_xor_b32_e32 v1, 0x7fff, v1
	v_and_b32_e32 v21, 0xffff, v1
.LBB59_3:
	s_or_b64 exec, exec, s[0:1]
	v_or_b32_e32 v1, 0x100, v0
	v_cmp_gt_u32_e64 s[34:35], s33, v1
	s_and_saveexec_b64 s[0:1], s[34:35]
	s_cbranch_execz .LBB59_5
; %bb.4:
	global_load_ushort v1, v[4:5], off offset:512
	s_waitcnt vmcnt(0)
	v_xor_b32_e32 v1, 0x7fff, v1
	v_and_b32_e32 v3, 0xffff, v1
.LBB59_5:
	s_or_b64 exec, exec, s[0:1]
	v_or_b32_e32 v1, 0x200, v0
	v_cmp_gt_u32_e64 s[30:31], s33, v1
	v_mov_b32_e32 v18, 0
	v_mov_b32_e32 v20, 0
	s_and_saveexec_b64 s[0:1], s[30:31]
	s_cbranch_execz .LBB59_7
; %bb.6:
	global_load_ushort v1, v[4:5], off offset:1024
	s_waitcnt vmcnt(0)
	v_xor_b32_e32 v1, 0x7fff, v1
	v_and_b32_e32 v20, 0xffff, v1
.LBB59_7:
	s_or_b64 exec, exec, s[0:1]
	v_or_b32_e32 v1, 0x300, v0
	v_cmp_gt_u32_e64 s[28:29], s33, v1
	s_and_saveexec_b64 s[0:1], s[28:29]
	s_cbranch_execz .LBB59_9
; %bb.8:
	global_load_ushort v1, v[4:5], off offset:1536
	s_waitcnt vmcnt(0)
	v_xor_b32_e32 v1, 0x7fff, v1
	v_and_b32_e32 v18, 0xffff, v1
.LBB59_9:
	s_or_b64 exec, exec, s[0:1]
	v_or_b32_e32 v1, 0x400, v0
	v_cmp_gt_u32_e64 s[26:27], s33, v1
	v_mov_b32_e32 v16, 0
	v_mov_b32_e32 v19, 0
	s_and_saveexec_b64 s[0:1], s[26:27]
	s_cbranch_execz .LBB59_11
; %bb.10:
	global_load_ushort v1, v[4:5], off offset:2048
	s_waitcnt vmcnt(0)
	v_xor_b32_e32 v1, 0x7fff, v1
	v_and_b32_e32 v19, 0xffff, v1
.LBB59_11:
	;; [unrolled: 24-line block ×3, first 2 shown]
	s_or_b64 exec, exec, s[0:1]
	v_or_b32_e32 v1, 0x700, v0
	v_cmp_gt_u32_e64 s[20:21], s33, v1
	s_and_saveexec_b64 s[0:1], s[20:21]
	s_cbranch_execz .LBB59_17
; %bb.16:
	global_load_ushort v1, v[4:5], off offset:3584
	s_waitcnt vmcnt(0)
	v_xor_b32_e32 v1, 0x7fff, v1
	v_and_b32_e32 v14, 0xffff, v1
.LBB59_17:
	s_or_b64 exec, exec, s[0:1]
	v_or_b32_e32 v1, 0x800, v0
	v_cmp_gt_u32_e64 s[18:19], s33, v1
	v_mov_b32_e32 v12, 0
	v_mov_b32_e32 v15, 0
	s_and_saveexec_b64 s[0:1], s[18:19]
	s_cbranch_execz .LBB59_19
; %bb.18:
	v_add_co_u32_e32 v6, vcc, 0x1000, v4
	s_nop 1
	v_addc_co_u32_e32 v7, vcc, 0, v5, vcc
	global_load_ushort v1, v[6:7], off
	s_waitcnt vmcnt(0)
	v_xor_b32_e32 v1, 0x7fff, v1
	v_and_b32_e32 v15, 0xffff, v1
.LBB59_19:
	s_or_b64 exec, exec, s[0:1]
	v_or_b32_e32 v1, 0x900, v0
	v_cmp_gt_u32_e64 s[16:17], s33, v1
	s_and_saveexec_b64 s[0:1], s[16:17]
	s_cbranch_execz .LBB59_21
; %bb.20:
	v_add_co_u32_e32 v6, vcc, 0x1000, v4
	s_nop 1
	v_addc_co_u32_e32 v7, vcc, 0, v5, vcc
	global_load_ushort v1, v[6:7], off offset:512
	s_waitcnt vmcnt(0)
	v_xor_b32_e32 v1, 0x7fff, v1
	v_and_b32_e32 v12, 0xffff, v1
.LBB59_21:
	s_or_b64 exec, exec, s[0:1]
	v_or_b32_e32 v1, 0xa00, v0
	v_cmp_gt_u32_e64 s[14:15], s33, v1
	v_mov_b32_e32 v10, 0
	v_mov_b32_e32 v13, 0
	s_and_saveexec_b64 s[0:1], s[14:15]
	s_cbranch_execz .LBB59_23
; %bb.22:
	v_add_co_u32_e32 v6, vcc, 0x1000, v4
	s_nop 1
	v_addc_co_u32_e32 v7, vcc, 0, v5, vcc
	global_load_ushort v1, v[6:7], off offset:1024
	s_waitcnt vmcnt(0)
	v_xor_b32_e32 v1, 0x7fff, v1
	v_and_b32_e32 v13, 0xffff, v1
.LBB59_23:
	s_or_b64 exec, exec, s[0:1]
	v_or_b32_e32 v1, 0xb00, v0
	v_cmp_gt_u32_e64 s[12:13], s33, v1
	s_and_saveexec_b64 s[0:1], s[12:13]
	s_cbranch_execz .LBB59_25
; %bb.24:
	v_add_co_u32_e32 v6, vcc, 0x1000, v4
	s_nop 1
	v_addc_co_u32_e32 v7, vcc, 0, v5, vcc
	global_load_ushort v1, v[6:7], off offset:1536
	s_waitcnt vmcnt(0)
	v_xor_b32_e32 v1, 0x7fff, v1
	v_and_b32_e32 v10, 0xffff, v1
.LBB59_25:
	s_or_b64 exec, exec, s[0:1]
	v_or_b32_e32 v1, 0xc00, v0
	v_cmp_gt_u32_e64 s[10:11], s33, v1
	v_mov_b32_e32 v8, 0
	v_mov_b32_e32 v11, 0
	s_and_saveexec_b64 s[0:1], s[10:11]
	s_cbranch_execz .LBB59_27
; %bb.26:
	v_add_co_u32_e32 v6, vcc, 0x1000, v4
	s_nop 1
	v_addc_co_u32_e32 v7, vcc, 0, v5, vcc
	global_load_ushort v1, v[6:7], off offset:2048
	s_waitcnt vmcnt(0)
	v_xor_b32_e32 v1, 0x7fff, v1
	v_and_b32_e32 v11, 0xffff, v1
.LBB59_27:
	;; [unrolled: 30-line block ×3, first 2 shown]
	s_or_b64 exec, exec, s[0:1]
	v_or_b32_e32 v1, 0xf00, v0
	v_cmp_gt_u32_e64 s[4:5], s33, v1
	s_and_saveexec_b64 s[0:1], s[4:5]
	s_cbranch_execz .LBB59_33
; %bb.32:
	v_add_co_u32_e32 v6, vcc, 0x1000, v4
	s_nop 1
	v_addc_co_u32_e32 v7, vcc, 0, v5, vcc
	global_load_ushort v1, v[6:7], off offset:3584
	s_waitcnt vmcnt(0)
	v_xor_b32_e32 v1, 0x7fff, v1
	v_and_b32_e32 v6, 0xffff, v1
.LBB59_33:
	s_or_b64 exec, exec, s[0:1]
	v_or_b32_e32 v1, 0x1000, v0
	v_cmp_gt_u32_e64 s[2:3], s33, v1
	v_mov_b32_e32 v1, 0
	v_mov_b32_e32 v7, 0
	s_and_saveexec_b64 s[0:1], s[2:3]
	s_cbranch_execz .LBB59_35
; %bb.34:
	v_add_co_u32_e32 v22, vcc, 0x2000, v4
	s_nop 1
	v_addc_co_u32_e32 v23, vcc, 0, v5, vcc
	global_load_ushort v7, v[22:23], off
	s_waitcnt vmcnt(0)
	v_xor_b32_e32 v7, 0x7fff, v7
	v_and_b32_e32 v7, 0xffff, v7
.LBB59_35:
	s_or_b64 exec, exec, s[0:1]
	v_or_b32_e32 v22, 0x1100, v0
	v_cmp_gt_u32_e64 s[0:1], s33, v22
	s_and_saveexec_b64 s[40:41], s[0:1]
	s_cbranch_execz .LBB59_37
; %bb.36:
	v_add_co_u32_e32 v4, vcc, 0x2000, v4
	s_nop 1
	v_addc_co_u32_e32 v5, vcc, 0, v5, vcc
	global_load_ushort v1, v[4:5], off offset:512
	s_waitcnt vmcnt(0)
	v_xor_b32_e32 v1, 0x7fff, v1
	v_and_b32_e32 v1, 0xffff, v1
.LBB59_37:
	s_or_b64 exec, exec, s[40:41]
	s_mov_b32 s40, 0
	v_lshlrev_b32_e32 v4, 2, v0
	s_mov_b32 s41, 1
	s_mov_b64 s[42:43], 0
	v_mov_b32_e32 v5, 0
	s_mov_b32 s48, s40
	s_branch .LBB59_39
.LBB59_38:                              ;   in Loop: Header=BB59_39 Depth=1
	s_or_b64 exec, exec, s[52:53]
	s_add_i32 s48, s48, 2
	v_cmp_eq_u32_e64 s[50:51], 8, s48
	s_or_b64 s[42:43], s[50:51], s[42:43]
	v_add_u32_e32 v4, 0x800, v4
	s_andn2_b64 exec, exec, s[42:43]
	s_cbranch_execz .LBB59_43
.LBB59_39:                              ; =>This Inner Loop Header: Depth=1
	s_mov_b32 s49, s48
	s_or_b64 s[52:53], s[48:49], s[40:41]
	v_cmp_le_u32_e64 s[50:51], s53, 7
	v_cmp_le_u32_e64 s[54:55], s52, 7
	s_and_saveexec_b64 s[52:53], s[54:55]
; %bb.40:                               ;   in Loop: Header=BB59_39 Depth=1
	ds_write_b32 v4, v5
; %bb.41:                               ;   in Loop: Header=BB59_39 Depth=1
	s_or_b64 exec, exec, s[52:53]
	s_and_saveexec_b64 s[52:53], s[50:51]
	s_cbranch_execz .LBB59_38
; %bb.42:                               ;   in Loop: Header=BB59_39 Depth=1
	ds_write_b32 v4, v5 offset:1024
	s_branch .LBB59_38
.LBB59_43:
	s_or_b64 exec, exec, s[42:43]
	s_cmp_gt_u32 s45, s44
	s_cselect_b64 s[40:41], -1, 0
	s_cmp_le_u32 s45, s44
	s_waitcnt lgkmcnt(0)
	s_barrier
	s_cbranch_scc1 .LBB59_116
; %bb.44:
	v_and_b32_e32 v4, 3, v0
	v_lshlrev_b32_e32 v4, 2, v4
	s_sub_i32 s33, s45, s44
	v_mov_b32_e32 v5, 1
	s_mov_b32 s48, s33
	v_mov_b32_e32 v22, v4
	s_mov_b32 s49, s44
	s_branch .LBB59_46
.LBB59_45:                              ;   in Loop: Header=BB59_46 Depth=1
	s_or_b64 exec, exec, s[42:43]
	s_add_i32 s49, s49, 8
	s_add_i32 s48, s48, -8
	s_cmp_lt_u32 s49, s45
	v_add_u32_e32 v22, 0x1000, v22
	s_cbranch_scc0 .LBB59_48
.LBB59_46:                              ; =>This Inner Loop Header: Depth=1
	s_and_saveexec_b64 s[42:43], s[36:37]
	s_cbranch_execz .LBB59_45
; %bb.47:                               ;   in Loop: Header=BB59_46 Depth=1
	s_min_u32 s50, s48, 8
	v_lshrrev_b32_e32 v23, s49, v21
	v_bfe_u32 v23, v23, 0, s50
	v_lshl_add_u32 v23, v23, 4, v22
	ds_add_u32 v23, v5
	s_branch .LBB59_45
.LBB59_48:
	v_mov_b32_e32 v5, 1
	s_mov_b32 s42, s33
	v_mov_b32_e32 v21, v4
	s_mov_b32 s43, s44
	s_branch .LBB59_50
.LBB59_49:                              ;   in Loop: Header=BB59_50 Depth=1
	s_or_b64 exec, exec, s[36:37]
	s_add_i32 s43, s43, 8
	s_add_i32 s42, s42, -8
	s_cmp_lt_u32 s43, s45
	v_add_u32_e32 v21, 0x1000, v21
	s_cbranch_scc0 .LBB59_52
.LBB59_50:                              ; =>This Inner Loop Header: Depth=1
	s_and_saveexec_b64 s[36:37], s[34:35]
	s_cbranch_execz .LBB59_49
; %bb.51:                               ;   in Loop: Header=BB59_50 Depth=1
	s_min_u32 s48, s42, 8
	v_lshrrev_b32_e32 v22, s43, v3
	v_bfe_u32 v22, v22, 0, s48
	v_lshl_add_u32 v22, v22, 4, v21
	ds_add_u32 v22, v5
	s_branch .LBB59_49
.LBB59_52:
	;; [unrolled: 23-line block ×14, first 2 shown]
	v_mov_b32_e32 v3, 1
	s_mov_b32 s10, s33
	v_mov_b32_e32 v5, v4
	s_mov_b32 s11, s44
	s_branch .LBB59_102
.LBB59_101:                             ;   in Loop: Header=BB59_102 Depth=1
	s_or_b64 exec, exec, s[8:9]
	s_add_i32 s11, s11, 8
	s_add_i32 s10, s10, -8
	s_cmp_lt_u32 s11, s45
	v_add_u32_e32 v5, 0x1000, v5
	s_cbranch_scc0 .LBB59_104
.LBB59_102:                             ; =>This Inner Loop Header: Depth=1
	s_and_saveexec_b64 s[8:9], s[6:7]
	s_cbranch_execz .LBB59_101
; %bb.103:                              ;   in Loop: Header=BB59_102 Depth=1
	s_min_u32 s12, s10, 8
	v_lshrrev_b32_e32 v8, s11, v9
	v_bfe_u32 v8, v8, 0, s12
	v_lshl_add_u32 v8, v8, 4, v5
	ds_add_u32 v8, v3
	s_branch .LBB59_101
.LBB59_104:
	v_mov_b32_e32 v3, 1
	s_mov_b32 s8, s33
	v_mov_b32_e32 v5, v4
	s_mov_b32 s9, s44
	s_branch .LBB59_106
.LBB59_105:                             ;   in Loop: Header=BB59_106 Depth=1
	s_or_b64 exec, exec, s[6:7]
	s_add_i32 s9, s9, 8
	s_add_i32 s8, s8, -8
	s_cmp_lt_u32 s9, s45
	v_add_u32_e32 v5, 0x1000, v5
	s_cbranch_scc0 .LBB59_108
.LBB59_106:                             ; =>This Inner Loop Header: Depth=1
	s_and_saveexec_b64 s[6:7], s[4:5]
	s_cbranch_execz .LBB59_105
; %bb.107:                              ;   in Loop: Header=BB59_106 Depth=1
	s_min_u32 s10, s8, 8
	v_lshrrev_b32_e32 v8, s9, v6
	v_bfe_u32 v8, v8, 0, s10
	v_lshl_add_u32 v8, v8, 4, v5
	ds_add_u32 v8, v3
	s_branch .LBB59_105
.LBB59_108:
	;; [unrolled: 23-line block ×3, first 2 shown]
	v_mov_b32_e32 v3, 1
	s_mov_b32 s4, s44
	s_branch .LBB59_114
.LBB59_113:                             ;   in Loop: Header=BB59_114 Depth=1
	s_or_b64 exec, exec, s[2:3]
	s_add_i32 s4, s4, 8
	s_add_i32 s33, s33, -8
	s_cmp_lt_u32 s4, s45
	v_add_u32_e32 v4, 0x1000, v4
	s_cbranch_scc0 .LBB59_116
.LBB59_114:                             ; =>This Inner Loop Header: Depth=1
	s_and_saveexec_b64 s[2:3], s[0:1]
	s_cbranch_execz .LBB59_113
; %bb.115:                              ;   in Loop: Header=BB59_114 Depth=1
	s_min_u32 s5, s33, 8
	v_lshrrev_b32_e32 v5, s4, v1
	v_bfe_u32 v5, v5, 0, s5
	v_lshl_add_u32 v5, v5, 4, v4
	ds_add_u32 v5, v3
	s_branch .LBB59_113
.LBB59_116:
	s_and_b64 vcc, exec, s[40:41]
	s_waitcnt lgkmcnt(0)
	s_barrier
	s_cbranch_vccz .LBB59_121
; %bb.117:
	s_movk_i32 s0, 0x100
	v_cmp_gt_u32_e32 vcc, s0, v0
	v_lshlrev_b32_e32 v1, 4, v0
	v_mov_b32_e32 v5, 0
	v_mov_b32_e32 v4, v0
	s_mov_b32 s2, s44
	s_branch .LBB59_119
.LBB59_118:                             ;   in Loop: Header=BB59_119 Depth=1
	s_or_b64 exec, exec, s[0:1]
	s_add_i32 s2, s2, 8
	v_add_u32_e32 v4, 0x100, v4
	s_cmp_lt_u32 s2, s45
	v_add_u32_e32 v1, 0x1000, v1
	s_cbranch_scc0 .LBB59_121
.LBB59_119:                             ; =>This Inner Loop Header: Depth=1
	s_and_saveexec_b64 s[0:1], vcc
	s_cbranch_execz .LBB59_118
; %bb.120:                              ;   in Loop: Header=BB59_119 Depth=1
	ds_read2_b32 v[6:7], v1 offset1:1
	ds_read2_b32 v[8:9], v1 offset0:2 offset1:3
	v_lshl_add_u64 v[10:11], v[4:5], 3, s[38:39]
	s_waitcnt lgkmcnt(1)
	v_add_u32_e32 v3, v7, v6
	s_waitcnt lgkmcnt(0)
	v_add3_u32 v6, v3, v8, v9
	v_mov_b32_e32 v7, v5
	global_atomic_add_x2 v[10:11], v[6:7], off
	s_branch .LBB59_118
.LBB59_121:
	s_mov_b64 s[0:1], 0
.LBB59_122:
	s_and_b64 vcc, exec, s[0:1]
	s_cbranch_vccz .LBB59_182
; %bb.123:
	v_mov_b32_e32 v3, 0
	v_lshl_add_u64 v[20:21], s[46:47], 0, v[2:3]
	s_movk_i32 s0, 0x1000
	v_add_co_u32_e32 v22, vcc, s0, v20
	global_load_ushort v1, v2, s[46:47]
	global_load_ushort v4, v2, s[46:47] offset:512
	global_load_ushort v5, v2, s[46:47] offset:1024
	global_load_ushort v6, v2, s[46:47] offset:1536
	global_load_ushort v7, v2, s[46:47] offset:2048
	global_load_ushort v8, v2, s[46:47] offset:2560
	global_load_ushort v9, v2, s[46:47] offset:3072
	global_load_ushort v10, v2, s[46:47] offset:3584
	v_addc_co_u32_e32 v23, vcc, 0, v21, vcc
	global_load_ushort v11, v[22:23], off
	global_load_ushort v12, v[22:23], off offset:512
	global_load_ushort v13, v[22:23], off offset:1024
	;; [unrolled: 1-line block ×7, first 2 shown]
	v_add_co_u32_e32 v22, vcc, 0x2000, v20
	s_cmp_eq_u32 s44, 0
	s_nop 0
	v_addc_co_u32_e32 v23, vcc, 0, v21, vcc
	global_load_ushort v19, v[22:23], off
	global_load_ushort v20, v[22:23], off offset:512
	s_cselect_b64 s[2:3], -1, 0
	s_cmp_eq_u32 s45, 16
	s_cselect_b64 s[4:5], -1, 0
	s_mov_b32 s0, 0
	s_and_b64 s[4:5], s[2:3], s[4:5]
	s_mov_b32 s1, 1
	s_mov_b64 s[2:3], -1
	s_and_b64 vcc, exec, s[4:5]
	v_lshlrev_b32_e32 v21, 2, v0
	s_cbranch_vccnz .LBB59_173
; %bb.124:
	v_lshlrev_b32_e32 v2, 2, v0
	s_mov_b64 s[2:3], 0
	s_mov_b32 s4, s0
	s_branch .LBB59_126
.LBB59_125:                             ;   in Loop: Header=BB59_126 Depth=1
	s_or_b64 exec, exec, s[8:9]
	s_add_i32 s4, s4, 2
	v_cmp_eq_u32_e64 s[6:7], 8, s4
	s_or_b64 s[2:3], s[6:7], s[2:3]
	v_add_u32_e32 v2, 0x800, v2
	s_andn2_b64 exec, exec, s[2:3]
	s_cbranch_execz .LBB59_130
.LBB59_126:                             ; =>This Inner Loop Header: Depth=1
	s_mov_b32 s5, s4
	s_or_b64 s[8:9], s[4:5], s[0:1]
	v_cmp_le_u32_e64 s[6:7], s9, 7
	v_cmp_le_u32_e64 s[10:11], s8, 7
	s_and_saveexec_b64 s[8:9], s[10:11]
; %bb.127:                              ;   in Loop: Header=BB59_126 Depth=1
	ds_write_b32 v2, v3
; %bb.128:                              ;   in Loop: Header=BB59_126 Depth=1
	s_or_b64 exec, exec, s[8:9]
	s_and_saveexec_b64 s[8:9], s[6:7]
	s_cbranch_execz .LBB59_125
; %bb.129:                              ;   in Loop: Header=BB59_126 Depth=1
	ds_write_b32 v2, v3 offset:1024
	s_branch .LBB59_125
.LBB59_130:
	s_or_b64 exec, exec, s[2:3]
	s_cmp_gt_u32 s45, s44
	s_cselect_b64 s[0:1], -1, 0
	s_cmp_le_u32 s45, s44
	s_waitcnt lgkmcnt(0)
	s_barrier
	s_cbranch_scc1 .LBB59_167
; %bb.131:
	v_and_b32_e32 v2, 3, v0
	v_lshlrev_b32_e32 v2, 2, v2
	s_sub_i32 s2, s45, s44
	s_waitcnt vmcnt(17)
	v_xor_b32_e32 v3, 0x7fff, v1
	v_mov_b32_e32 v22, 1
	s_mov_b32 s3, s2
	v_mov_b32_e32 v23, v2
	s_mov_b32 s4, s44
.LBB59_132:                             ; =>This Inner Loop Header: Depth=1
	s_min_u32 s5, s3, 8
	v_lshrrev_b32_sdwa v24, s4, v3 dst_sel:DWORD dst_unused:UNUSED_PAD src0_sel:DWORD src1_sel:WORD_0
	v_bfe_u32 v24, v24, 0, s5
	v_lshl_add_u32 v24, v24, 4, v23
	ds_add_u32 v24, v22
	s_add_i32 s4, s4, 8
	s_add_i32 s3, s3, -8
	s_cmp_ge_u32 s4, s45
	v_add_u32_e32 v23, 0x1000, v23
	s_cbranch_scc0 .LBB59_132
; %bb.133:
	s_waitcnt vmcnt(16)
	v_xor_b32_e32 v3, 0x7fff, v4
	v_mov_b32_e32 v22, 1
	s_mov_b32 s3, s2
	v_mov_b32_e32 v23, v2
	s_mov_b32 s4, s44
.LBB59_134:                             ; =>This Inner Loop Header: Depth=1
	s_min_u32 s5, s3, 8
	v_lshrrev_b32_sdwa v24, s4, v3 dst_sel:DWORD dst_unused:UNUSED_PAD src0_sel:DWORD src1_sel:WORD_0
	v_bfe_u32 v24, v24, 0, s5
	v_lshl_add_u32 v24, v24, 4, v23
	ds_add_u32 v24, v22
	s_add_i32 s4, s4, 8
	s_add_i32 s3, s3, -8
	s_cmp_lt_u32 s4, s45
	v_add_u32_e32 v23, 0x1000, v23
	s_cbranch_scc1 .LBB59_134
; %bb.135:
	s_waitcnt vmcnt(15)
	v_xor_b32_e32 v3, 0x7fff, v5
	v_mov_b32_e32 v22, 1
	s_mov_b32 s3, s2
	v_mov_b32_e32 v23, v2
	s_mov_b32 s4, s44
.LBB59_136:                             ; =>This Inner Loop Header: Depth=1
	s_min_u32 s5, s3, 8
	v_lshrrev_b32_sdwa v24, s4, v3 dst_sel:DWORD dst_unused:UNUSED_PAD src0_sel:DWORD src1_sel:WORD_0
	v_bfe_u32 v24, v24, 0, s5
	v_lshl_add_u32 v24, v24, 4, v23
	ds_add_u32 v24, v22
	s_add_i32 s4, s4, 8
	s_add_i32 s3, s3, -8
	s_cmp_lt_u32 s4, s45
	v_add_u32_e32 v23, 0x1000, v23
	s_cbranch_scc1 .LBB59_136
	;; [unrolled: 18-line block ×16, first 2 shown]
; %bb.165:
	s_waitcnt vmcnt(0)
	v_xor_b32_e32 v3, 0x7fff, v20
	v_mov_b32_e32 v22, 1
	s_mov_b32 s3, s44
.LBB59_166:                             ; =>This Inner Loop Header: Depth=1
	s_min_u32 s4, s2, 8
	v_lshrrev_b32_sdwa v23, s3, v3 dst_sel:DWORD dst_unused:UNUSED_PAD src0_sel:DWORD src1_sel:WORD_0
	v_bfe_u32 v23, v23, 0, s4
	v_lshl_add_u32 v23, v23, 4, v2
	ds_add_u32 v23, v22
	s_add_i32 s3, s3, 8
	s_add_i32 s2, s2, -8
	s_cmp_lt_u32 s3, s45
	v_add_u32_e32 v2, 0x1000, v2
	s_cbranch_scc1 .LBB59_166
.LBB59_167:
	s_and_b64 vcc, exec, s[0:1]
	s_waitcnt lgkmcnt(0)
	s_barrier
	s_cbranch_vccz .LBB59_172
; %bb.168:
	s_movk_i32 s0, 0x100
	v_cmp_gt_u32_e32 vcc, s0, v0
	v_lshlrev_b32_e32 v22, 4, v0
	v_mov_b32_e32 v3, 0
	v_mov_b32_e32 v2, v0
	s_branch .LBB59_170
.LBB59_169:                             ;   in Loop: Header=BB59_170 Depth=1
	s_or_b64 exec, exec, s[0:1]
	s_add_i32 s44, s44, 8
	v_add_u32_e32 v2, 0x100, v2
	s_cmp_ge_u32 s44, s45
	v_add_u32_e32 v22, 0x1000, v22
	s_cbranch_scc1 .LBB59_172
.LBB59_170:                             ; =>This Inner Loop Header: Depth=1
	s_and_saveexec_b64 s[0:1], vcc
	s_cbranch_execz .LBB59_169
; %bb.171:                              ;   in Loop: Header=BB59_170 Depth=1
	ds_read2_b32 v[24:25], v22 offset1:1
	ds_read2_b32 v[26:27], v22 offset0:2 offset1:3
	v_lshl_add_u64 v[28:29], v[2:3], 3, s[38:39]
	s_waitcnt lgkmcnt(1)
	v_add_u32_e32 v23, v25, v24
	s_waitcnt lgkmcnt(0)
	v_add3_u32 v24, v23, v26, v27
	v_mov_b32_e32 v25, v3
	global_atomic_add_x2 v[28:29], v[24:25], off
	s_branch .LBB59_169
.LBB59_172:
	s_mov_b64 s[2:3], 0
.LBB59_173:
	s_and_b64 vcc, exec, s[2:3]
	s_cbranch_vccz .LBB59_182
; %bb.174:
	s_mov_b32 s0, 0
	s_mov_b32 s1, 1
	s_mov_b64 s[2:3], 0
	v_mov_b32_e32 v2, 0
	s_mov_b32 s4, s0
	s_branch .LBB59_176
.LBB59_175:                             ;   in Loop: Header=BB59_176 Depth=1
	s_or_b64 exec, exec, s[8:9]
	s_add_i32 s4, s4, 2
	v_cmp_eq_u32_e64 s[6:7], 8, s4
	s_or_b64 s[2:3], s[6:7], s[2:3]
	v_add_u32_e32 v21, 0x800, v21
	s_andn2_b64 exec, exec, s[2:3]
	s_cbranch_execz .LBB59_180
.LBB59_176:                             ; =>This Inner Loop Header: Depth=1
	s_mov_b32 s5, s4
	s_or_b64 s[8:9], s[4:5], s[0:1]
	v_cmp_le_u32_e64 s[6:7], s9, 7
	v_cmp_le_u32_e64 s[10:11], s8, 7
	s_and_saveexec_b64 s[8:9], s[10:11]
; %bb.177:                              ;   in Loop: Header=BB59_176 Depth=1
	ds_write_b32 v21, v2
; %bb.178:                              ;   in Loop: Header=BB59_176 Depth=1
	s_or_b64 exec, exec, s[8:9]
	s_and_saveexec_b64 s[8:9], s[6:7]
	s_cbranch_execz .LBB59_175
; %bb.179:                              ;   in Loop: Header=BB59_176 Depth=1
	ds_write_b32 v21, v2 offset:1024
	s_branch .LBB59_175
.LBB59_180:
	s_or_b64 exec, exec, s[2:3]
	s_waitcnt vmcnt(17)
	v_xor_b32_e32 v1, 0x7fff, v1
	s_waitcnt vmcnt(15)
	v_xor_b32_e32 v3, 0x7fff, v5
	;; [unrolled: 2-line block ×9, first 2 shown]
	v_and_b32_e32 v19, 3, v0
	v_and_b32_e32 v1, 0xffff, v1
	v_xor_b32_e32 v2, 0x7fff, v4
	v_xor_b32_e32 v4, 0x7fff, v6
	;; [unrolled: 1-line block ×8, first 2 shown]
	s_waitcnt vmcnt(0)
	v_xor_b32_e32 v18, 0x7fff, v20
	v_lshlrev_b32_e32 v20, 4, v1
	v_lshlrev_b32_e32 v19, 2, v19
	s_movk_i32 s0, 0xff0
	v_and_or_b32 v20, v20, s0, v19
	v_mov_b32_e32 v21, 1
	v_bfe_u32 v1, v1, 8, 8
	s_waitcnt lgkmcnt(0)
	s_barrier
	ds_add_u32 v20, v21
	v_lshl_or_b32 v1, v1, 4, v19
	ds_add_u32 v1, v21 offset:4096
	v_and_b32_e32 v1, 0xffff, v2
	v_lshlrev_b32_e32 v2, 4, v1
	v_and_or_b32 v2, v2, s0, v19
	v_bfe_u32 v1, v1, 8, 8
	ds_add_u32 v2, v21
	v_lshl_or_b32 v1, v1, 4, v19
	ds_add_u32 v1, v21 offset:4096
	v_and_b32_e32 v1, 0xffff, v3
	v_lshlrev_b32_e32 v2, 4, v1
	v_and_or_b32 v2, v2, s0, v19
	v_bfe_u32 v1, v1, 8, 8
	;; [unrolled: 7-line block ×17, first 2 shown]
	ds_add_u32 v2, v21
	v_lshl_or_b32 v1, v1, 4, v19
	ds_add_u32 v1, v21 offset:4096
	s_movk_i32 s0, 0x100
	v_cmp_gt_u32_e32 vcc, s0, v0
	s_waitcnt lgkmcnt(0)
	s_barrier
	s_and_saveexec_b64 s[0:1], vcc
	s_cbranch_execz .LBB59_182
; %bb.181:
	v_lshlrev_b32_e32 v6, 4, v0
	ds_read2_b32 v[2:3], v6 offset1:1
	ds_read2_b32 v[4:5], v6 offset0:2 offset1:3
	v_lshlrev_b32_e32 v7, 3, v0
	v_mov_b32_e32 v1, 0
	v_or_b32_e32 v8, 0x1000, v6
	s_waitcnt lgkmcnt(1)
	v_add_u32_e32 v0, v3, v2
	s_waitcnt lgkmcnt(0)
	v_add3_u32 v0, v0, v4, v5
	global_atomic_add_x2 v7, v[0:1], s[38:39]
	v_or_b32_e32 v0, 0x1008, v6
	ds_read2_b32 v[2:3], v8 offset1:1
	ds_read2_b32 v[4:5], v0 offset1:1
	s_waitcnt lgkmcnt(1)
	v_add_u32_e32 v0, v3, v2
	s_waitcnt lgkmcnt(0)
	v_add3_u32 v0, v0, v4, v5
	global_atomic_add_x2 v7, v[0:1], s[38:39] offset:2048
.LBB59_182:
	s_endpgm
	.section	.rodata,"a",@progbits
	.p2align	6, 0x0
	.amdhsa_kernel _ZN7rocprim17ROCPRIM_304000_NS6detail26onesweep_histograms_kernelINS1_34wrapped_radix_sort_onesweep_configINS0_14default_configEsN2at4cuda3cub6detail10OpaqueTypeILi8EEEEELb1EPKsmNS0_19identity_decomposerEEEvT1_PT2_SG_SG_T3_jj
		.amdhsa_group_segment_fixed_size 8192
		.amdhsa_private_segment_fixed_size 0
		.amdhsa_kernarg_size 44
		.amdhsa_user_sgpr_count 2
		.amdhsa_user_sgpr_dispatch_ptr 0
		.amdhsa_user_sgpr_queue_ptr 0
		.amdhsa_user_sgpr_kernarg_segment_ptr 1
		.amdhsa_user_sgpr_dispatch_id 0
		.amdhsa_user_sgpr_kernarg_preload_length 0
		.amdhsa_user_sgpr_kernarg_preload_offset 0
		.amdhsa_user_sgpr_private_segment_size 0
		.amdhsa_uses_dynamic_stack 0
		.amdhsa_enable_private_segment 0
		.amdhsa_system_sgpr_workgroup_id_x 1
		.amdhsa_system_sgpr_workgroup_id_y 0
		.amdhsa_system_sgpr_workgroup_id_z 0
		.amdhsa_system_sgpr_workgroup_info 0
		.amdhsa_system_vgpr_workitem_id 0
		.amdhsa_next_free_vgpr 30
		.amdhsa_next_free_sgpr 56
		.amdhsa_accum_offset 32
		.amdhsa_reserve_vcc 1
		.amdhsa_float_round_mode_32 0
		.amdhsa_float_round_mode_16_64 0
		.amdhsa_float_denorm_mode_32 3
		.amdhsa_float_denorm_mode_16_64 3
		.amdhsa_dx10_clamp 1
		.amdhsa_ieee_mode 1
		.amdhsa_fp16_overflow 0
		.amdhsa_tg_split 0
		.amdhsa_exception_fp_ieee_invalid_op 0
		.amdhsa_exception_fp_denorm_src 0
		.amdhsa_exception_fp_ieee_div_zero 0
		.amdhsa_exception_fp_ieee_overflow 0
		.amdhsa_exception_fp_ieee_underflow 0
		.amdhsa_exception_fp_ieee_inexact 0
		.amdhsa_exception_int_div_zero 0
	.end_amdhsa_kernel
	.section	.text._ZN7rocprim17ROCPRIM_304000_NS6detail26onesweep_histograms_kernelINS1_34wrapped_radix_sort_onesweep_configINS0_14default_configEsN2at4cuda3cub6detail10OpaqueTypeILi8EEEEELb1EPKsmNS0_19identity_decomposerEEEvT1_PT2_SG_SG_T3_jj,"axG",@progbits,_ZN7rocprim17ROCPRIM_304000_NS6detail26onesweep_histograms_kernelINS1_34wrapped_radix_sort_onesweep_configINS0_14default_configEsN2at4cuda3cub6detail10OpaqueTypeILi8EEEEELb1EPKsmNS0_19identity_decomposerEEEvT1_PT2_SG_SG_T3_jj,comdat
.Lfunc_end59:
	.size	_ZN7rocprim17ROCPRIM_304000_NS6detail26onesweep_histograms_kernelINS1_34wrapped_radix_sort_onesweep_configINS0_14default_configEsN2at4cuda3cub6detail10OpaqueTypeILi8EEEEELb1EPKsmNS0_19identity_decomposerEEEvT1_PT2_SG_SG_T3_jj, .Lfunc_end59-_ZN7rocprim17ROCPRIM_304000_NS6detail26onesweep_histograms_kernelINS1_34wrapped_radix_sort_onesweep_configINS0_14default_configEsN2at4cuda3cub6detail10OpaqueTypeILi8EEEEELb1EPKsmNS0_19identity_decomposerEEEvT1_PT2_SG_SG_T3_jj
                                        ; -- End function
	.set _ZN7rocprim17ROCPRIM_304000_NS6detail26onesweep_histograms_kernelINS1_34wrapped_radix_sort_onesweep_configINS0_14default_configEsN2at4cuda3cub6detail10OpaqueTypeILi8EEEEELb1EPKsmNS0_19identity_decomposerEEEvT1_PT2_SG_SG_T3_jj.num_vgpr, 30
	.set _ZN7rocprim17ROCPRIM_304000_NS6detail26onesweep_histograms_kernelINS1_34wrapped_radix_sort_onesweep_configINS0_14default_configEsN2at4cuda3cub6detail10OpaqueTypeILi8EEEEELb1EPKsmNS0_19identity_decomposerEEEvT1_PT2_SG_SG_T3_jj.num_agpr, 0
	.set _ZN7rocprim17ROCPRIM_304000_NS6detail26onesweep_histograms_kernelINS1_34wrapped_radix_sort_onesweep_configINS0_14default_configEsN2at4cuda3cub6detail10OpaqueTypeILi8EEEEELb1EPKsmNS0_19identity_decomposerEEEvT1_PT2_SG_SG_T3_jj.numbered_sgpr, 56
	.set _ZN7rocprim17ROCPRIM_304000_NS6detail26onesweep_histograms_kernelINS1_34wrapped_radix_sort_onesweep_configINS0_14default_configEsN2at4cuda3cub6detail10OpaqueTypeILi8EEEEELb1EPKsmNS0_19identity_decomposerEEEvT1_PT2_SG_SG_T3_jj.num_named_barrier, 0
	.set _ZN7rocprim17ROCPRIM_304000_NS6detail26onesweep_histograms_kernelINS1_34wrapped_radix_sort_onesweep_configINS0_14default_configEsN2at4cuda3cub6detail10OpaqueTypeILi8EEEEELb1EPKsmNS0_19identity_decomposerEEEvT1_PT2_SG_SG_T3_jj.private_seg_size, 0
	.set _ZN7rocprim17ROCPRIM_304000_NS6detail26onesweep_histograms_kernelINS1_34wrapped_radix_sort_onesweep_configINS0_14default_configEsN2at4cuda3cub6detail10OpaqueTypeILi8EEEEELb1EPKsmNS0_19identity_decomposerEEEvT1_PT2_SG_SG_T3_jj.uses_vcc, 1
	.set _ZN7rocprim17ROCPRIM_304000_NS6detail26onesweep_histograms_kernelINS1_34wrapped_radix_sort_onesweep_configINS0_14default_configEsN2at4cuda3cub6detail10OpaqueTypeILi8EEEEELb1EPKsmNS0_19identity_decomposerEEEvT1_PT2_SG_SG_T3_jj.uses_flat_scratch, 0
	.set _ZN7rocprim17ROCPRIM_304000_NS6detail26onesweep_histograms_kernelINS1_34wrapped_radix_sort_onesweep_configINS0_14default_configEsN2at4cuda3cub6detail10OpaqueTypeILi8EEEEELb1EPKsmNS0_19identity_decomposerEEEvT1_PT2_SG_SG_T3_jj.has_dyn_sized_stack, 0
	.set _ZN7rocprim17ROCPRIM_304000_NS6detail26onesweep_histograms_kernelINS1_34wrapped_radix_sort_onesweep_configINS0_14default_configEsN2at4cuda3cub6detail10OpaqueTypeILi8EEEEELb1EPKsmNS0_19identity_decomposerEEEvT1_PT2_SG_SG_T3_jj.has_recursion, 0
	.set _ZN7rocprim17ROCPRIM_304000_NS6detail26onesweep_histograms_kernelINS1_34wrapped_radix_sort_onesweep_configINS0_14default_configEsN2at4cuda3cub6detail10OpaqueTypeILi8EEEEELb1EPKsmNS0_19identity_decomposerEEEvT1_PT2_SG_SG_T3_jj.has_indirect_call, 0
	.section	.AMDGPU.csdata,"",@progbits
; Kernel info:
; codeLenInByte = 6800
; TotalNumSgprs: 62
; NumVgprs: 30
; NumAgprs: 0
; TotalNumVgprs: 30
; ScratchSize: 0
; MemoryBound: 0
; FloatMode: 240
; IeeeMode: 1
; LDSByteSize: 8192 bytes/workgroup (compile time only)
; SGPRBlocks: 7
; VGPRBlocks: 3
; NumSGPRsForWavesPerEU: 62
; NumVGPRsForWavesPerEU: 30
; AccumOffset: 32
; Occupancy: 8
; WaveLimiterHint : 1
; COMPUTE_PGM_RSRC2:SCRATCH_EN: 0
; COMPUTE_PGM_RSRC2:USER_SGPR: 2
; COMPUTE_PGM_RSRC2:TRAP_HANDLER: 0
; COMPUTE_PGM_RSRC2:TGID_X_EN: 1
; COMPUTE_PGM_RSRC2:TGID_Y_EN: 0
; COMPUTE_PGM_RSRC2:TGID_Z_EN: 0
; COMPUTE_PGM_RSRC2:TIDIG_COMP_CNT: 0
; COMPUTE_PGM_RSRC3_GFX90A:ACCUM_OFFSET: 7
; COMPUTE_PGM_RSRC3_GFX90A:TG_SPLIT: 0
	.section	.text._ZN7rocprim17ROCPRIM_304000_NS6detail31onesweep_scan_histograms_kernelINS1_34wrapped_radix_sort_onesweep_configINS0_14default_configEsN2at4cuda3cub6detail10OpaqueTypeILi8EEEEEmEEvPT0_,"axG",@progbits,_ZN7rocprim17ROCPRIM_304000_NS6detail31onesweep_scan_histograms_kernelINS1_34wrapped_radix_sort_onesweep_configINS0_14default_configEsN2at4cuda3cub6detail10OpaqueTypeILi8EEEEEmEEvPT0_,comdat
	.protected	_ZN7rocprim17ROCPRIM_304000_NS6detail31onesweep_scan_histograms_kernelINS1_34wrapped_radix_sort_onesweep_configINS0_14default_configEsN2at4cuda3cub6detail10OpaqueTypeILi8EEEEEmEEvPT0_ ; -- Begin function _ZN7rocprim17ROCPRIM_304000_NS6detail31onesweep_scan_histograms_kernelINS1_34wrapped_radix_sort_onesweep_configINS0_14default_configEsN2at4cuda3cub6detail10OpaqueTypeILi8EEEEEmEEvPT0_
	.globl	_ZN7rocprim17ROCPRIM_304000_NS6detail31onesweep_scan_histograms_kernelINS1_34wrapped_radix_sort_onesweep_configINS0_14default_configEsN2at4cuda3cub6detail10OpaqueTypeILi8EEEEEmEEvPT0_
	.p2align	8
	.type	_ZN7rocprim17ROCPRIM_304000_NS6detail31onesweep_scan_histograms_kernelINS1_34wrapped_radix_sort_onesweep_configINS0_14default_configEsN2at4cuda3cub6detail10OpaqueTypeILi8EEEEEmEEvPT0_,@function
_ZN7rocprim17ROCPRIM_304000_NS6detail31onesweep_scan_histograms_kernelINS1_34wrapped_radix_sort_onesweep_configINS0_14default_configEsN2at4cuda3cub6detail10OpaqueTypeILi8EEEEEmEEvPT0_: ; @_ZN7rocprim17ROCPRIM_304000_NS6detail31onesweep_scan_histograms_kernelINS1_34wrapped_radix_sort_onesweep_configINS0_14default_configEsN2at4cuda3cub6detail10OpaqueTypeILi8EEEEEmEEvPT0_
; %bb.0:
	s_load_dwordx2 s[0:1], s[0:1], 0x0
	s_lshl_b32 s2, s2, 8
	s_mov_b32 s3, 0
	s_lshl_b64 s[2:3], s[2:3], 3
	v_lshlrev_b32_e32 v8, 3, v0
	s_waitcnt lgkmcnt(0)
	s_add_u32 s6, s0, s2
	s_movk_i32 s0, 0x100
	s_addc_u32 s7, s1, s3
	v_cmp_gt_u32_e32 vcc, s0, v0
                                        ; implicit-def: $vgpr2_vgpr3
	s_and_saveexec_b64 s[0:1], vcc
	s_cbranch_execz .LBB60_2
; %bb.1:
	global_load_dwordx2 v[2:3], v8, s[6:7]
.LBB60_2:
	s_or_b64 exec, exec, s[0:1]
	v_mbcnt_lo_u32_b32 v1, -1, 0
	v_mov_b32_e32 v6, 0
	v_mbcnt_hi_u32_b32 v9, -1, v1
	s_waitcnt vmcnt(0)
	v_mov_b32_dpp v4, v2 row_shr:1 row_mask:0xf bank_mask:0xf
	v_mov_b32_e32 v5, v6
	v_and_b32_e32 v1, 15, v9
	v_mov_b32_dpp v7, v3 row_shr:1 row_mask:0xf bank_mask:0xf
	v_lshl_add_u64 v[4:5], v[2:3], 0, v[4:5]
	v_lshl_add_u64 v[6:7], v[6:7], 0, v[4:5]
	v_cmp_eq_u32_e64 s[0:1], 0, v1
	v_cmp_ne_u32_e64 s[4:5], 0, v9
	s_nop 0
	v_cndmask_b32_e64 v10, v4, v2, s[0:1]
	v_cndmask_b32_e64 v5, v7, v3, s[0:1]
	v_cndmask_b32_e64 v4, v6, v2, s[0:1]
	v_mov_b32_dpp v6, v10 row_shr:2 row_mask:0xf bank_mask:0xf
	v_mov_b32_dpp v7, v5 row_shr:2 row_mask:0xf bank_mask:0xf
	v_lshl_add_u64 v[6:7], v[6:7], 0, v[4:5]
	v_cmp_lt_u32_e64 s[0:1], 1, v1
	s_nop 1
	v_cndmask_b32_e64 v10, v10, v6, s[0:1]
	v_cndmask_b32_e64 v5, v5, v7, s[0:1]
	v_cndmask_b32_e64 v4, v4, v6, s[0:1]
	v_mov_b32_dpp v6, v10 row_shr:4 row_mask:0xf bank_mask:0xf
	v_mov_b32_dpp v7, v5 row_shr:4 row_mask:0xf bank_mask:0xf
	v_lshl_add_u64 v[6:7], v[6:7], 0, v[4:5]
	v_cmp_lt_u32_e64 s[0:1], 3, v1
	;; [unrolled: 8-line block ×3, first 2 shown]
	s_nop 1
	v_cndmask_b32_e64 v1, v10, v6, s[0:1]
	v_cndmask_b32_e64 v5, v5, v7, s[0:1]
	;; [unrolled: 1-line block ×3, first 2 shown]
	v_mov_b32_dpp v6, v1 row_bcast:15 row_mask:0xf bank_mask:0xf
	v_mov_b32_dpp v7, v5 row_bcast:15 row_mask:0xf bank_mask:0xf
	v_and_b32_e32 v10, 16, v9
	v_lshl_add_u64 v[6:7], v[6:7], 0, v[4:5]
	v_cmp_eq_u32_e64 s[2:3], 0, v10
	v_cmp_eq_u32_e64 s[0:1], 0, v9
	s_nop 0
	v_cndmask_b32_e64 v10, v7, v5, s[2:3]
	v_cndmask_b32_e64 v1, v6, v1, s[2:3]
	s_nop 0
	v_mov_b32_dpp v10, v10 row_bcast:31 row_mask:0xf bank_mask:0xf
	v_mov_b32_dpp v1, v1 row_bcast:31 row_mask:0xf bank_mask:0xf
	s_and_saveexec_b64 s[8:9], s[4:5]
; %bb.3:
	v_cndmask_b32_e64 v3, v7, v5, s[2:3]
	v_cndmask_b32_e64 v2, v6, v4, s[2:3]
	v_cmp_lt_u32_e64 s[2:3], 31, v9
	s_nop 1
	v_cndmask_b32_e64 v5, 0, v10, s[2:3]
	v_cndmask_b32_e64 v4, 0, v1, s[2:3]
	v_lshl_add_u64 v[2:3], v[4:5], 0, v[2:3]
; %bb.4:
	s_or_b64 exec, exec, s[8:9]
	v_or_b32_e32 v1, 63, v0
	v_lshrrev_b32_e32 v4, 6, v0
	v_cmp_eq_u32_e64 s[2:3], v0, v1
	s_and_saveexec_b64 s[4:5], s[2:3]
; %bb.5:
	v_lshlrev_b32_e32 v1, 3, v4
	ds_write_b64 v1, v[2:3]
; %bb.6:
	s_or_b64 exec, exec, s[4:5]
	v_cmp_gt_u32_e64 s[2:3], 4, v0
	s_waitcnt lgkmcnt(0)
	s_barrier
	s_and_saveexec_b64 s[4:5], s[2:3]
	s_cbranch_execz .LBB60_8
; %bb.7:
	ds_read_b64 v[6:7], v8
	v_mov_b32_e32 v10, 0
	v_mov_b32_e32 v13, v10
	v_and_b32_e32 v1, 3, v9
	v_cmp_eq_u32_e64 s[2:3], 0, v1
	s_waitcnt lgkmcnt(0)
	v_mov_b32_dpp v12, v6 row_shr:1 row_mask:0xf bank_mask:0xf
	v_mov_b32_dpp v11, v7 row_shr:1 row_mask:0xf bank_mask:0xf
	v_lshl_add_u64 v[12:13], v[6:7], 0, v[12:13]
	v_lshl_add_u64 v[10:11], v[10:11], 0, v[12:13]
	v_cndmask_b32_e64 v11, v11, v7, s[2:3]
	v_cndmask_b32_e64 v5, v12, v6, s[2:3]
	v_cndmask_b32_e64 v10, v10, v6, s[2:3]
	v_mov_b32_dpp v7, v11 row_shr:2 row_mask:0xf bank_mask:0xf
	v_mov_b32_dpp v5, v5 row_shr:2 row_mask:0xf bank_mask:0xf
	v_cmp_lt_u32_e64 s[2:3], 1, v1
	s_nop 1
	v_cndmask_b32_e64 v6, 0, v5, s[2:3]
	v_cndmask_b32_e64 v7, 0, v7, s[2:3]
	v_lshl_add_u64 v[6:7], v[6:7], 0, v[10:11]
	ds_write_b64 v8, v[6:7]
.LBB60_8:
	s_or_b64 exec, exec, s[4:5]
	v_cmp_lt_u32_e64 s[2:3], 63, v0
	v_mov_b64_e32 v[0:1], 0
	s_waitcnt lgkmcnt(0)
	s_barrier
	s_and_saveexec_b64 s[4:5], s[2:3]
; %bb.9:
	v_lshl_add_u32 v0, v4, 3, -8
	ds_read_b64 v[0:1], v0
; %bb.10:
	s_or_b64 exec, exec, s[4:5]
	v_add_u32_e32 v4, -1, v9
	v_and_b32_e32 v5, 64, v9
	v_cmp_lt_i32_e64 s[2:3], v4, v5
	s_waitcnt lgkmcnt(0)
	v_lshl_add_u64 v[2:3], v[0:1], 0, v[2:3]
	v_cndmask_b32_e64 v4, v4, v9, s[2:3]
	v_lshlrev_b32_e32 v4, 2, v4
	ds_bpermute_b32 v2, v4, v2
	ds_bpermute_b32 v3, v4, v3
	s_and_saveexec_b64 s[2:3], vcc
	s_cbranch_execz .LBB60_12
; %bb.11:
	s_waitcnt lgkmcnt(0)
	v_cndmask_b32_e64 v1, v3, v1, s[0:1]
	v_cndmask_b32_e64 v0, v2, v0, s[0:1]
	global_store_dwordx2 v8, v[0:1], s[6:7]
.LBB60_12:
	s_endpgm
	.section	.rodata,"a",@progbits
	.p2align	6, 0x0
	.amdhsa_kernel _ZN7rocprim17ROCPRIM_304000_NS6detail31onesweep_scan_histograms_kernelINS1_34wrapped_radix_sort_onesweep_configINS0_14default_configEsN2at4cuda3cub6detail10OpaqueTypeILi8EEEEEmEEvPT0_
		.amdhsa_group_segment_fixed_size 32
		.amdhsa_private_segment_fixed_size 0
		.amdhsa_kernarg_size 8
		.amdhsa_user_sgpr_count 2
		.amdhsa_user_sgpr_dispatch_ptr 0
		.amdhsa_user_sgpr_queue_ptr 0
		.amdhsa_user_sgpr_kernarg_segment_ptr 1
		.amdhsa_user_sgpr_dispatch_id 0
		.amdhsa_user_sgpr_kernarg_preload_length 0
		.amdhsa_user_sgpr_kernarg_preload_offset 0
		.amdhsa_user_sgpr_private_segment_size 0
		.amdhsa_uses_dynamic_stack 0
		.amdhsa_enable_private_segment 0
		.amdhsa_system_sgpr_workgroup_id_x 1
		.amdhsa_system_sgpr_workgroup_id_y 0
		.amdhsa_system_sgpr_workgroup_id_z 0
		.amdhsa_system_sgpr_workgroup_info 0
		.amdhsa_system_vgpr_workitem_id 0
		.amdhsa_next_free_vgpr 14
		.amdhsa_next_free_sgpr 10
		.amdhsa_accum_offset 16
		.amdhsa_reserve_vcc 1
		.amdhsa_float_round_mode_32 0
		.amdhsa_float_round_mode_16_64 0
		.amdhsa_float_denorm_mode_32 3
		.amdhsa_float_denorm_mode_16_64 3
		.amdhsa_dx10_clamp 1
		.amdhsa_ieee_mode 1
		.amdhsa_fp16_overflow 0
		.amdhsa_tg_split 0
		.amdhsa_exception_fp_ieee_invalid_op 0
		.amdhsa_exception_fp_denorm_src 0
		.amdhsa_exception_fp_ieee_div_zero 0
		.amdhsa_exception_fp_ieee_overflow 0
		.amdhsa_exception_fp_ieee_underflow 0
		.amdhsa_exception_fp_ieee_inexact 0
		.amdhsa_exception_int_div_zero 0
	.end_amdhsa_kernel
	.section	.text._ZN7rocprim17ROCPRIM_304000_NS6detail31onesweep_scan_histograms_kernelINS1_34wrapped_radix_sort_onesweep_configINS0_14default_configEsN2at4cuda3cub6detail10OpaqueTypeILi8EEEEEmEEvPT0_,"axG",@progbits,_ZN7rocprim17ROCPRIM_304000_NS6detail31onesweep_scan_histograms_kernelINS1_34wrapped_radix_sort_onesweep_configINS0_14default_configEsN2at4cuda3cub6detail10OpaqueTypeILi8EEEEEmEEvPT0_,comdat
.Lfunc_end60:
	.size	_ZN7rocprim17ROCPRIM_304000_NS6detail31onesweep_scan_histograms_kernelINS1_34wrapped_radix_sort_onesweep_configINS0_14default_configEsN2at4cuda3cub6detail10OpaqueTypeILi8EEEEEmEEvPT0_, .Lfunc_end60-_ZN7rocprim17ROCPRIM_304000_NS6detail31onesweep_scan_histograms_kernelINS1_34wrapped_radix_sort_onesweep_configINS0_14default_configEsN2at4cuda3cub6detail10OpaqueTypeILi8EEEEEmEEvPT0_
                                        ; -- End function
	.set _ZN7rocprim17ROCPRIM_304000_NS6detail31onesweep_scan_histograms_kernelINS1_34wrapped_radix_sort_onesweep_configINS0_14default_configEsN2at4cuda3cub6detail10OpaqueTypeILi8EEEEEmEEvPT0_.num_vgpr, 14
	.set _ZN7rocprim17ROCPRIM_304000_NS6detail31onesweep_scan_histograms_kernelINS1_34wrapped_radix_sort_onesweep_configINS0_14default_configEsN2at4cuda3cub6detail10OpaqueTypeILi8EEEEEmEEvPT0_.num_agpr, 0
	.set _ZN7rocprim17ROCPRIM_304000_NS6detail31onesweep_scan_histograms_kernelINS1_34wrapped_radix_sort_onesweep_configINS0_14default_configEsN2at4cuda3cub6detail10OpaqueTypeILi8EEEEEmEEvPT0_.numbered_sgpr, 10
	.set _ZN7rocprim17ROCPRIM_304000_NS6detail31onesweep_scan_histograms_kernelINS1_34wrapped_radix_sort_onesweep_configINS0_14default_configEsN2at4cuda3cub6detail10OpaqueTypeILi8EEEEEmEEvPT0_.num_named_barrier, 0
	.set _ZN7rocprim17ROCPRIM_304000_NS6detail31onesweep_scan_histograms_kernelINS1_34wrapped_radix_sort_onesweep_configINS0_14default_configEsN2at4cuda3cub6detail10OpaqueTypeILi8EEEEEmEEvPT0_.private_seg_size, 0
	.set _ZN7rocprim17ROCPRIM_304000_NS6detail31onesweep_scan_histograms_kernelINS1_34wrapped_radix_sort_onesweep_configINS0_14default_configEsN2at4cuda3cub6detail10OpaqueTypeILi8EEEEEmEEvPT0_.uses_vcc, 1
	.set _ZN7rocprim17ROCPRIM_304000_NS6detail31onesweep_scan_histograms_kernelINS1_34wrapped_radix_sort_onesweep_configINS0_14default_configEsN2at4cuda3cub6detail10OpaqueTypeILi8EEEEEmEEvPT0_.uses_flat_scratch, 0
	.set _ZN7rocprim17ROCPRIM_304000_NS6detail31onesweep_scan_histograms_kernelINS1_34wrapped_radix_sort_onesweep_configINS0_14default_configEsN2at4cuda3cub6detail10OpaqueTypeILi8EEEEEmEEvPT0_.has_dyn_sized_stack, 0
	.set _ZN7rocprim17ROCPRIM_304000_NS6detail31onesweep_scan_histograms_kernelINS1_34wrapped_radix_sort_onesweep_configINS0_14default_configEsN2at4cuda3cub6detail10OpaqueTypeILi8EEEEEmEEvPT0_.has_recursion, 0
	.set _ZN7rocprim17ROCPRIM_304000_NS6detail31onesweep_scan_histograms_kernelINS1_34wrapped_radix_sort_onesweep_configINS0_14default_configEsN2at4cuda3cub6detail10OpaqueTypeILi8EEEEEmEEvPT0_.has_indirect_call, 0
	.section	.AMDGPU.csdata,"",@progbits
; Kernel info:
; codeLenInByte = 848
; TotalNumSgprs: 16
; NumVgprs: 14
; NumAgprs: 0
; TotalNumVgprs: 14
; ScratchSize: 0
; MemoryBound: 0
; FloatMode: 240
; IeeeMode: 1
; LDSByteSize: 32 bytes/workgroup (compile time only)
; SGPRBlocks: 1
; VGPRBlocks: 1
; NumSGPRsForWavesPerEU: 16
; NumVGPRsForWavesPerEU: 14
; AccumOffset: 16
; Occupancy: 8
; WaveLimiterHint : 0
; COMPUTE_PGM_RSRC2:SCRATCH_EN: 0
; COMPUTE_PGM_RSRC2:USER_SGPR: 2
; COMPUTE_PGM_RSRC2:TRAP_HANDLER: 0
; COMPUTE_PGM_RSRC2:TGID_X_EN: 1
; COMPUTE_PGM_RSRC2:TGID_Y_EN: 0
; COMPUTE_PGM_RSRC2:TGID_Z_EN: 0
; COMPUTE_PGM_RSRC2:TIDIG_COMP_CNT: 0
; COMPUTE_PGM_RSRC3_GFX90A:ACCUM_OFFSET: 3
; COMPUTE_PGM_RSRC3_GFX90A:TG_SPLIT: 0
	.section	.text._ZN7rocprim17ROCPRIM_304000_NS6detail16transform_kernelINS1_24wrapped_transform_configINS0_14default_configEsEEsPKsPsNS0_8identityIsEEEEvT1_mT2_T3_,"axG",@progbits,_ZN7rocprim17ROCPRIM_304000_NS6detail16transform_kernelINS1_24wrapped_transform_configINS0_14default_configEsEEsPKsPsNS0_8identityIsEEEEvT1_mT2_T3_,comdat
	.protected	_ZN7rocprim17ROCPRIM_304000_NS6detail16transform_kernelINS1_24wrapped_transform_configINS0_14default_configEsEEsPKsPsNS0_8identityIsEEEEvT1_mT2_T3_ ; -- Begin function _ZN7rocprim17ROCPRIM_304000_NS6detail16transform_kernelINS1_24wrapped_transform_configINS0_14default_configEsEEsPKsPsNS0_8identityIsEEEEvT1_mT2_T3_
	.globl	_ZN7rocprim17ROCPRIM_304000_NS6detail16transform_kernelINS1_24wrapped_transform_configINS0_14default_configEsEEsPKsPsNS0_8identityIsEEEEvT1_mT2_T3_
	.p2align	8
	.type	_ZN7rocprim17ROCPRIM_304000_NS6detail16transform_kernelINS1_24wrapped_transform_configINS0_14default_configEsEEsPKsPsNS0_8identityIsEEEEvT1_mT2_T3_,@function
_ZN7rocprim17ROCPRIM_304000_NS6detail16transform_kernelINS1_24wrapped_transform_configINS0_14default_configEsEEsPKsPsNS0_8identityIsEEEEvT1_mT2_T3_: ; @_ZN7rocprim17ROCPRIM_304000_NS6detail16transform_kernelINS1_24wrapped_transform_configINS0_14default_configEsEEsPKsPsNS0_8identityIsEEEEvT1_mT2_T3_
; %bb.0:
	s_load_dword s3, s[0:1], 0x20
	s_load_dwordx4 s[4:7], s[0:1], 0x0
	s_load_dwordx2 s[8:9], s[0:1], 0x10
	s_lshl_b32 s0, s2, 9
	s_mov_b32 s1, 0
	s_waitcnt lgkmcnt(0)
	s_add_i32 s3, s3, -1
	s_lshl_b64 s[10:11], s[0:1], 1
	s_add_u32 s4, s4, s10
	s_addc_u32 s5, s5, s11
	v_mov_b32_e32 v3, 0
	v_lshlrev_b32_e32 v2, 1, v0
	s_cmp_lg_u32 s2, s3
	v_lshl_add_u64 v[6:7], s[4:5], 0, v[2:3]
	s_cbranch_scc0 .LBB61_2
; %bb.1:
	global_load_ushort v3, v[6:7], off
	global_load_ushort v4, v[6:7], off offset:256
	global_load_ushort v5, v[6:7], off offset:512
	;; [unrolled: 1-line block ×3, first 2 shown]
	s_add_u32 s4, s8, s10
	s_addc_u32 s5, s9, s11
	s_mov_b64 s[12:13], -1
	s_waitcnt vmcnt(3)
	global_store_short v2, v3, s[4:5]
	s_waitcnt vmcnt(3)
	global_store_short v2, v4, s[4:5] offset:256
	s_waitcnt vmcnt(3)
	global_store_short v2, v5, s[4:5] offset:512
	s_cbranch_execz .LBB61_3
	s_branch .LBB61_17
.LBB61_2:
	s_mov_b64 s[12:13], 0
                                        ; implicit-def: $vgpr1
.LBB61_3:
	s_sub_i32 s6, s6, s0
	v_mov_b32_e32 v4, 0
	v_cmp_gt_u32_e32 vcc, s6, v0
	v_mov_b32_e32 v5, v4
	s_and_saveexec_b64 s[0:1], vcc
	s_cbranch_execz .LBB61_5
; %bb.4:
	global_load_ushort v1, v[6:7], off
	v_mov_b32_e32 v9, v4
	s_waitcnt vmcnt(0)
	v_and_b32_e32 v8, 0xffff, v1
	v_mov_b64_e32 v[4:5], v[8:9]
.LBB61_5:
	s_or_b64 exec, exec, s[0:1]
	s_waitcnt vmcnt(3)
	v_or_b32_e32 v1, 0x80, v0
	v_cmp_gt_u32_e64 s[0:1], s6, v1
	s_and_saveexec_b64 s[2:3], s[0:1]
	s_cbranch_execz .LBB61_7
; %bb.6:
	global_load_ushort v1, v[6:7], off offset:256
	s_mov_b32 s4, 0x5040100
	s_waitcnt vmcnt(0)
	v_perm_b32 v4, v1, v4, s4
.LBB61_7:
	s_or_b64 exec, exec, s[2:3]
	v_or_b32_e32 v1, 0x100, v0
	v_cmp_gt_u32_e64 s[2:3], s6, v1
	s_and_saveexec_b64 s[4:5], s[2:3]
	s_cbranch_execz .LBB61_9
; %bb.8:
	global_load_ushort v1, v[6:7], off offset:512
	s_mov_b32 s7, 0xffff
	s_waitcnt vmcnt(0)
	v_bfi_b32 v5, s7, v1, v5
.LBB61_9:
	s_or_b64 exec, exec, s[4:5]
	v_or_b32_e32 v0, 0x180, v0
	v_cmp_gt_u32_e64 s[4:5], s6, v0
	s_and_saveexec_b64 s[6:7], s[4:5]
	s_cbranch_execz .LBB61_11
; %bb.10:
	global_load_ushort v0, v[6:7], off offset:768
	s_mov_b32 s14, 0x5040100
	s_waitcnt vmcnt(0)
	v_perm_b32 v5, v0, v5, s14
.LBB61_11:
	s_or_b64 exec, exec, s[6:7]
	s_add_u32 s6, s8, s10
	v_mov_b32_e32 v3, 0
	s_addc_u32 s7, s9, s11
	v_cndmask_b32_sdwa v6, v3, v4, vcc dst_sel:DWORD dst_unused:UNUSED_PAD src0_sel:DWORD src1_sel:WORD_0
	v_lshl_add_u64 v[0:1], s[6:7], 0, v[2:3]
	s_and_saveexec_b64 s[6:7], vcc
	s_cbranch_execnz .LBB61_20
; %bb.12:
	s_or_b64 exec, exec, s[6:7]
	v_cndmask_b32_e64 v3, v6, v4, s[0:1]
	s_and_saveexec_b64 s[6:7], s[0:1]
	s_cbranch_execnz .LBB61_21
.LBB61_13:
	s_or_b64 exec, exec, s[6:7]
	s_and_saveexec_b64 s[0:1], s[2:3]
	s_cbranch_execnz .LBB61_22
.LBB61_14:
	s_or_b64 exec, exec, s[0:1]
                                        ; implicit-def: $vgpr1
	s_and_saveexec_b64 s[0:1], s[4:5]
.LBB61_15:
	v_cndmask_b32_e64 v0, 0, v5, s[4:5]
	v_lshrrev_b32_e32 v1, 16, v0
	s_or_b64 s[12:13], s[12:13], exec
.LBB61_16:
	s_or_b64 exec, exec, s[0:1]
.LBB61_17:
	s_and_saveexec_b64 s[0:1], s[12:13]
	s_cbranch_execnz .LBB61_19
; %bb.18:
	s_endpgm
.LBB61_19:
	s_add_u32 s0, s8, s10
	s_addc_u32 s1, s9, s11
	s_waitcnt vmcnt(3)
	global_store_short v2, v1, s[0:1] offset:768
	s_endpgm
.LBB61_20:
	global_store_short v[0:1], v6, off
	s_or_b64 exec, exec, s[6:7]
	v_cndmask_b32_e64 v3, v6, v4, s[0:1]
	s_and_saveexec_b64 s[6:7], s[0:1]
	s_cbranch_execz .LBB61_13
.LBB61_21:
	global_store_short_d16_hi v[0:1], v3, off offset:256
	s_or_b64 exec, exec, s[6:7]
	s_and_saveexec_b64 s[0:1], s[2:3]
	s_cbranch_execz .LBB61_14
.LBB61_22:
	v_cndmask_b32_e64 v3, 0, v5, s[2:3]
	global_store_short v[0:1], v3, off offset:512
	s_or_b64 exec, exec, s[0:1]
                                        ; implicit-def: $vgpr1
	s_and_saveexec_b64 s[0:1], s[4:5]
	s_cbranch_execnz .LBB61_15
	s_branch .LBB61_16
	.section	.rodata,"a",@progbits
	.p2align	6, 0x0
	.amdhsa_kernel _ZN7rocprim17ROCPRIM_304000_NS6detail16transform_kernelINS1_24wrapped_transform_configINS0_14default_configEsEEsPKsPsNS0_8identityIsEEEEvT1_mT2_T3_
		.amdhsa_group_segment_fixed_size 0
		.amdhsa_private_segment_fixed_size 0
		.amdhsa_kernarg_size 288
		.amdhsa_user_sgpr_count 2
		.amdhsa_user_sgpr_dispatch_ptr 0
		.amdhsa_user_sgpr_queue_ptr 0
		.amdhsa_user_sgpr_kernarg_segment_ptr 1
		.amdhsa_user_sgpr_dispatch_id 0
		.amdhsa_user_sgpr_kernarg_preload_length 0
		.amdhsa_user_sgpr_kernarg_preload_offset 0
		.amdhsa_user_sgpr_private_segment_size 0
		.amdhsa_uses_dynamic_stack 0
		.amdhsa_enable_private_segment 0
		.amdhsa_system_sgpr_workgroup_id_x 1
		.amdhsa_system_sgpr_workgroup_id_y 0
		.amdhsa_system_sgpr_workgroup_id_z 0
		.amdhsa_system_sgpr_workgroup_info 0
		.amdhsa_system_vgpr_workitem_id 0
		.amdhsa_next_free_vgpr 10
		.amdhsa_next_free_sgpr 15
		.amdhsa_accum_offset 12
		.amdhsa_reserve_vcc 1
		.amdhsa_float_round_mode_32 0
		.amdhsa_float_round_mode_16_64 0
		.amdhsa_float_denorm_mode_32 3
		.amdhsa_float_denorm_mode_16_64 3
		.amdhsa_dx10_clamp 1
		.amdhsa_ieee_mode 1
		.amdhsa_fp16_overflow 0
		.amdhsa_tg_split 0
		.amdhsa_exception_fp_ieee_invalid_op 0
		.amdhsa_exception_fp_denorm_src 0
		.amdhsa_exception_fp_ieee_div_zero 0
		.amdhsa_exception_fp_ieee_overflow 0
		.amdhsa_exception_fp_ieee_underflow 0
		.amdhsa_exception_fp_ieee_inexact 0
		.amdhsa_exception_int_div_zero 0
	.end_amdhsa_kernel
	.section	.text._ZN7rocprim17ROCPRIM_304000_NS6detail16transform_kernelINS1_24wrapped_transform_configINS0_14default_configEsEEsPKsPsNS0_8identityIsEEEEvT1_mT2_T3_,"axG",@progbits,_ZN7rocprim17ROCPRIM_304000_NS6detail16transform_kernelINS1_24wrapped_transform_configINS0_14default_configEsEEsPKsPsNS0_8identityIsEEEEvT1_mT2_T3_,comdat
.Lfunc_end61:
	.size	_ZN7rocprim17ROCPRIM_304000_NS6detail16transform_kernelINS1_24wrapped_transform_configINS0_14default_configEsEEsPKsPsNS0_8identityIsEEEEvT1_mT2_T3_, .Lfunc_end61-_ZN7rocprim17ROCPRIM_304000_NS6detail16transform_kernelINS1_24wrapped_transform_configINS0_14default_configEsEEsPKsPsNS0_8identityIsEEEEvT1_mT2_T3_
                                        ; -- End function
	.set _ZN7rocprim17ROCPRIM_304000_NS6detail16transform_kernelINS1_24wrapped_transform_configINS0_14default_configEsEEsPKsPsNS0_8identityIsEEEEvT1_mT2_T3_.num_vgpr, 10
	.set _ZN7rocprim17ROCPRIM_304000_NS6detail16transform_kernelINS1_24wrapped_transform_configINS0_14default_configEsEEsPKsPsNS0_8identityIsEEEEvT1_mT2_T3_.num_agpr, 0
	.set _ZN7rocprim17ROCPRIM_304000_NS6detail16transform_kernelINS1_24wrapped_transform_configINS0_14default_configEsEEsPKsPsNS0_8identityIsEEEEvT1_mT2_T3_.numbered_sgpr, 15
	.set _ZN7rocprim17ROCPRIM_304000_NS6detail16transform_kernelINS1_24wrapped_transform_configINS0_14default_configEsEEsPKsPsNS0_8identityIsEEEEvT1_mT2_T3_.num_named_barrier, 0
	.set _ZN7rocprim17ROCPRIM_304000_NS6detail16transform_kernelINS1_24wrapped_transform_configINS0_14default_configEsEEsPKsPsNS0_8identityIsEEEEvT1_mT2_T3_.private_seg_size, 0
	.set _ZN7rocprim17ROCPRIM_304000_NS6detail16transform_kernelINS1_24wrapped_transform_configINS0_14default_configEsEEsPKsPsNS0_8identityIsEEEEvT1_mT2_T3_.uses_vcc, 1
	.set _ZN7rocprim17ROCPRIM_304000_NS6detail16transform_kernelINS1_24wrapped_transform_configINS0_14default_configEsEEsPKsPsNS0_8identityIsEEEEvT1_mT2_T3_.uses_flat_scratch, 0
	.set _ZN7rocprim17ROCPRIM_304000_NS6detail16transform_kernelINS1_24wrapped_transform_configINS0_14default_configEsEEsPKsPsNS0_8identityIsEEEEvT1_mT2_T3_.has_dyn_sized_stack, 0
	.set _ZN7rocprim17ROCPRIM_304000_NS6detail16transform_kernelINS1_24wrapped_transform_configINS0_14default_configEsEEsPKsPsNS0_8identityIsEEEEvT1_mT2_T3_.has_recursion, 0
	.set _ZN7rocprim17ROCPRIM_304000_NS6detail16transform_kernelINS1_24wrapped_transform_configINS0_14default_configEsEEsPKsPsNS0_8identityIsEEEEvT1_mT2_T3_.has_indirect_call, 0
	.section	.AMDGPU.csdata,"",@progbits
; Kernel info:
; codeLenInByte = 608
; TotalNumSgprs: 21
; NumVgprs: 10
; NumAgprs: 0
; TotalNumVgprs: 10
; ScratchSize: 0
; MemoryBound: 0
; FloatMode: 240
; IeeeMode: 1
; LDSByteSize: 0 bytes/workgroup (compile time only)
; SGPRBlocks: 2
; VGPRBlocks: 1
; NumSGPRsForWavesPerEU: 21
; NumVGPRsForWavesPerEU: 10
; AccumOffset: 12
; Occupancy: 8
; WaveLimiterHint : 1
; COMPUTE_PGM_RSRC2:SCRATCH_EN: 0
; COMPUTE_PGM_RSRC2:USER_SGPR: 2
; COMPUTE_PGM_RSRC2:TRAP_HANDLER: 0
; COMPUTE_PGM_RSRC2:TGID_X_EN: 1
; COMPUTE_PGM_RSRC2:TGID_Y_EN: 0
; COMPUTE_PGM_RSRC2:TGID_Z_EN: 0
; COMPUTE_PGM_RSRC2:TIDIG_COMP_CNT: 0
; COMPUTE_PGM_RSRC3_GFX90A:ACCUM_OFFSET: 2
; COMPUTE_PGM_RSRC3_GFX90A:TG_SPLIT: 0
	.section	.text._ZN7rocprim17ROCPRIM_304000_NS6detail25onesweep_iteration_kernelINS1_34wrapped_radix_sort_onesweep_configINS0_14default_configEsN2at4cuda3cub6detail10OpaqueTypeILi8EEEEELb1EPKsPsPKSA_PSA_mNS0_19identity_decomposerEEEvT1_T2_T3_T4_jPT5_SO_PNS1_23onesweep_lookback_stateET6_jjj,"axG",@progbits,_ZN7rocprim17ROCPRIM_304000_NS6detail25onesweep_iteration_kernelINS1_34wrapped_radix_sort_onesweep_configINS0_14default_configEsN2at4cuda3cub6detail10OpaqueTypeILi8EEEEELb1EPKsPsPKSA_PSA_mNS0_19identity_decomposerEEEvT1_T2_T3_T4_jPT5_SO_PNS1_23onesweep_lookback_stateET6_jjj,comdat
	.protected	_ZN7rocprim17ROCPRIM_304000_NS6detail25onesweep_iteration_kernelINS1_34wrapped_radix_sort_onesweep_configINS0_14default_configEsN2at4cuda3cub6detail10OpaqueTypeILi8EEEEELb1EPKsPsPKSA_PSA_mNS0_19identity_decomposerEEEvT1_T2_T3_T4_jPT5_SO_PNS1_23onesweep_lookback_stateET6_jjj ; -- Begin function _ZN7rocprim17ROCPRIM_304000_NS6detail25onesweep_iteration_kernelINS1_34wrapped_radix_sort_onesweep_configINS0_14default_configEsN2at4cuda3cub6detail10OpaqueTypeILi8EEEEELb1EPKsPsPKSA_PSA_mNS0_19identity_decomposerEEEvT1_T2_T3_T4_jPT5_SO_PNS1_23onesweep_lookback_stateET6_jjj
	.globl	_ZN7rocprim17ROCPRIM_304000_NS6detail25onesweep_iteration_kernelINS1_34wrapped_radix_sort_onesweep_configINS0_14default_configEsN2at4cuda3cub6detail10OpaqueTypeILi8EEEEELb1EPKsPsPKSA_PSA_mNS0_19identity_decomposerEEEvT1_T2_T3_T4_jPT5_SO_PNS1_23onesweep_lookback_stateET6_jjj
	.p2align	8
	.type	_ZN7rocprim17ROCPRIM_304000_NS6detail25onesweep_iteration_kernelINS1_34wrapped_radix_sort_onesweep_configINS0_14default_configEsN2at4cuda3cub6detail10OpaqueTypeILi8EEEEELb1EPKsPsPKSA_PSA_mNS0_19identity_decomposerEEEvT1_T2_T3_T4_jPT5_SO_PNS1_23onesweep_lookback_stateET6_jjj,@function
_ZN7rocprim17ROCPRIM_304000_NS6detail25onesweep_iteration_kernelINS1_34wrapped_radix_sort_onesweep_configINS0_14default_configEsN2at4cuda3cub6detail10OpaqueTypeILi8EEEEELb1EPKsPsPKSA_PSA_mNS0_19identity_decomposerEEEvT1_T2_T3_T4_jPT5_SO_PNS1_23onesweep_lookback_stateET6_jjj: ; @_ZN7rocprim17ROCPRIM_304000_NS6detail25onesweep_iteration_kernelINS1_34wrapped_radix_sort_onesweep_configINS0_14default_configEsN2at4cuda3cub6detail10OpaqueTypeILi8EEEEELb1EPKsPsPKSA_PSA_mNS0_19identity_decomposerEEEvT1_T2_T3_T4_jPT5_SO_PNS1_23onesweep_lookback_stateET6_jjj
; %bb.0:
	s_load_dwordx8 s[76:83], s[0:1], 0x0
	s_load_dwordx4 s[88:91], s[0:1], 0x44
	s_load_dwordx4 s[84:87], s[0:1], 0x28
	s_load_dwordx2 s[94:95], s[0:1], 0x38
	s_mov_b32 s3, s2
	s_mov_b64 s[4:5], -1
	s_waitcnt lgkmcnt(0)
	s_cmp_ge_u32 s2, s90
	s_mul_i32 s92, s2, 0x1200
	v_mbcnt_lo_u32_b32 v1, -1, 0
	s_cbranch_scc0 .LBB62_218
; %bb.1:
	s_load_dword s6, s[0:1], 0x20
	s_mulk_i32 s90, 0xee00
	s_mov_b32 s93, 0
	s_lshl_b64 s[4:5], s[92:93], 1
	v_mbcnt_hi_u32_b32 v3, -1, v1
	s_waitcnt lgkmcnt(0)
	s_add_i32 s90, s90, s6
	s_add_u32 s4, s76, s4
	v_and_b32_e32 v19, 0xc0, v0
	s_addc_u32 s5, s77, s5
	v_mul_u32_u24_e32 v14, 18, v19
	v_mov_b32_e32 v5, 0
	v_lshlrev_b32_e32 v4, 1, v3
	v_lshl_add_u64 v[6:7], s[4:5], 0, v[4:5]
	v_lshlrev_b32_e32 v4, 1, v14
	v_lshl_add_u64 v[4:5], v[6:7], 0, v[4:5]
	v_or_b32_e32 v6, v3, v14
	v_cmp_gt_u32_e32 vcc, s90, v6
	v_mov_b32_e32 v8, -1
	v_mov_b32_e32 v9, -1
	s_and_saveexec_b64 s[4:5], vcc
	s_cbranch_execz .LBB62_3
; %bb.2:
	global_load_ushort v2, v[4:5], off
	s_waitcnt vmcnt(0)
	v_xor_b32_e32 v9, 0x7fff, v2
.LBB62_3:
	s_or_b64 exec, exec, s[4:5]
	v_add_u32_e32 v2, 64, v6
	v_cmp_gt_u32_e64 s[74:75], s90, v2
	s_and_saveexec_b64 s[4:5], s[74:75]
	s_cbranch_execz .LBB62_5
; %bb.4:
	global_load_ushort v2, v[4:5], off offset:128
	s_waitcnt vmcnt(0)
	v_xor_b32_e32 v8, 0x7fff, v2
.LBB62_5:
	s_or_b64 exec, exec, s[4:5]
	v_add_u32_e32 v2, 0x80, v6
	v_cmp_gt_u32_e64 s[4:5], s90, v2
	v_mov_b32_e32 v10, -1
	v_mov_b32_e32 v11, -1
	s_and_saveexec_b64 s[6:7], s[4:5]
	s_cbranch_execz .LBB62_7
; %bb.6:
	global_load_ushort v2, v[4:5], off offset:256
	s_waitcnt vmcnt(0)
	v_xor_b32_e32 v11, 0x7fff, v2
.LBB62_7:
	s_or_b64 exec, exec, s[6:7]
	v_add_u32_e32 v2, 0xc0, v6
	v_cmp_gt_u32_e64 s[10:11], s90, v2
	s_and_saveexec_b64 s[6:7], s[10:11]
	s_cbranch_execz .LBB62_9
; %bb.8:
	global_load_ushort v2, v[4:5], off offset:384
	s_waitcnt vmcnt(0)
	v_xor_b32_e32 v10, 0x7fff, v2
.LBB62_9:
	s_or_b64 exec, exec, s[6:7]
	v_add_u32_e32 v2, 0x100, v6
	v_cmp_gt_u32_e64 s[16:17], s90, v2
	v_mov_b32_e32 v12, -1
	v_mov_b32_e32 v13, -1
	s_and_saveexec_b64 s[6:7], s[16:17]
	s_cbranch_execz .LBB62_11
; %bb.10:
	global_load_ushort v2, v[4:5], off offset:512
	s_waitcnt vmcnt(0)
	v_xor_b32_e32 v13, 0x7fff, v2
.LBB62_11:
	;; [unrolled: 22-line block ×8, first 2 shown]
	s_or_b64 exec, exec, s[6:7]
	v_add_u32_e32 v6, 0x440, v6
	v_and_b32_e32 v2, 0x3ff, v0
	v_cmp_gt_u32_e64 s[6:7], s90, v6
	s_and_saveexec_b64 s[38:39], s[6:7]
	s_cbranch_execz .LBB62_37
; %bb.36:
	global_load_ushort v4, v[4:5], off offset:2176
	s_waitcnt vmcnt(0)
	v_xor_b32_e32 v26, 0x7fff, v4
.LBB62_37:
	s_or_b64 exec, exec, s[38:39]
	s_load_dword s38, s[0:1], 0x5c
	s_load_dword s33, s[0:1], 0x50
	s_add_u32 s39, s0, 0x50
	s_addc_u32 s40, s1, 0
	v_mov_b32_e32 v5, 0
	s_waitcnt lgkmcnt(0)
	s_lshr_b32 s41, s38, 16
	s_cmp_lt_u32 s2, s33
	s_cselect_b32 s38, 12, 18
	s_add_u32 s38, s39, s38
	s_addc_u32 s39, s40, 0
	global_load_ushort v29, v5, s[38:39]
	v_lshrrev_b32_sdwa v31, s88, v9 dst_sel:DWORD dst_unused:UNUSED_PAD src0_sel:DWORD src1_sel:WORD_0
	s_lshl_b32 s38, -1, s89
	v_bfe_u32 v4, v0, 10, 10
	v_bfe_u32 v7, v0, 20, 10
	v_bitop3_b32 v45, v31, s38, v31 bitop3:0x30
	v_mad_u32_u24 v44, v7, s41, v4
	v_and_b32_e32 v4, 1, v45
	v_lshlrev_b32_e32 v7, 30, v45
	v_mov_b32_e32 v6, v5
	v_mov_b32_e32 v32, v5
	s_not_b32 s96, s38
	v_lshlrev_b32_e32 v31, 29, v45
	v_lshlrev_b32_e32 v33, 28, v45
	v_lshl_add_u64 v[42:43], v[4:5], 0, -1
	v_cmp_ne_u32_e64 s[38:39], 0, v4
	v_not_b32_e32 v4, v7
	v_mov_b32_e32 v30, v5
	v_mov_b32_e32 v34, v5
	v_lshlrev_b32_e32 v35, 27, v45
	v_cmp_gt_i64_e64 s[40:41], 0, v[6:7]
	v_not_b32_e32 v6, v31
	v_cmp_gt_i64_e64 s[44:45], 0, v[32:33]
	v_not_b32_e32 v7, v33
	v_xor_b32_e32 v33, s39, v43
	v_ashrrev_i32_e32 v4, 31, v4
	v_mov_b32_e32 v36, v5
	v_lshlrev_b32_e32 v37, 26, v45
	v_cmp_gt_i64_e64 s[42:43], 0, v[30:31]
	v_cmp_gt_i64_e64 s[46:47], 0, v[34:35]
	v_not_b32_e32 v30, v35
	v_xor_b32_e32 v34, s38, v42
	v_ashrrev_i32_e32 v6, 31, v6
	v_and_b32_e32 v33, exec_hi, v33
	v_xor_b32_e32 v35, s41, v4
	v_cmp_gt_i64_e64 s[48:49], 0, v[36:37]
	v_ashrrev_i32_e32 v7, 31, v7
	v_and_b32_e32 v34, exec_lo, v34
	v_xor_b32_e32 v4, s40, v4
	v_xor_b32_e32 v36, s43, v6
	v_and_b32_e32 v33, v33, v35
	v_mov_b32_e32 v38, v5
	v_lshlrev_b32_e32 v39, 25, v45
	v_not_b32_e32 v31, v37
	v_ashrrev_i32_e32 v30, 31, v30
	v_xor_b32_e32 v6, s42, v6
	v_xor_b32_e32 v37, s45, v7
	v_and_b32_e32 v4, v34, v4
	v_and_b32_e32 v33, v33, v36
	v_cmp_gt_i64_e64 s[50:51], 0, v[38:39]
	v_not_b32_e32 v32, v39
	v_ashrrev_i32_e32 v31, 31, v31
	v_xor_b32_e32 v7, s44, v7
	v_xor_b32_e32 v38, s47, v30
	v_and_b32_e32 v4, v4, v6
	v_and_b32_e32 v6, v33, v37
	v_mov_b32_e32 v40, v5
	v_lshlrev_b32_e32 v41, 24, v45
	v_ashrrev_i32_e32 v32, 31, v32
	v_xor_b32_e32 v30, s46, v30
	v_xor_b32_e32 v39, s49, v31
	v_and_b32_e32 v4, v4, v7
	v_and_b32_e32 v6, v6, v38
	v_cmp_gt_i64_e64 s[52:53], 0, v[40:41]
	v_xor_b32_e32 v31, s48, v31
	v_xor_b32_e32 v40, s51, v32
	v_and_b32_e32 v4, v4, v30
	v_and_b32_e32 v6, v6, v39
	;; [unrolled: 1-line block ×4, first 2 shown]
	v_xor_b32_e32 v32, s50, v32
	v_and_b32_e32 v4, v4, v32
	v_mul_u32_u24_e32 v28, 20, v2
	ds_write2_b32 v28, v5, v5 offset0:4 offset1:5
	ds_write2_b32 v28, v5, v5 offset0:6 offset1:7
	ds_write_b32 v28, v5 offset:32
	s_waitcnt lgkmcnt(0)
	s_barrier
	s_waitcnt vmcnt(0)
	; wave barrier
	v_mad_u64_u32 v[6:7], s[38:39], v44, v29, v[2:3]
	v_lshrrev_b32_e32 v6, 6, v6
	v_lshlrev_b32_e32 v38, 2, v6
	v_not_b32_e32 v6, v41
	v_ashrrev_i32_e32 v6, 31, v6
	v_xor_b32_e32 v7, s53, v6
	v_xor_b32_e32 v6, s52, v6
	v_and_b32_e32 v6, v4, v6
	v_and_b32_e32 v7, v31, v7
	v_mbcnt_lo_u32_b32 v4, v6, 0
	v_mbcnt_hi_u32_b32 v29, v7, v4
	v_cmp_eq_u32_e64 s[38:39], 0, v29
	v_cmp_ne_u64_e64 s[40:41], 0, v[6:7]
	v_mad_u32_u24 v30, v45, 20, v38
	s_and_b64 s[40:41], s[40:41], s[38:39]
	s_and_saveexec_b64 s[38:39], s[40:41]
; %bb.38:
	v_bcnt_u32_b32 v4, v6, 0
	v_bcnt_u32_b32 v4, v7, v4
	ds_write_b32 v30, v4 offset:16
; %bb.39:
	s_or_b64 exec, exec, s[38:39]
	v_lshrrev_b32_sdwa v4, s88, v8 dst_sel:DWORD dst_unused:UNUSED_PAD src0_sel:DWORD src1_sel:WORD_0
	v_and_b32_e32 v33, s96, v4
	v_and_b32_e32 v4, 1, v33
	v_lshl_add_u64 v[6:7], v[4:5], 0, -1
	v_cmp_ne_u32_e64 s[38:39], 0, v4
	v_mad_u32_u24 v32, v33, 20, v38
	s_nop 0
	v_xor_b32_e32 v6, s38, v6
	v_xor_b32_e32 v4, s39, v7
	v_and_b32_e32 v34, exec_lo, v6
	v_lshlrev_b32_e32 v7, 30, v33
	v_mov_b32_e32 v6, v5
	v_cmp_gt_i64_e64 s[38:39], 0, v[6:7]
	v_not_b32_e32 v6, v7
	v_ashrrev_i32_e32 v6, 31, v6
	v_and_b32_e32 v4, exec_hi, v4
	v_xor_b32_e32 v7, s39, v6
	v_xor_b32_e32 v6, s38, v6
	v_and_b32_e32 v4, v4, v7
	v_and_b32_e32 v34, v34, v6
	v_lshlrev_b32_e32 v7, 29, v33
	v_mov_b32_e32 v6, v5
	v_cmp_gt_i64_e64 s[38:39], 0, v[6:7]
	v_not_b32_e32 v6, v7
	v_ashrrev_i32_e32 v6, 31, v6
	v_xor_b32_e32 v7, s39, v6
	v_xor_b32_e32 v6, s38, v6
	v_and_b32_e32 v4, v4, v7
	v_and_b32_e32 v34, v34, v6
	v_lshlrev_b32_e32 v7, 28, v33
	v_mov_b32_e32 v6, v5
	v_cmp_gt_i64_e64 s[38:39], 0, v[6:7]
	v_not_b32_e32 v6, v7
	v_ashrrev_i32_e32 v6, 31, v6
	;; [unrolled: 9-line block ×5, first 2 shown]
	v_xor_b32_e32 v7, s39, v6
	v_xor_b32_e32 v6, s38, v6
	v_and_b32_e32 v4, v4, v7
	v_lshlrev_b32_e32 v7, 24, v33
	v_and_b32_e32 v34, v34, v6
	v_mov_b32_e32 v6, v5
	v_not_b32_e32 v5, v7
	v_cmp_gt_i64_e64 s[38:39], 0, v[6:7]
	v_ashrrev_i32_e32 v5, 31, v5
	; wave barrier
	s_nop 0
	v_xor_b32_e32 v6, s39, v5
	v_xor_b32_e32 v7, s38, v5
	ds_read_b32 v31, v32 offset:16
	v_and_b32_e32 v5, v4, v6
	v_and_b32_e32 v4, v34, v7
	v_mbcnt_lo_u32_b32 v6, v4, 0
	v_mbcnt_hi_u32_b32 v33, v5, v6
	v_cmp_eq_u32_e64 s[38:39], 0, v33
	v_cmp_ne_u64_e64 s[40:41], 0, v[4:5]
	s_and_b64 s[40:41], s[40:41], s[38:39]
	; wave barrier
	s_and_saveexec_b64 s[38:39], s[40:41]
	s_cbranch_execz .LBB62_41
; %bb.40:
	v_bcnt_u32_b32 v4, v4, 0
	v_bcnt_u32_b32 v4, v5, v4
	s_waitcnt lgkmcnt(0)
	v_add_u32_e32 v4, v31, v4
	ds_write_b32 v32, v4 offset:16
.LBB62_41:
	s_or_b64 exec, exec, s[38:39]
	v_lshrrev_b32_sdwa v4, s88, v11 dst_sel:DWORD dst_unused:UNUSED_PAD src0_sel:DWORD src1_sel:WORD_0
	v_and_b32_e32 v36, s96, v4
	v_and_b32_e32 v4, 1, v36
	v_mov_b32_e32 v5, 0
	v_lshl_add_u64 v[6:7], v[4:5], 0, -1
	v_cmp_ne_u32_e64 s[38:39], 0, v4
	v_mad_u32_u24 v35, v36, 20, v38
	s_nop 0
	v_xor_b32_e32 v6, s38, v6
	v_xor_b32_e32 v4, s39, v7
	v_and_b32_e32 v37, exec_lo, v6
	v_lshlrev_b32_e32 v7, 30, v36
	v_mov_b32_e32 v6, v5
	v_cmp_gt_i64_e64 s[38:39], 0, v[6:7]
	v_not_b32_e32 v6, v7
	v_ashrrev_i32_e32 v6, 31, v6
	v_and_b32_e32 v4, exec_hi, v4
	v_xor_b32_e32 v7, s39, v6
	v_xor_b32_e32 v6, s38, v6
	v_and_b32_e32 v4, v4, v7
	v_and_b32_e32 v37, v37, v6
	v_lshlrev_b32_e32 v7, 29, v36
	v_mov_b32_e32 v6, v5
	v_cmp_gt_i64_e64 s[38:39], 0, v[6:7]
	v_not_b32_e32 v6, v7
	v_ashrrev_i32_e32 v6, 31, v6
	v_xor_b32_e32 v7, s39, v6
	v_xor_b32_e32 v6, s38, v6
	v_and_b32_e32 v4, v4, v7
	v_and_b32_e32 v37, v37, v6
	v_lshlrev_b32_e32 v7, 28, v36
	v_mov_b32_e32 v6, v5
	v_cmp_gt_i64_e64 s[38:39], 0, v[6:7]
	v_not_b32_e32 v6, v7
	v_ashrrev_i32_e32 v6, 31, v6
	;; [unrolled: 9-line block ×6, first 2 shown]
	v_xor_b32_e32 v7, s39, v6
	v_xor_b32_e32 v6, s38, v6
	; wave barrier
	ds_read_b32 v34, v35 offset:16
	v_and_b32_e32 v6, v37, v6
	v_and_b32_e32 v7, v4, v7
	v_mbcnt_lo_u32_b32 v4, v6, 0
	v_mbcnt_hi_u32_b32 v36, v7, v4
	v_cmp_eq_u32_e64 s[38:39], 0, v36
	v_cmp_ne_u64_e64 s[40:41], 0, v[6:7]
	s_and_b64 s[40:41], s[40:41], s[38:39]
	; wave barrier
	s_and_saveexec_b64 s[38:39], s[40:41]
	s_cbranch_execz .LBB62_43
; %bb.42:
	v_bcnt_u32_b32 v4, v6, 0
	v_bcnt_u32_b32 v4, v7, v4
	s_waitcnt lgkmcnt(0)
	v_add_u32_e32 v4, v34, v4
	ds_write_b32 v35, v4 offset:16
.LBB62_43:
	s_or_b64 exec, exec, s[38:39]
	v_lshrrev_b32_sdwa v4, s88, v10 dst_sel:DWORD dst_unused:UNUSED_PAD src0_sel:DWORD src1_sel:WORD_0
	v_and_b32_e32 v40, s96, v4
	v_and_b32_e32 v4, 1, v40
	v_lshl_add_u64 v[6:7], v[4:5], 0, -1
	v_cmp_ne_u32_e64 s[38:39], 0, v4
	v_mad_u32_u24 v39, v40, 20, v38
	s_nop 0
	v_xor_b32_e32 v6, s38, v6
	v_xor_b32_e32 v4, s39, v7
	v_and_b32_e32 v41, exec_lo, v6
	v_lshlrev_b32_e32 v7, 30, v40
	v_mov_b32_e32 v6, v5
	v_cmp_gt_i64_e64 s[38:39], 0, v[6:7]
	v_not_b32_e32 v6, v7
	v_ashrrev_i32_e32 v6, 31, v6
	v_and_b32_e32 v4, exec_hi, v4
	v_xor_b32_e32 v7, s39, v6
	v_xor_b32_e32 v6, s38, v6
	v_and_b32_e32 v4, v4, v7
	v_and_b32_e32 v41, v41, v6
	v_lshlrev_b32_e32 v7, 29, v40
	v_mov_b32_e32 v6, v5
	v_cmp_gt_i64_e64 s[38:39], 0, v[6:7]
	v_not_b32_e32 v6, v7
	v_ashrrev_i32_e32 v6, 31, v6
	v_xor_b32_e32 v7, s39, v6
	v_xor_b32_e32 v6, s38, v6
	v_and_b32_e32 v4, v4, v7
	v_and_b32_e32 v41, v41, v6
	v_lshlrev_b32_e32 v7, 28, v40
	v_mov_b32_e32 v6, v5
	v_cmp_gt_i64_e64 s[38:39], 0, v[6:7]
	v_not_b32_e32 v6, v7
	v_ashrrev_i32_e32 v6, 31, v6
	;; [unrolled: 9-line block ×5, first 2 shown]
	v_xor_b32_e32 v7, s39, v6
	v_xor_b32_e32 v6, s38, v6
	v_and_b32_e32 v4, v4, v7
	v_lshlrev_b32_e32 v7, 24, v40
	v_and_b32_e32 v41, v41, v6
	v_mov_b32_e32 v6, v5
	v_not_b32_e32 v5, v7
	v_cmp_gt_i64_e64 s[38:39], 0, v[6:7]
	v_ashrrev_i32_e32 v5, 31, v5
	; wave barrier
	s_nop 0
	v_xor_b32_e32 v6, s39, v5
	v_xor_b32_e32 v7, s38, v5
	ds_read_b32 v37, v39 offset:16
	v_and_b32_e32 v5, v4, v6
	v_and_b32_e32 v4, v41, v7
	v_mbcnt_lo_u32_b32 v6, v4, 0
	v_mbcnt_hi_u32_b32 v40, v5, v6
	v_cmp_eq_u32_e64 s[38:39], 0, v40
	v_cmp_ne_u64_e64 s[40:41], 0, v[4:5]
	s_and_b64 s[40:41], s[40:41], s[38:39]
	; wave barrier
	s_and_saveexec_b64 s[38:39], s[40:41]
	s_cbranch_execz .LBB62_45
; %bb.44:
	v_bcnt_u32_b32 v4, v4, 0
	v_bcnt_u32_b32 v4, v5, v4
	s_waitcnt lgkmcnt(0)
	v_add_u32_e32 v4, v37, v4
	ds_write_b32 v39, v4 offset:16
.LBB62_45:
	s_or_b64 exec, exec, s[38:39]
	v_lshrrev_b32_sdwa v4, s88, v13 dst_sel:DWORD dst_unused:UNUSED_PAD src0_sel:DWORD src1_sel:WORD_0
	v_and_b32_e32 v43, s96, v4
	v_and_b32_e32 v4, 1, v43
	v_mov_b32_e32 v5, 0
	v_lshl_add_u64 v[6:7], v[4:5], 0, -1
	v_cmp_ne_u32_e64 s[38:39], 0, v4
	v_mad_u32_u24 v42, v43, 20, v38
	s_nop 0
	v_xor_b32_e32 v6, s38, v6
	v_xor_b32_e32 v4, s39, v7
	v_and_b32_e32 v44, exec_lo, v6
	v_lshlrev_b32_e32 v7, 30, v43
	v_mov_b32_e32 v6, v5
	v_cmp_gt_i64_e64 s[38:39], 0, v[6:7]
	v_not_b32_e32 v6, v7
	v_ashrrev_i32_e32 v6, 31, v6
	v_and_b32_e32 v4, exec_hi, v4
	v_xor_b32_e32 v7, s39, v6
	v_xor_b32_e32 v6, s38, v6
	v_and_b32_e32 v4, v4, v7
	v_and_b32_e32 v44, v44, v6
	v_lshlrev_b32_e32 v7, 29, v43
	v_mov_b32_e32 v6, v5
	v_cmp_gt_i64_e64 s[38:39], 0, v[6:7]
	v_not_b32_e32 v6, v7
	v_ashrrev_i32_e32 v6, 31, v6
	v_xor_b32_e32 v7, s39, v6
	v_xor_b32_e32 v6, s38, v6
	v_and_b32_e32 v4, v4, v7
	v_and_b32_e32 v44, v44, v6
	v_lshlrev_b32_e32 v7, 28, v43
	v_mov_b32_e32 v6, v5
	v_cmp_gt_i64_e64 s[38:39], 0, v[6:7]
	v_not_b32_e32 v6, v7
	v_ashrrev_i32_e32 v6, 31, v6
	;; [unrolled: 9-line block ×6, first 2 shown]
	v_xor_b32_e32 v7, s39, v6
	v_xor_b32_e32 v6, s38, v6
	; wave barrier
	ds_read_b32 v41, v42 offset:16
	v_and_b32_e32 v6, v44, v6
	v_and_b32_e32 v7, v4, v7
	v_mbcnt_lo_u32_b32 v4, v6, 0
	v_mbcnt_hi_u32_b32 v43, v7, v4
	v_cmp_eq_u32_e64 s[38:39], 0, v43
	v_cmp_ne_u64_e64 s[40:41], 0, v[6:7]
	s_and_b64 s[40:41], s[40:41], s[38:39]
	; wave barrier
	s_and_saveexec_b64 s[38:39], s[40:41]
	s_cbranch_execz .LBB62_47
; %bb.46:
	v_bcnt_u32_b32 v4, v6, 0
	v_bcnt_u32_b32 v4, v7, v4
	s_waitcnt lgkmcnt(0)
	v_add_u32_e32 v4, v41, v4
	ds_write_b32 v42, v4 offset:16
.LBB62_47:
	s_or_b64 exec, exec, s[38:39]
	v_lshrrev_b32_sdwa v4, s88, v12 dst_sel:DWORD dst_unused:UNUSED_PAD src0_sel:DWORD src1_sel:WORD_0
	v_and_b32_e32 v46, s96, v4
	v_and_b32_e32 v4, 1, v46
	v_lshl_add_u64 v[6:7], v[4:5], 0, -1
	v_cmp_ne_u32_e64 s[38:39], 0, v4
	v_mad_u32_u24 v45, v46, 20, v38
	s_nop 0
	v_xor_b32_e32 v6, s38, v6
	v_xor_b32_e32 v4, s39, v7
	v_and_b32_e32 v47, exec_lo, v6
	v_lshlrev_b32_e32 v7, 30, v46
	v_mov_b32_e32 v6, v5
	v_cmp_gt_i64_e64 s[38:39], 0, v[6:7]
	v_not_b32_e32 v6, v7
	v_ashrrev_i32_e32 v6, 31, v6
	v_and_b32_e32 v4, exec_hi, v4
	v_xor_b32_e32 v7, s39, v6
	v_xor_b32_e32 v6, s38, v6
	v_and_b32_e32 v4, v4, v7
	v_and_b32_e32 v47, v47, v6
	v_lshlrev_b32_e32 v7, 29, v46
	v_mov_b32_e32 v6, v5
	v_cmp_gt_i64_e64 s[38:39], 0, v[6:7]
	v_not_b32_e32 v6, v7
	v_ashrrev_i32_e32 v6, 31, v6
	v_xor_b32_e32 v7, s39, v6
	v_xor_b32_e32 v6, s38, v6
	v_and_b32_e32 v4, v4, v7
	v_and_b32_e32 v47, v47, v6
	v_lshlrev_b32_e32 v7, 28, v46
	v_mov_b32_e32 v6, v5
	v_cmp_gt_i64_e64 s[38:39], 0, v[6:7]
	v_not_b32_e32 v6, v7
	v_ashrrev_i32_e32 v6, 31, v6
	;; [unrolled: 9-line block ×5, first 2 shown]
	v_xor_b32_e32 v7, s39, v6
	v_xor_b32_e32 v6, s38, v6
	v_and_b32_e32 v4, v4, v7
	v_lshlrev_b32_e32 v7, 24, v46
	v_and_b32_e32 v47, v47, v6
	v_mov_b32_e32 v6, v5
	v_not_b32_e32 v5, v7
	v_cmp_gt_i64_e64 s[38:39], 0, v[6:7]
	v_ashrrev_i32_e32 v5, 31, v5
	; wave barrier
	s_nop 0
	v_xor_b32_e32 v6, s39, v5
	v_xor_b32_e32 v7, s38, v5
	ds_read_b32 v44, v45 offset:16
	v_and_b32_e32 v5, v4, v6
	v_and_b32_e32 v4, v47, v7
	v_mbcnt_lo_u32_b32 v6, v4, 0
	v_mbcnt_hi_u32_b32 v46, v5, v6
	v_cmp_eq_u32_e64 s[38:39], 0, v46
	v_cmp_ne_u64_e64 s[40:41], 0, v[4:5]
	s_and_b64 s[40:41], s[40:41], s[38:39]
	; wave barrier
	s_and_saveexec_b64 s[38:39], s[40:41]
	s_cbranch_execz .LBB62_49
; %bb.48:
	v_bcnt_u32_b32 v4, v4, 0
	v_bcnt_u32_b32 v4, v5, v4
	s_waitcnt lgkmcnt(0)
	v_add_u32_e32 v4, v44, v4
	ds_write_b32 v45, v4 offset:16
.LBB62_49:
	s_or_b64 exec, exec, s[38:39]
	v_lshrrev_b32_sdwa v4, s88, v16 dst_sel:DWORD dst_unused:UNUSED_PAD src0_sel:DWORD src1_sel:WORD_0
	v_and_b32_e32 v49, s96, v4
	v_and_b32_e32 v4, 1, v49
	v_mov_b32_e32 v5, 0
	v_lshl_add_u64 v[6:7], v[4:5], 0, -1
	v_cmp_ne_u32_e64 s[38:39], 0, v4
	v_mad_u32_u24 v48, v49, 20, v38
	s_nop 0
	v_xor_b32_e32 v6, s38, v6
	v_xor_b32_e32 v4, s39, v7
	v_and_b32_e32 v50, exec_lo, v6
	v_lshlrev_b32_e32 v7, 30, v49
	v_mov_b32_e32 v6, v5
	v_cmp_gt_i64_e64 s[38:39], 0, v[6:7]
	v_not_b32_e32 v6, v7
	v_ashrrev_i32_e32 v6, 31, v6
	v_and_b32_e32 v4, exec_hi, v4
	v_xor_b32_e32 v7, s39, v6
	v_xor_b32_e32 v6, s38, v6
	v_and_b32_e32 v4, v4, v7
	v_and_b32_e32 v50, v50, v6
	v_lshlrev_b32_e32 v7, 29, v49
	v_mov_b32_e32 v6, v5
	v_cmp_gt_i64_e64 s[38:39], 0, v[6:7]
	v_not_b32_e32 v6, v7
	v_ashrrev_i32_e32 v6, 31, v6
	v_xor_b32_e32 v7, s39, v6
	v_xor_b32_e32 v6, s38, v6
	v_and_b32_e32 v4, v4, v7
	v_and_b32_e32 v50, v50, v6
	v_lshlrev_b32_e32 v7, 28, v49
	v_mov_b32_e32 v6, v5
	v_cmp_gt_i64_e64 s[38:39], 0, v[6:7]
	v_not_b32_e32 v6, v7
	v_ashrrev_i32_e32 v6, 31, v6
	;; [unrolled: 9-line block ×6, first 2 shown]
	v_xor_b32_e32 v7, s39, v6
	v_xor_b32_e32 v6, s38, v6
	; wave barrier
	ds_read_b32 v47, v48 offset:16
	v_and_b32_e32 v6, v50, v6
	v_and_b32_e32 v7, v4, v7
	v_mbcnt_lo_u32_b32 v4, v6, 0
	v_mbcnt_hi_u32_b32 v49, v7, v4
	v_cmp_eq_u32_e64 s[38:39], 0, v49
	v_cmp_ne_u64_e64 s[40:41], 0, v[6:7]
	s_and_b64 s[40:41], s[40:41], s[38:39]
	; wave barrier
	s_and_saveexec_b64 s[38:39], s[40:41]
	s_cbranch_execz .LBB62_51
; %bb.50:
	v_bcnt_u32_b32 v4, v6, 0
	v_bcnt_u32_b32 v4, v7, v4
	s_waitcnt lgkmcnt(0)
	v_add_u32_e32 v4, v47, v4
	ds_write_b32 v48, v4 offset:16
.LBB62_51:
	s_or_b64 exec, exec, s[38:39]
	v_lshrrev_b32_sdwa v4, s88, v15 dst_sel:DWORD dst_unused:UNUSED_PAD src0_sel:DWORD src1_sel:WORD_0
	v_and_b32_e32 v52, s96, v4
	v_and_b32_e32 v4, 1, v52
	v_lshl_add_u64 v[6:7], v[4:5], 0, -1
	v_cmp_ne_u32_e64 s[38:39], 0, v4
	v_mad_u32_u24 v51, v52, 20, v38
	s_nop 0
	v_xor_b32_e32 v6, s38, v6
	v_xor_b32_e32 v4, s39, v7
	v_and_b32_e32 v53, exec_lo, v6
	v_lshlrev_b32_e32 v7, 30, v52
	v_mov_b32_e32 v6, v5
	v_cmp_gt_i64_e64 s[38:39], 0, v[6:7]
	v_not_b32_e32 v6, v7
	v_ashrrev_i32_e32 v6, 31, v6
	v_and_b32_e32 v4, exec_hi, v4
	v_xor_b32_e32 v7, s39, v6
	v_xor_b32_e32 v6, s38, v6
	v_and_b32_e32 v4, v4, v7
	v_and_b32_e32 v53, v53, v6
	v_lshlrev_b32_e32 v7, 29, v52
	v_mov_b32_e32 v6, v5
	v_cmp_gt_i64_e64 s[38:39], 0, v[6:7]
	v_not_b32_e32 v6, v7
	v_ashrrev_i32_e32 v6, 31, v6
	v_xor_b32_e32 v7, s39, v6
	v_xor_b32_e32 v6, s38, v6
	v_and_b32_e32 v4, v4, v7
	v_and_b32_e32 v53, v53, v6
	v_lshlrev_b32_e32 v7, 28, v52
	v_mov_b32_e32 v6, v5
	v_cmp_gt_i64_e64 s[38:39], 0, v[6:7]
	v_not_b32_e32 v6, v7
	v_ashrrev_i32_e32 v6, 31, v6
	;; [unrolled: 9-line block ×5, first 2 shown]
	v_xor_b32_e32 v7, s39, v6
	v_xor_b32_e32 v6, s38, v6
	v_and_b32_e32 v4, v4, v7
	v_lshlrev_b32_e32 v7, 24, v52
	v_and_b32_e32 v53, v53, v6
	v_mov_b32_e32 v6, v5
	v_not_b32_e32 v5, v7
	v_cmp_gt_i64_e64 s[38:39], 0, v[6:7]
	v_ashrrev_i32_e32 v5, 31, v5
	; wave barrier
	s_nop 0
	v_xor_b32_e32 v6, s39, v5
	v_xor_b32_e32 v7, s38, v5
	ds_read_b32 v50, v51 offset:16
	v_and_b32_e32 v5, v4, v6
	v_and_b32_e32 v4, v53, v7
	v_mbcnt_lo_u32_b32 v6, v4, 0
	v_mbcnt_hi_u32_b32 v52, v5, v6
	v_cmp_eq_u32_e64 s[38:39], 0, v52
	v_cmp_ne_u64_e64 s[40:41], 0, v[4:5]
	s_and_b64 s[40:41], s[40:41], s[38:39]
	; wave barrier
	s_and_saveexec_b64 s[38:39], s[40:41]
	s_cbranch_execz .LBB62_53
; %bb.52:
	v_bcnt_u32_b32 v4, v4, 0
	v_bcnt_u32_b32 v4, v5, v4
	s_waitcnt lgkmcnt(0)
	v_add_u32_e32 v4, v50, v4
	ds_write_b32 v51, v4 offset:16
.LBB62_53:
	s_or_b64 exec, exec, s[38:39]
	v_lshrrev_b32_sdwa v4, s88, v18 dst_sel:DWORD dst_unused:UNUSED_PAD src0_sel:DWORD src1_sel:WORD_0
	v_and_b32_e32 v55, s96, v4
	v_and_b32_e32 v4, 1, v55
	v_mov_b32_e32 v5, 0
	v_lshl_add_u64 v[6:7], v[4:5], 0, -1
	v_cmp_ne_u32_e64 s[38:39], 0, v4
	v_mad_u32_u24 v54, v55, 20, v38
	s_nop 0
	v_xor_b32_e32 v6, s38, v6
	v_xor_b32_e32 v4, s39, v7
	v_and_b32_e32 v56, exec_lo, v6
	v_lshlrev_b32_e32 v7, 30, v55
	v_mov_b32_e32 v6, v5
	v_cmp_gt_i64_e64 s[38:39], 0, v[6:7]
	v_not_b32_e32 v6, v7
	v_ashrrev_i32_e32 v6, 31, v6
	v_and_b32_e32 v4, exec_hi, v4
	v_xor_b32_e32 v7, s39, v6
	v_xor_b32_e32 v6, s38, v6
	v_and_b32_e32 v4, v4, v7
	v_and_b32_e32 v56, v56, v6
	v_lshlrev_b32_e32 v7, 29, v55
	v_mov_b32_e32 v6, v5
	v_cmp_gt_i64_e64 s[38:39], 0, v[6:7]
	v_not_b32_e32 v6, v7
	v_ashrrev_i32_e32 v6, 31, v6
	v_xor_b32_e32 v7, s39, v6
	v_xor_b32_e32 v6, s38, v6
	v_and_b32_e32 v4, v4, v7
	v_and_b32_e32 v56, v56, v6
	v_lshlrev_b32_e32 v7, 28, v55
	v_mov_b32_e32 v6, v5
	v_cmp_gt_i64_e64 s[38:39], 0, v[6:7]
	v_not_b32_e32 v6, v7
	v_ashrrev_i32_e32 v6, 31, v6
	;; [unrolled: 9-line block ×6, first 2 shown]
	v_xor_b32_e32 v7, s39, v6
	v_xor_b32_e32 v6, s38, v6
	; wave barrier
	ds_read_b32 v53, v54 offset:16
	v_and_b32_e32 v6, v56, v6
	v_and_b32_e32 v7, v4, v7
	v_mbcnt_lo_u32_b32 v4, v6, 0
	v_mbcnt_hi_u32_b32 v55, v7, v4
	v_cmp_eq_u32_e64 s[38:39], 0, v55
	v_cmp_ne_u64_e64 s[40:41], 0, v[6:7]
	s_and_b64 s[40:41], s[40:41], s[38:39]
	; wave barrier
	s_and_saveexec_b64 s[38:39], s[40:41]
	s_cbranch_execz .LBB62_55
; %bb.54:
	v_bcnt_u32_b32 v4, v6, 0
	v_bcnt_u32_b32 v4, v7, v4
	s_waitcnt lgkmcnt(0)
	v_add_u32_e32 v4, v53, v4
	ds_write_b32 v54, v4 offset:16
.LBB62_55:
	s_or_b64 exec, exec, s[38:39]
	v_lshrrev_b32_sdwa v4, s88, v17 dst_sel:DWORD dst_unused:UNUSED_PAD src0_sel:DWORD src1_sel:WORD_0
	v_and_b32_e32 v58, s96, v4
	v_and_b32_e32 v4, 1, v58
	v_lshl_add_u64 v[6:7], v[4:5], 0, -1
	v_cmp_ne_u32_e64 s[38:39], 0, v4
	v_mad_u32_u24 v57, v58, 20, v38
	s_nop 0
	v_xor_b32_e32 v6, s38, v6
	v_xor_b32_e32 v4, s39, v7
	v_and_b32_e32 v59, exec_lo, v6
	v_lshlrev_b32_e32 v7, 30, v58
	v_mov_b32_e32 v6, v5
	v_cmp_gt_i64_e64 s[38:39], 0, v[6:7]
	v_not_b32_e32 v6, v7
	v_ashrrev_i32_e32 v6, 31, v6
	v_and_b32_e32 v4, exec_hi, v4
	v_xor_b32_e32 v7, s39, v6
	v_xor_b32_e32 v6, s38, v6
	v_and_b32_e32 v4, v4, v7
	v_and_b32_e32 v59, v59, v6
	v_lshlrev_b32_e32 v7, 29, v58
	v_mov_b32_e32 v6, v5
	v_cmp_gt_i64_e64 s[38:39], 0, v[6:7]
	v_not_b32_e32 v6, v7
	v_ashrrev_i32_e32 v6, 31, v6
	v_xor_b32_e32 v7, s39, v6
	v_xor_b32_e32 v6, s38, v6
	v_and_b32_e32 v4, v4, v7
	v_and_b32_e32 v59, v59, v6
	v_lshlrev_b32_e32 v7, 28, v58
	v_mov_b32_e32 v6, v5
	v_cmp_gt_i64_e64 s[38:39], 0, v[6:7]
	v_not_b32_e32 v6, v7
	v_ashrrev_i32_e32 v6, 31, v6
	v_xor_b32_e32 v7, s39, v6
	v_xor_b32_e32 v6, s38, v6
	v_and_b32_e32 v4, v4, v7
	v_and_b32_e32 v59, v59, v6
	v_lshlrev_b32_e32 v7, 27, v58
	v_mov_b32_e32 v6, v5
	v_cmp_gt_i64_e64 s[38:39], 0, v[6:7]
	v_not_b32_e32 v6, v7
	v_ashrrev_i32_e32 v6, 31, v6
	v_xor_b32_e32 v7, s39, v6
	v_xor_b32_e32 v6, s38, v6
	v_and_b32_e32 v4, v4, v7
	v_and_b32_e32 v59, v59, v6
	v_lshlrev_b32_e32 v7, 26, v58
	v_mov_b32_e32 v6, v5
	v_cmp_gt_i64_e64 s[38:39], 0, v[6:7]
	v_not_b32_e32 v6, v7
	v_ashrrev_i32_e32 v6, 31, v6
	v_xor_b32_e32 v7, s39, v6
	v_xor_b32_e32 v6, s38, v6
	v_and_b32_e32 v4, v4, v7
	v_and_b32_e32 v59, v59, v6
	v_lshlrev_b32_e32 v7, 25, v58
	v_mov_b32_e32 v6, v5
	v_cmp_gt_i64_e64 s[38:39], 0, v[6:7]
	v_not_b32_e32 v6, v7
	v_ashrrev_i32_e32 v6, 31, v6
	v_xor_b32_e32 v7, s39, v6
	v_xor_b32_e32 v6, s38, v6
	v_and_b32_e32 v4, v4, v7
	v_lshlrev_b32_e32 v7, 24, v58
	v_and_b32_e32 v59, v59, v6
	v_mov_b32_e32 v6, v5
	v_not_b32_e32 v5, v7
	v_cmp_gt_i64_e64 s[38:39], 0, v[6:7]
	v_ashrrev_i32_e32 v5, 31, v5
	; wave barrier
	s_nop 0
	v_xor_b32_e32 v6, s39, v5
	v_xor_b32_e32 v7, s38, v5
	ds_read_b32 v56, v57 offset:16
	v_and_b32_e32 v5, v4, v6
	v_and_b32_e32 v4, v59, v7
	v_mbcnt_lo_u32_b32 v6, v4, 0
	v_mbcnt_hi_u32_b32 v58, v5, v6
	v_cmp_eq_u32_e64 s[38:39], 0, v58
	v_cmp_ne_u64_e64 s[40:41], 0, v[4:5]
	s_and_b64 s[40:41], s[40:41], s[38:39]
	; wave barrier
	s_and_saveexec_b64 s[38:39], s[40:41]
	s_cbranch_execz .LBB62_57
; %bb.56:
	v_bcnt_u32_b32 v4, v4, 0
	v_bcnt_u32_b32 v4, v5, v4
	s_waitcnt lgkmcnt(0)
	v_add_u32_e32 v4, v56, v4
	ds_write_b32 v57, v4 offset:16
.LBB62_57:
	s_or_b64 exec, exec, s[38:39]
	v_lshrrev_b32_sdwa v4, s88, v21 dst_sel:DWORD dst_unused:UNUSED_PAD src0_sel:DWORD src1_sel:WORD_0
	v_and_b32_e32 v61, s96, v4
	v_and_b32_e32 v4, 1, v61
	v_mov_b32_e32 v5, 0
	v_lshl_add_u64 v[6:7], v[4:5], 0, -1
	v_cmp_ne_u32_e64 s[38:39], 0, v4
	v_mad_u32_u24 v60, v61, 20, v38
	s_nop 0
	v_xor_b32_e32 v6, s38, v6
	v_xor_b32_e32 v4, s39, v7
	v_and_b32_e32 v62, exec_lo, v6
	v_lshlrev_b32_e32 v7, 30, v61
	v_mov_b32_e32 v6, v5
	v_cmp_gt_i64_e64 s[38:39], 0, v[6:7]
	v_not_b32_e32 v6, v7
	v_ashrrev_i32_e32 v6, 31, v6
	v_and_b32_e32 v4, exec_hi, v4
	v_xor_b32_e32 v7, s39, v6
	v_xor_b32_e32 v6, s38, v6
	v_and_b32_e32 v4, v4, v7
	v_and_b32_e32 v62, v62, v6
	v_lshlrev_b32_e32 v7, 29, v61
	v_mov_b32_e32 v6, v5
	v_cmp_gt_i64_e64 s[38:39], 0, v[6:7]
	v_not_b32_e32 v6, v7
	v_ashrrev_i32_e32 v6, 31, v6
	v_xor_b32_e32 v7, s39, v6
	v_xor_b32_e32 v6, s38, v6
	v_and_b32_e32 v4, v4, v7
	v_and_b32_e32 v62, v62, v6
	v_lshlrev_b32_e32 v7, 28, v61
	v_mov_b32_e32 v6, v5
	v_cmp_gt_i64_e64 s[38:39], 0, v[6:7]
	v_not_b32_e32 v6, v7
	v_ashrrev_i32_e32 v6, 31, v6
	;; [unrolled: 9-line block ×6, first 2 shown]
	v_xor_b32_e32 v7, s39, v6
	v_xor_b32_e32 v6, s38, v6
	; wave barrier
	ds_read_b32 v59, v60 offset:16
	v_and_b32_e32 v6, v62, v6
	v_and_b32_e32 v7, v4, v7
	v_mbcnt_lo_u32_b32 v4, v6, 0
	v_mbcnt_hi_u32_b32 v61, v7, v4
	v_cmp_eq_u32_e64 s[38:39], 0, v61
	v_cmp_ne_u64_e64 s[40:41], 0, v[6:7]
	s_and_b64 s[40:41], s[40:41], s[38:39]
	; wave barrier
	s_and_saveexec_b64 s[38:39], s[40:41]
	s_cbranch_execz .LBB62_59
; %bb.58:
	v_bcnt_u32_b32 v4, v6, 0
	v_bcnt_u32_b32 v4, v7, v4
	s_waitcnt lgkmcnt(0)
	v_add_u32_e32 v4, v59, v4
	ds_write_b32 v60, v4 offset:16
.LBB62_59:
	s_or_b64 exec, exec, s[38:39]
	v_lshrrev_b32_sdwa v4, s88, v20 dst_sel:DWORD dst_unused:UNUSED_PAD src0_sel:DWORD src1_sel:WORD_0
	v_and_b32_e32 v64, s96, v4
	v_and_b32_e32 v4, 1, v64
	v_lshl_add_u64 v[6:7], v[4:5], 0, -1
	v_cmp_ne_u32_e64 s[38:39], 0, v4
	v_mad_u32_u24 v63, v64, 20, v38
	s_nop 0
	v_xor_b32_e32 v6, s38, v6
	v_xor_b32_e32 v4, s39, v7
	v_and_b32_e32 v65, exec_lo, v6
	v_lshlrev_b32_e32 v7, 30, v64
	v_mov_b32_e32 v6, v5
	v_cmp_gt_i64_e64 s[38:39], 0, v[6:7]
	v_not_b32_e32 v6, v7
	v_ashrrev_i32_e32 v6, 31, v6
	v_and_b32_e32 v4, exec_hi, v4
	v_xor_b32_e32 v7, s39, v6
	v_xor_b32_e32 v6, s38, v6
	v_and_b32_e32 v4, v4, v7
	v_and_b32_e32 v65, v65, v6
	v_lshlrev_b32_e32 v7, 29, v64
	v_mov_b32_e32 v6, v5
	v_cmp_gt_i64_e64 s[38:39], 0, v[6:7]
	v_not_b32_e32 v6, v7
	v_ashrrev_i32_e32 v6, 31, v6
	v_xor_b32_e32 v7, s39, v6
	v_xor_b32_e32 v6, s38, v6
	v_and_b32_e32 v4, v4, v7
	v_and_b32_e32 v65, v65, v6
	v_lshlrev_b32_e32 v7, 28, v64
	v_mov_b32_e32 v6, v5
	v_cmp_gt_i64_e64 s[38:39], 0, v[6:7]
	v_not_b32_e32 v6, v7
	v_ashrrev_i32_e32 v6, 31, v6
	;; [unrolled: 9-line block ×5, first 2 shown]
	v_xor_b32_e32 v7, s39, v6
	v_xor_b32_e32 v6, s38, v6
	v_and_b32_e32 v4, v4, v7
	v_lshlrev_b32_e32 v7, 24, v64
	v_and_b32_e32 v65, v65, v6
	v_mov_b32_e32 v6, v5
	v_not_b32_e32 v5, v7
	v_cmp_gt_i64_e64 s[38:39], 0, v[6:7]
	v_ashrrev_i32_e32 v5, 31, v5
	; wave barrier
	s_nop 0
	v_xor_b32_e32 v6, s39, v5
	v_xor_b32_e32 v7, s38, v5
	ds_read_b32 v62, v63 offset:16
	v_and_b32_e32 v5, v4, v6
	v_and_b32_e32 v4, v65, v7
	v_mbcnt_lo_u32_b32 v6, v4, 0
	v_mbcnt_hi_u32_b32 v64, v5, v6
	v_cmp_eq_u32_e64 s[38:39], 0, v64
	v_cmp_ne_u64_e64 s[40:41], 0, v[4:5]
	s_and_b64 s[40:41], s[40:41], s[38:39]
	; wave barrier
	s_and_saveexec_b64 s[38:39], s[40:41]
	s_cbranch_execz .LBB62_61
; %bb.60:
	v_bcnt_u32_b32 v4, v4, 0
	v_bcnt_u32_b32 v4, v5, v4
	s_waitcnt lgkmcnt(0)
	v_add_u32_e32 v4, v62, v4
	ds_write_b32 v63, v4 offset:16
.LBB62_61:
	s_or_b64 exec, exec, s[38:39]
	v_lshrrev_b32_sdwa v4, s88, v23 dst_sel:DWORD dst_unused:UNUSED_PAD src0_sel:DWORD src1_sel:WORD_0
	v_and_b32_e32 v67, s96, v4
	v_and_b32_e32 v4, 1, v67
	v_mov_b32_e32 v5, 0
	v_lshl_add_u64 v[6:7], v[4:5], 0, -1
	v_cmp_ne_u32_e64 s[38:39], 0, v4
	v_mad_u32_u24 v66, v67, 20, v38
	s_nop 0
	v_xor_b32_e32 v6, s38, v6
	v_xor_b32_e32 v4, s39, v7
	v_and_b32_e32 v68, exec_lo, v6
	v_lshlrev_b32_e32 v7, 30, v67
	v_mov_b32_e32 v6, v5
	v_cmp_gt_i64_e64 s[38:39], 0, v[6:7]
	v_not_b32_e32 v6, v7
	v_ashrrev_i32_e32 v6, 31, v6
	v_and_b32_e32 v4, exec_hi, v4
	v_xor_b32_e32 v7, s39, v6
	v_xor_b32_e32 v6, s38, v6
	v_and_b32_e32 v4, v4, v7
	v_and_b32_e32 v68, v68, v6
	v_lshlrev_b32_e32 v7, 29, v67
	v_mov_b32_e32 v6, v5
	v_cmp_gt_i64_e64 s[38:39], 0, v[6:7]
	v_not_b32_e32 v6, v7
	v_ashrrev_i32_e32 v6, 31, v6
	v_xor_b32_e32 v7, s39, v6
	v_xor_b32_e32 v6, s38, v6
	v_and_b32_e32 v4, v4, v7
	v_and_b32_e32 v68, v68, v6
	v_lshlrev_b32_e32 v7, 28, v67
	v_mov_b32_e32 v6, v5
	v_cmp_gt_i64_e64 s[38:39], 0, v[6:7]
	v_not_b32_e32 v6, v7
	v_ashrrev_i32_e32 v6, 31, v6
	;; [unrolled: 9-line block ×6, first 2 shown]
	v_xor_b32_e32 v7, s39, v6
	v_xor_b32_e32 v6, s38, v6
	; wave barrier
	ds_read_b32 v65, v66 offset:16
	v_and_b32_e32 v6, v68, v6
	v_and_b32_e32 v7, v4, v7
	v_mbcnt_lo_u32_b32 v4, v6, 0
	v_mbcnt_hi_u32_b32 v67, v7, v4
	v_cmp_eq_u32_e64 s[38:39], 0, v67
	v_cmp_ne_u64_e64 s[40:41], 0, v[6:7]
	s_and_b64 s[40:41], s[40:41], s[38:39]
	; wave barrier
	s_and_saveexec_b64 s[38:39], s[40:41]
	s_cbranch_execz .LBB62_63
; %bb.62:
	v_bcnt_u32_b32 v4, v6, 0
	v_bcnt_u32_b32 v4, v7, v4
	s_waitcnt lgkmcnt(0)
	v_add_u32_e32 v4, v65, v4
	ds_write_b32 v66, v4 offset:16
.LBB62_63:
	s_or_b64 exec, exec, s[38:39]
	v_lshrrev_b32_sdwa v4, s88, v22 dst_sel:DWORD dst_unused:UNUSED_PAD src0_sel:DWORD src1_sel:WORD_0
	v_and_b32_e32 v70, s96, v4
	v_and_b32_e32 v4, 1, v70
	v_lshl_add_u64 v[6:7], v[4:5], 0, -1
	v_cmp_ne_u32_e64 s[38:39], 0, v4
	v_mad_u32_u24 v69, v70, 20, v38
	s_nop 0
	v_xor_b32_e32 v6, s38, v6
	v_xor_b32_e32 v4, s39, v7
	v_and_b32_e32 v71, exec_lo, v6
	v_lshlrev_b32_e32 v7, 30, v70
	v_mov_b32_e32 v6, v5
	v_cmp_gt_i64_e64 s[38:39], 0, v[6:7]
	v_not_b32_e32 v6, v7
	v_ashrrev_i32_e32 v6, 31, v6
	v_and_b32_e32 v4, exec_hi, v4
	v_xor_b32_e32 v7, s39, v6
	v_xor_b32_e32 v6, s38, v6
	v_and_b32_e32 v4, v4, v7
	v_and_b32_e32 v71, v71, v6
	v_lshlrev_b32_e32 v7, 29, v70
	v_mov_b32_e32 v6, v5
	v_cmp_gt_i64_e64 s[38:39], 0, v[6:7]
	v_not_b32_e32 v6, v7
	v_ashrrev_i32_e32 v6, 31, v6
	v_xor_b32_e32 v7, s39, v6
	v_xor_b32_e32 v6, s38, v6
	v_and_b32_e32 v4, v4, v7
	v_and_b32_e32 v71, v71, v6
	v_lshlrev_b32_e32 v7, 28, v70
	v_mov_b32_e32 v6, v5
	v_cmp_gt_i64_e64 s[38:39], 0, v[6:7]
	v_not_b32_e32 v6, v7
	v_ashrrev_i32_e32 v6, 31, v6
	;; [unrolled: 9-line block ×5, first 2 shown]
	v_xor_b32_e32 v7, s39, v6
	v_xor_b32_e32 v6, s38, v6
	v_and_b32_e32 v4, v4, v7
	v_lshlrev_b32_e32 v7, 24, v70
	v_and_b32_e32 v71, v71, v6
	v_mov_b32_e32 v6, v5
	v_not_b32_e32 v5, v7
	v_cmp_gt_i64_e64 s[38:39], 0, v[6:7]
	v_ashrrev_i32_e32 v5, 31, v5
	; wave barrier
	s_nop 0
	v_xor_b32_e32 v6, s39, v5
	v_xor_b32_e32 v7, s38, v5
	ds_read_b32 v68, v69 offset:16
	v_and_b32_e32 v5, v4, v6
	v_and_b32_e32 v4, v71, v7
	v_mbcnt_lo_u32_b32 v6, v4, 0
	v_mbcnt_hi_u32_b32 v70, v5, v6
	v_cmp_eq_u32_e64 s[38:39], 0, v70
	v_cmp_ne_u64_e64 s[40:41], 0, v[4:5]
	s_and_b64 s[40:41], s[40:41], s[38:39]
	; wave barrier
	s_and_saveexec_b64 s[38:39], s[40:41]
	s_cbranch_execz .LBB62_65
; %bb.64:
	v_bcnt_u32_b32 v4, v4, 0
	v_bcnt_u32_b32 v4, v5, v4
	s_waitcnt lgkmcnt(0)
	v_add_u32_e32 v4, v68, v4
	ds_write_b32 v69, v4 offset:16
.LBB62_65:
	s_or_b64 exec, exec, s[38:39]
	v_lshrrev_b32_sdwa v4, s88, v25 dst_sel:DWORD dst_unused:UNUSED_PAD src0_sel:DWORD src1_sel:WORD_0
	v_and_b32_e32 v73, s96, v4
	v_and_b32_e32 v4, 1, v73
	v_mov_b32_e32 v5, 0
	v_lshl_add_u64 v[6:7], v[4:5], 0, -1
	v_cmp_ne_u32_e64 s[38:39], 0, v4
	v_mad_u32_u24 v72, v73, 20, v38
	s_nop 0
	v_xor_b32_e32 v6, s38, v6
	v_xor_b32_e32 v4, s39, v7
	v_and_b32_e32 v74, exec_lo, v6
	v_lshlrev_b32_e32 v7, 30, v73
	v_mov_b32_e32 v6, v5
	v_cmp_gt_i64_e64 s[38:39], 0, v[6:7]
	v_not_b32_e32 v6, v7
	v_ashrrev_i32_e32 v6, 31, v6
	v_and_b32_e32 v4, exec_hi, v4
	v_xor_b32_e32 v7, s39, v6
	v_xor_b32_e32 v6, s38, v6
	v_and_b32_e32 v4, v4, v7
	v_and_b32_e32 v74, v74, v6
	v_lshlrev_b32_e32 v7, 29, v73
	v_mov_b32_e32 v6, v5
	v_cmp_gt_i64_e64 s[38:39], 0, v[6:7]
	v_not_b32_e32 v6, v7
	v_ashrrev_i32_e32 v6, 31, v6
	v_xor_b32_e32 v7, s39, v6
	v_xor_b32_e32 v6, s38, v6
	v_and_b32_e32 v4, v4, v7
	v_and_b32_e32 v74, v74, v6
	v_lshlrev_b32_e32 v7, 28, v73
	v_mov_b32_e32 v6, v5
	v_cmp_gt_i64_e64 s[38:39], 0, v[6:7]
	v_not_b32_e32 v6, v7
	v_ashrrev_i32_e32 v6, 31, v6
	;; [unrolled: 9-line block ×6, first 2 shown]
	v_xor_b32_e32 v7, s39, v6
	v_xor_b32_e32 v6, s38, v6
	; wave barrier
	ds_read_b32 v71, v72 offset:16
	v_and_b32_e32 v6, v74, v6
	v_and_b32_e32 v7, v4, v7
	v_mbcnt_lo_u32_b32 v4, v6, 0
	v_mbcnt_hi_u32_b32 v73, v7, v4
	v_cmp_eq_u32_e64 s[38:39], 0, v73
	v_cmp_ne_u64_e64 s[40:41], 0, v[6:7]
	s_and_b64 s[40:41], s[40:41], s[38:39]
	; wave barrier
	s_and_saveexec_b64 s[38:39], s[40:41]
	s_cbranch_execz .LBB62_67
; %bb.66:
	v_bcnt_u32_b32 v4, v6, 0
	v_bcnt_u32_b32 v4, v7, v4
	s_waitcnt lgkmcnt(0)
	v_add_u32_e32 v4, v71, v4
	ds_write_b32 v72, v4 offset:16
.LBB62_67:
	s_or_b64 exec, exec, s[38:39]
	v_lshrrev_b32_sdwa v4, s88, v24 dst_sel:DWORD dst_unused:UNUSED_PAD src0_sel:DWORD src1_sel:WORD_0
	v_and_b32_e32 v76, s96, v4
	v_and_b32_e32 v4, 1, v76
	v_lshl_add_u64 v[6:7], v[4:5], 0, -1
	v_cmp_ne_u32_e64 s[38:39], 0, v4
	v_mad_u32_u24 v75, v76, 20, v38
	s_nop 0
	v_xor_b32_e32 v6, s38, v6
	v_xor_b32_e32 v4, s39, v7
	v_and_b32_e32 v77, exec_lo, v6
	v_lshlrev_b32_e32 v7, 30, v76
	v_mov_b32_e32 v6, v5
	v_cmp_gt_i64_e64 s[38:39], 0, v[6:7]
	v_not_b32_e32 v6, v7
	v_ashrrev_i32_e32 v6, 31, v6
	v_and_b32_e32 v4, exec_hi, v4
	v_xor_b32_e32 v7, s39, v6
	v_xor_b32_e32 v6, s38, v6
	v_and_b32_e32 v4, v4, v7
	v_and_b32_e32 v77, v77, v6
	v_lshlrev_b32_e32 v7, 29, v76
	v_mov_b32_e32 v6, v5
	v_cmp_gt_i64_e64 s[38:39], 0, v[6:7]
	v_not_b32_e32 v6, v7
	v_ashrrev_i32_e32 v6, 31, v6
	v_xor_b32_e32 v7, s39, v6
	v_xor_b32_e32 v6, s38, v6
	v_and_b32_e32 v4, v4, v7
	v_and_b32_e32 v77, v77, v6
	v_lshlrev_b32_e32 v7, 28, v76
	v_mov_b32_e32 v6, v5
	v_cmp_gt_i64_e64 s[38:39], 0, v[6:7]
	v_not_b32_e32 v6, v7
	v_ashrrev_i32_e32 v6, 31, v6
	;; [unrolled: 9-line block ×5, first 2 shown]
	v_xor_b32_e32 v7, s39, v6
	v_xor_b32_e32 v6, s38, v6
	v_and_b32_e32 v4, v4, v7
	v_lshlrev_b32_e32 v7, 24, v76
	v_and_b32_e32 v77, v77, v6
	v_mov_b32_e32 v6, v5
	v_not_b32_e32 v5, v7
	v_cmp_gt_i64_e64 s[38:39], 0, v[6:7]
	v_ashrrev_i32_e32 v5, 31, v5
	; wave barrier
	s_nop 0
	v_xor_b32_e32 v6, s39, v5
	v_xor_b32_e32 v7, s38, v5
	ds_read_b32 v74, v75 offset:16
	v_and_b32_e32 v5, v4, v6
	v_and_b32_e32 v4, v77, v7
	v_mbcnt_lo_u32_b32 v6, v4, 0
	v_mbcnt_hi_u32_b32 v76, v5, v6
	v_cmp_eq_u32_e64 s[38:39], 0, v76
	v_cmp_ne_u64_e64 s[40:41], 0, v[4:5]
	s_and_b64 s[40:41], s[40:41], s[38:39]
	; wave barrier
	s_and_saveexec_b64 s[38:39], s[40:41]
	s_cbranch_execz .LBB62_69
; %bb.68:
	v_bcnt_u32_b32 v4, v4, 0
	v_bcnt_u32_b32 v4, v5, v4
	s_waitcnt lgkmcnt(0)
	v_add_u32_e32 v4, v74, v4
	ds_write_b32 v75, v4 offset:16
.LBB62_69:
	s_or_b64 exec, exec, s[38:39]
	v_lshrrev_b32_sdwa v4, s88, v27 dst_sel:DWORD dst_unused:UNUSED_PAD src0_sel:DWORD src1_sel:WORD_0
	v_and_b32_e32 v79, s96, v4
	v_and_b32_e32 v4, 1, v79
	v_mov_b32_e32 v5, 0
	v_lshl_add_u64 v[6:7], v[4:5], 0, -1
	v_cmp_ne_u32_e64 s[38:39], 0, v4
	v_mad_u32_u24 v78, v79, 20, v38
	s_nop 0
	v_xor_b32_e32 v6, s38, v6
	v_xor_b32_e32 v4, s39, v7
	v_and_b32_e32 v80, exec_lo, v6
	v_lshlrev_b32_e32 v7, 30, v79
	v_mov_b32_e32 v6, v5
	v_cmp_gt_i64_e64 s[38:39], 0, v[6:7]
	v_not_b32_e32 v6, v7
	v_ashrrev_i32_e32 v6, 31, v6
	v_and_b32_e32 v4, exec_hi, v4
	v_xor_b32_e32 v7, s39, v6
	v_xor_b32_e32 v6, s38, v6
	v_and_b32_e32 v4, v4, v7
	v_and_b32_e32 v80, v80, v6
	v_lshlrev_b32_e32 v7, 29, v79
	v_mov_b32_e32 v6, v5
	v_cmp_gt_i64_e64 s[38:39], 0, v[6:7]
	v_not_b32_e32 v6, v7
	v_ashrrev_i32_e32 v6, 31, v6
	v_xor_b32_e32 v7, s39, v6
	v_xor_b32_e32 v6, s38, v6
	v_and_b32_e32 v4, v4, v7
	v_and_b32_e32 v80, v80, v6
	v_lshlrev_b32_e32 v7, 28, v79
	v_mov_b32_e32 v6, v5
	v_cmp_gt_i64_e64 s[38:39], 0, v[6:7]
	v_not_b32_e32 v6, v7
	v_ashrrev_i32_e32 v6, 31, v6
	;; [unrolled: 9-line block ×6, first 2 shown]
	v_xor_b32_e32 v7, s39, v6
	v_xor_b32_e32 v6, s38, v6
	; wave barrier
	ds_read_b32 v77, v78 offset:16
	v_and_b32_e32 v6, v80, v6
	v_and_b32_e32 v7, v4, v7
	v_mbcnt_lo_u32_b32 v4, v6, 0
	v_mbcnt_hi_u32_b32 v79, v7, v4
	v_cmp_eq_u32_e64 s[38:39], 0, v79
	v_cmp_ne_u64_e64 s[40:41], 0, v[6:7]
	s_and_b64 s[40:41], s[40:41], s[38:39]
	; wave barrier
	s_and_saveexec_b64 s[38:39], s[40:41]
	s_cbranch_execz .LBB62_71
; %bb.70:
	v_bcnt_u32_b32 v4, v6, 0
	v_bcnt_u32_b32 v4, v7, v4
	s_waitcnt lgkmcnt(0)
	v_add_u32_e32 v4, v77, v4
	ds_write_b32 v78, v4 offset:16
.LBB62_71:
	s_or_b64 exec, exec, s[38:39]
	v_lshrrev_b32_sdwa v4, s88, v26 dst_sel:DWORD dst_unused:UNUSED_PAD src0_sel:DWORD src1_sel:WORD_0
	v_and_b32_e32 v81, s96, v4
	v_and_b32_e32 v4, 1, v81
	v_lshl_add_u64 v[6:7], v[4:5], 0, -1
	v_cmp_ne_u32_e64 s[38:39], 0, v4
	v_mad_u32_u24 v38, v81, 20, v38
	s_nop 0
	v_xor_b32_e32 v6, s38, v6
	v_xor_b32_e32 v4, s39, v7
	v_and_b32_e32 v82, exec_lo, v6
	v_lshlrev_b32_e32 v7, 30, v81
	v_mov_b32_e32 v6, v5
	v_cmp_gt_i64_e64 s[38:39], 0, v[6:7]
	v_not_b32_e32 v6, v7
	v_ashrrev_i32_e32 v6, 31, v6
	v_and_b32_e32 v4, exec_hi, v4
	v_xor_b32_e32 v7, s39, v6
	v_xor_b32_e32 v6, s38, v6
	v_and_b32_e32 v4, v4, v7
	v_and_b32_e32 v82, v82, v6
	v_lshlrev_b32_e32 v7, 29, v81
	v_mov_b32_e32 v6, v5
	v_cmp_gt_i64_e64 s[38:39], 0, v[6:7]
	v_not_b32_e32 v6, v7
	v_ashrrev_i32_e32 v6, 31, v6
	v_xor_b32_e32 v7, s39, v6
	v_xor_b32_e32 v6, s38, v6
	v_and_b32_e32 v4, v4, v7
	v_and_b32_e32 v82, v82, v6
	v_lshlrev_b32_e32 v7, 28, v81
	v_mov_b32_e32 v6, v5
	v_cmp_gt_i64_e64 s[38:39], 0, v[6:7]
	v_not_b32_e32 v6, v7
	v_ashrrev_i32_e32 v6, 31, v6
	;; [unrolled: 9-line block ×5, first 2 shown]
	v_xor_b32_e32 v7, s39, v6
	v_xor_b32_e32 v6, s38, v6
	v_and_b32_e32 v4, v4, v7
	v_lshlrev_b32_e32 v7, 24, v81
	v_and_b32_e32 v82, v82, v6
	v_mov_b32_e32 v6, v5
	v_not_b32_e32 v5, v7
	v_cmp_gt_i64_e64 s[38:39], 0, v[6:7]
	v_ashrrev_i32_e32 v5, 31, v5
	; wave barrier
	s_nop 0
	v_xor_b32_e32 v6, s39, v5
	v_xor_b32_e32 v7, s38, v5
	ds_read_b32 v80, v38 offset:16
	v_and_b32_e32 v5, v4, v6
	v_and_b32_e32 v4, v82, v7
	v_mbcnt_lo_u32_b32 v6, v4, 0
	v_mbcnt_hi_u32_b32 v81, v5, v6
	v_cmp_eq_u32_e64 s[38:39], 0, v81
	v_cmp_ne_u64_e64 s[40:41], 0, v[4:5]
	s_and_b64 s[40:41], s[40:41], s[38:39]
	; wave barrier
	s_and_saveexec_b64 s[38:39], s[40:41]
	s_cbranch_execz .LBB62_73
; %bb.72:
	v_bcnt_u32_b32 v4, v4, 0
	v_bcnt_u32_b32 v4, v5, v4
	s_waitcnt lgkmcnt(0)
	v_add_u32_e32 v4, v80, v4
	ds_write_b32 v38, v4 offset:16
.LBB62_73:
	s_or_b64 exec, exec, s[38:39]
	; wave barrier
	s_waitcnt lgkmcnt(0)
	s_barrier
	ds_read2_b32 v[6:7], v28 offset0:4 offset1:5
	ds_read2_b32 v[4:5], v28 offset0:6 offset1:7
	ds_read_b32 v82, v28 offset:32
	v_min_u32_e32 v19, 0xc0, v19
	v_or_b32_e32 v19, 63, v19
	s_waitcnt lgkmcnt(1)
	v_add3_u32 v83, v7, v6, v4
	s_waitcnt lgkmcnt(0)
	v_add3_u32 v82, v83, v5, v82
	v_and_b32_e32 v83, 15, v3
	v_cmp_ne_u32_e64 s[38:39], 0, v83
	v_mov_b32_dpp v84, v82 row_shr:1 row_mask:0xf bank_mask:0xf
	s_nop 0
	v_cndmask_b32_e64 v84, 0, v84, s[38:39]
	v_add_u32_e32 v82, v84, v82
	v_cmp_lt_u32_e64 s[38:39], 1, v83
	s_nop 0
	v_mov_b32_dpp v84, v82 row_shr:2 row_mask:0xf bank_mask:0xf
	v_cndmask_b32_e64 v84, 0, v84, s[38:39]
	v_add_u32_e32 v82, v82, v84
	v_cmp_lt_u32_e64 s[38:39], 3, v83
	s_nop 0
	v_mov_b32_dpp v84, v82 row_shr:4 row_mask:0xf bank_mask:0xf
	;; [unrolled: 5-line block ×3, first 2 shown]
	v_cndmask_b32_e64 v83, 0, v84, s[38:39]
	v_add_u32_e32 v82, v82, v83
	v_bfe_i32 v84, v3, 4, 1
	v_cmp_lt_u32_e64 s[38:39], 31, v3
	v_mov_b32_dpp v83, v82 row_bcast:15 row_mask:0xf bank_mask:0xf
	v_and_b32_e32 v83, v84, v83
	v_add_u32_e32 v82, v82, v83
	s_nop 1
	v_mov_b32_dpp v83, v82 row_bcast:31 row_mask:0xf bank_mask:0xf
	v_cndmask_b32_e64 v83, 0, v83, s[38:39]
	v_add_u32_e32 v82, v82, v83
	v_lshrrev_b32_e32 v83, 6, v2
	v_cmp_eq_u32_e64 s[38:39], v2, v19
	s_and_saveexec_b64 s[40:41], s[38:39]
; %bb.74:
	v_lshlrev_b32_e32 v19, 2, v83
	ds_write_b32 v19, v82
; %bb.75:
	s_or_b64 exec, exec, s[40:41]
	v_cmp_gt_u32_e64 s[38:39], 4, v2
	s_waitcnt lgkmcnt(0)
	s_barrier
	s_and_saveexec_b64 s[40:41], s[38:39]
	s_cbranch_execz .LBB62_77
; %bb.76:
	v_lshlrev_b32_e32 v19, 2, v2
	ds_read_b32 v84, v19
	v_and_b32_e32 v85, 3, v3
	v_cmp_ne_u32_e64 s[38:39], 0, v85
	s_waitcnt lgkmcnt(0)
	v_mov_b32_dpp v86, v84 row_shr:1 row_mask:0xf bank_mask:0xf
	v_cndmask_b32_e64 v86, 0, v86, s[38:39]
	v_add_u32_e32 v84, v86, v84
	v_cmp_lt_u32_e64 s[38:39], 1, v85
	s_nop 0
	v_mov_b32_dpp v86, v84 row_shr:2 row_mask:0xf bank_mask:0xf
	v_cndmask_b32_e64 v85, 0, v86, s[38:39]
	v_add_u32_e32 v84, v84, v85
	ds_write_b32 v19, v84
.LBB62_77:
	s_or_b64 exec, exec, s[40:41]
	v_cmp_lt_u32_e64 s[38:39], 63, v2
	v_mov_b32_e32 v19, 0
	s_waitcnt lgkmcnt(0)
	s_barrier
	s_and_saveexec_b64 s[40:41], s[38:39]
; %bb.78:
	v_lshl_add_u32 v19, v83, 2, -4
	ds_read_b32 v19, v19
; %bb.79:
	s_or_b64 exec, exec, s[40:41]
	v_add_u32_e32 v83, -1, v3
	v_and_b32_e32 v84, 64, v3
	v_cmp_lt_i32_e64 s[38:39], v83, v84
	s_waitcnt lgkmcnt(0)
	v_add_u32_e32 v82, v19, v82
	v_cndmask_b32_e64 v83, v83, v3, s[38:39]
	v_lshlrev_b32_e32 v83, 2, v83
	ds_bpermute_b32 v82, v83, v82
	v_cmp_eq_u32_e64 s[38:39], 0, v3
	s_waitcnt lgkmcnt(0)
	s_nop 0
	v_cndmask_b32_e64 v19, v82, v19, s[38:39]
	v_cmp_ne_u32_e64 s[38:39], 0, v2
	s_nop 1
	v_cndmask_b32_e64 v19, 0, v19, s[38:39]
	v_add_u32_e32 v6, v19, v6
	v_add_u32_e32 v7, v6, v7
	;; [unrolled: 1-line block ×4, first 2 shown]
	ds_write2_b32 v28, v19, v6 offset0:4 offset1:5
	ds_write2_b32 v28, v7, v4 offset0:6 offset1:7
	ds_write_b32 v28, v5 offset:32
	s_waitcnt lgkmcnt(0)
	s_barrier
	ds_read_b32 v6, v51 offset:16
	ds_read_b32 v7, v54 offset:16
	;; [unrolled: 1-line block ×19, first 2 shown]
	v_add_u32_e32 v28, 1, v2
	s_movk_i32 s38, 0x100
	v_cmp_ne_u32_e64 s[38:39], s38, v28
	v_mov_b32_e32 v5, 0x1200
	s_and_saveexec_b64 s[40:41], s[38:39]
; %bb.80:
	v_mul_u32_u24_e32 v5, 20, v28
	ds_read_b32 v5, v5 offset:16
; %bb.81:
	s_or_b64 exec, exec, s[40:41]
	s_waitcnt lgkmcnt(7)
	v_add_u32_e32 v48, v30, v29
	s_waitcnt lgkmcnt(6)
	v_add3_u32 v45, v33, v31, v32
	s_waitcnt lgkmcnt(5)
	v_add3_u32 v42, v36, v34, v35
	v_add3_u32 v36, v52, v50, v6
	v_lshlrev_b32_e32 v6, 1, v48
	s_waitcnt lgkmcnt(0)
	s_barrier
	ds_write_b16 v6, v9 offset:2048
	v_lshlrev_b32_e32 v6, 1, v45
	v_add3_u32 v40, v40, v37, v38
	ds_write_b16 v6, v8 offset:2048
	v_lshlrev_b32_e32 v6, 1, v42
	v_add3_u32 v39, v43, v41, v39
	;; [unrolled: 3-line block ×4, first 2 shown]
	ds_write_b16 v6, v13 offset:2048
	v_lshlrev_b32_e32 v6, 1, v38
	ds_write_b16 v6, v12 offset:2048
	v_lshlrev_b32_e32 v6, 1, v37
	v_add3_u32 v35, v55, v53, v7
	ds_write_b16 v6, v16 offset:2048
	v_lshlrev_b32_e32 v6, 1, v36
	v_add3_u32 v34, v58, v56, v19
	;; [unrolled: 3-line block ×10, first 2 shown]
	ds_write_b16 v6, v24 offset:2048
	v_lshlrev_b32_e32 v6, 1, v19
	ds_write_b16 v6, v27 offset:2048
	v_lshlrev_b32_e32 v6, 1, v7
	ds_write_b16 v6, v26 offset:2048
	v_sub_u32_e32 v6, v5, v4
	v_lshl_add_u32 v8, s2, 8, v2
	v_mov_b32_e32 v9, 0
	v_lshl_add_u64 v[10:11], v[8:9], 2, s[94:95]
	v_or_b32_e32 v5, 2.0, v6
	s_mov_b64 s[40:41], 0
	s_brev_b32 s46, -4
	s_mov_b32 s47, s3
	v_mov_b32_e32 v15, 0
	s_waitcnt lgkmcnt(0)
	s_barrier
	global_store_dword v[10:11], v5, off sc1
                                        ; implicit-def: $sgpr38_sgpr39
	s_branch .LBB62_84
.LBB62_82:                              ;   in Loop: Header=BB62_84 Depth=1
	s_or_b64 exec, exec, s[44:45]
.LBB62_83:                              ;   in Loop: Header=BB62_84 Depth=1
	s_or_b64 exec, exec, s[42:43]
	v_and_b32_e32 v8, 0x3fffffff, v5
	v_add_u32_e32 v15, v8, v15
	v_cmp_gt_i32_e64 s[38:39], -2.0, v5
	s_and_b64 s[42:43], exec, s[38:39]
	s_or_b64 s[40:41], s[42:43], s[40:41]
	s_andn2_b64 exec, exec, s[40:41]
	s_cbranch_execz .LBB62_89
.LBB62_84:                              ; =>This Loop Header: Depth=1
                                        ;     Child Loop BB62_87 Depth 2
	s_or_b64 s[38:39], s[38:39], exec
	s_cmp_eq_u32 s47, 0
	s_cbranch_scc1 .LBB62_88
; %bb.85:                               ;   in Loop: Header=BB62_84 Depth=1
	s_add_i32 s47, s47, -1
	v_lshl_add_u32 v8, s47, 8, v2
	v_lshl_add_u64 v[12:13], v[8:9], 2, s[94:95]
	global_load_dword v5, v[12:13], off sc1
	s_waitcnt vmcnt(0)
	v_cmp_gt_u32_e64 s[38:39], 2.0, v5
	s_and_saveexec_b64 s[42:43], s[38:39]
	s_cbranch_execz .LBB62_83
; %bb.86:                               ;   in Loop: Header=BB62_84 Depth=1
	s_mov_b64 s[44:45], 0
.LBB62_87:                              ;   Parent Loop BB62_84 Depth=1
                                        ; =>  This Inner Loop Header: Depth=2
	global_load_dword v5, v[12:13], off sc1
	s_waitcnt vmcnt(0)
	v_cmp_lt_u32_e64 s[38:39], s46, v5
	s_or_b64 s[44:45], s[38:39], s[44:45]
	s_andn2_b64 exec, exec, s[44:45]
	s_cbranch_execnz .LBB62_87
	s_branch .LBB62_82
.LBB62_88:                              ;   in Loop: Header=BB62_84 Depth=1
                                        ; implicit-def: $sgpr47
	s_and_b64 s[42:43], exec, s[38:39]
	s_or_b64 s[40:41], s[42:43], s[40:41]
	s_andn2_b64 exec, exec, s[40:41]
	s_cbranch_execnz .LBB62_84
.LBB62_89:
	s_or_b64 exec, exec, s[40:41]
	v_add_u32_e32 v5, v15, v6
	v_or_b32_e32 v5, 0x80000000, v5
	v_lshlrev_b32_e32 v8, 3, v2
	global_store_dword v[10:11], v5, off sc1
	global_load_dwordx2 v[10:11], v8, s[84:85]
	v_sub_co_u32_e64 v12, s[38:39], v15, v4
	v_mov_b32_e32 v5, 0
	s_nop 0
	v_subb_co_u32_e64 v13, s[38:39], 0, 0, s[38:39]
	v_cmp_gt_u32_e64 s[38:39], s90, v2
	s_waitcnt vmcnt(0)
	v_lshl_add_u64 v[10:11], v[12:13], 0, v[10:11]
	ds_write_b64 v8, v[10:11]
	s_waitcnt lgkmcnt(0)
	s_barrier
	s_and_saveexec_b64 s[40:41], s[38:39]
	s_cbranch_execz .LBB62_91
; %bb.90:
	v_mad_i32_i24 v9, v2, -6, v8
	ds_read_u16 v9, v9 offset:2048
	v_lshlrev_b32_e32 v12, 1, v2
	v_mov_b32_e32 v13, v5
	s_waitcnt lgkmcnt(0)
	v_lshrrev_b32_sdwa v10, s88, v9 dst_sel:DWORD dst_unused:UNUSED_PAD src0_sel:DWORD src1_sel:WORD_0
	v_and_b32_e32 v10, s96, v10
	v_lshlrev_b32_e32 v10, 3, v10
	ds_read_b64 v[10:11], v10
	v_xor_b32_e32 v9, 0x7fff, v9
	s_waitcnt lgkmcnt(0)
	v_lshl_add_u64 v[10:11], v[10:11], 1, s[78:79]
	v_lshl_add_u64 v[10:11], v[10:11], 0, v[12:13]
	global_store_short v[10:11], v9, off
.LBB62_91:
	s_or_b64 exec, exec, s[40:41]
	v_add_u32_e32 v9, 0x100, v2
	v_cmp_gt_u32_e64 s[40:41], s90, v9
	s_and_saveexec_b64 s[42:43], s[40:41]
	s_cbranch_execz .LBB62_93
; %bb.92:
	v_mad_i32_i24 v9, v2, -6, v8
	ds_read_u16 v9, v9 offset:2560
	v_lshlrev_b32_e32 v12, 1, v2
	v_mov_b32_e32 v13, 0
	s_waitcnt lgkmcnt(0)
	v_lshrrev_b32_sdwa v10, s88, v9 dst_sel:DWORD dst_unused:UNUSED_PAD src0_sel:DWORD src1_sel:WORD_0
	v_and_b32_e32 v10, s96, v10
	v_lshlrev_b32_e32 v10, 3, v10
	ds_read_b64 v[10:11], v10
	v_xor_b32_e32 v9, 0x7fff, v9
	s_waitcnt lgkmcnt(0)
	v_lshl_add_u64 v[10:11], v[10:11], 1, s[78:79]
	v_lshl_add_u64 v[10:11], v[10:11], 0, v[12:13]
	global_store_short v[10:11], v9, off offset:512
.LBB62_93:
	s_or_b64 exec, exec, s[42:43]
	v_add_u32_e32 v12, 0x200, v2
	v_cmp_gt_u32_e64 s[42:43], s90, v12
	s_and_saveexec_b64 s[44:45], s[42:43]
	s_cbranch_execz .LBB62_95
; %bb.94:
	v_mad_i32_i24 v9, v2, -6, v8
	ds_read_u16 v9, v9 offset:3072
	v_lshlrev_b32_e32 v16, 1, v2
	v_mov_b32_e32 v17, 0
	s_waitcnt lgkmcnt(0)
	v_lshrrev_b32_sdwa v10, s88, v9 dst_sel:DWORD dst_unused:UNUSED_PAD src0_sel:DWORD src1_sel:WORD_0
	v_and_b32_e32 v10, s96, v10
	v_lshlrev_b32_e32 v10, 3, v10
	ds_read_b64 v[10:11], v10
	v_xor_b32_e32 v9, 0x7fff, v9
	s_waitcnt lgkmcnt(0)
	v_lshl_add_u64 v[10:11], v[10:11], 1, s[78:79]
	v_lshl_add_u64 v[10:11], v[10:11], 0, v[16:17]
	global_store_short v[10:11], v9, off offset:1024
.LBB62_95:
	s_or_b64 exec, exec, s[44:45]
	v_add_u32_e32 v13, 0x300, v2
	v_cmp_gt_u32_e64 s[44:45], s90, v13
	s_and_saveexec_b64 s[46:47], s[44:45]
	s_cbranch_execz .LBB62_97
; %bb.96:
	v_mad_i32_i24 v9, v2, -6, v8
	ds_read_u16 v9, v9 offset:3584
	v_lshlrev_b32_e32 v16, 1, v2
	v_mov_b32_e32 v17, 0
	s_waitcnt lgkmcnt(0)
	v_lshrrev_b32_sdwa v10, s88, v9 dst_sel:DWORD dst_unused:UNUSED_PAD src0_sel:DWORD src1_sel:WORD_0
	v_and_b32_e32 v10, s96, v10
	v_lshlrev_b32_e32 v10, 3, v10
	ds_read_b64 v[10:11], v10
	v_xor_b32_e32 v9, 0x7fff, v9
	s_waitcnt lgkmcnt(0)
	v_lshl_add_u64 v[10:11], v[10:11], 1, s[78:79]
	v_lshl_add_u64 v[10:11], v[10:11], 0, v[16:17]
	global_store_short v[10:11], v9, off offset:1536
.LBB62_97:
	s_or_b64 exec, exec, s[46:47]
	v_or_b32_e32 v15, 0x400, v2
	v_cmp_gt_u32_e64 s[46:47], s90, v15
	s_and_saveexec_b64 s[48:49], s[46:47]
	s_cbranch_execz .LBB62_99
; %bb.98:
	v_mad_i32_i24 v9, v2, -6, v8
	ds_read_u16 v9, v9 offset:4096
	v_lshlrev_b32_e32 v16, 1, v2
	v_mov_b32_e32 v17, 0
	s_waitcnt lgkmcnt(0)
	v_lshrrev_b32_sdwa v10, s88, v9 dst_sel:DWORD dst_unused:UNUSED_PAD src0_sel:DWORD src1_sel:WORD_0
	v_and_b32_e32 v10, s96, v10
	v_lshlrev_b32_e32 v10, 3, v10
	ds_read_b64 v[10:11], v10
	v_xor_b32_e32 v9, 0x7fff, v9
	s_waitcnt lgkmcnt(0)
	v_lshl_add_u64 v[10:11], v[10:11], 1, s[78:79]
	v_lshl_add_u64 v[10:11], v[10:11], 0, v[16:17]
	global_store_short v[10:11], v9, off offset:2048
.LBB62_99:
	s_or_b64 exec, exec, s[48:49]
	v_add_u32_e32 v16, 0x500, v2
	v_cmp_gt_u32_e64 s[48:49], s90, v16
	s_and_saveexec_b64 s[50:51], s[48:49]
	s_cbranch_execz .LBB62_101
; %bb.100:
	v_mad_i32_i24 v9, v2, -6, v8
	ds_read_u16 v9, v9 offset:4608
	v_lshlrev_b32_e32 v20, 1, v2
	v_mov_b32_e32 v21, 0
	s_waitcnt lgkmcnt(0)
	v_lshrrev_b32_sdwa v10, s88, v9 dst_sel:DWORD dst_unused:UNUSED_PAD src0_sel:DWORD src1_sel:WORD_0
	v_and_b32_e32 v10, s96, v10
	v_lshlrev_b32_e32 v10, 3, v10
	ds_read_b64 v[10:11], v10
	v_xor_b32_e32 v9, 0x7fff, v9
	s_waitcnt lgkmcnt(0)
	v_lshl_add_u64 v[10:11], v[10:11], 1, s[78:79]
	v_lshl_add_u64 v[10:11], v[10:11], 0, v[20:21]
	global_store_short v[10:11], v9, off offset:2560
.LBB62_101:
	s_or_b64 exec, exec, s[50:51]
	v_add_u32_e32 v17, 0x600, v2
	;; [unrolled: 21-line block ×3, first 2 shown]
	v_cmp_gt_u32_e64 s[52:53], s90, v18
	s_and_saveexec_b64 s[54:55], s[52:53]
	s_cbranch_execz .LBB62_105
; %bb.104:
	v_lshlrev_b32_e32 v10, 1, v2
	ds_read_u16 v9, v10 offset:5632
	s_waitcnt lgkmcnt(0)
	v_lshrrev_b32_sdwa v11, s88, v9 dst_sel:DWORD dst_unused:UNUSED_PAD src0_sel:DWORD src1_sel:WORD_0
	v_and_b32_e32 v11, s96, v11
	v_lshlrev_b32_e32 v11, 3, v11
	ds_read_b64 v[20:21], v11
	v_mov_b32_e32 v11, 0
	v_xor_b32_e32 v9, 0x7fff, v9
	s_waitcnt lgkmcnt(0)
	v_lshl_add_u64 v[20:21], v[20:21], 1, s[78:79]
	v_lshl_add_u64 v[10:11], v[20:21], 0, v[10:11]
	global_store_short v[10:11], v9, off offset:3584
.LBB62_105:
	s_or_b64 exec, exec, s[54:55]
	v_or_b32_e32 v20, 0x800, v2
	v_cmp_gt_u32_e64 s[54:55], s90, v20
	s_and_saveexec_b64 s[56:57], s[54:55]
	s_cbranch_execz .LBB62_107
; %bb.106:
	v_lshlrev_b32_e32 v9, 1, v2
	ds_read_u16 v9, v9 offset:6144
	v_lshlrev_b32_e32 v22, 1, v20
	v_mov_b32_e32 v23, 0
	s_waitcnt lgkmcnt(0)
	v_lshrrev_b32_sdwa v10, s88, v9 dst_sel:DWORD dst_unused:UNUSED_PAD src0_sel:DWORD src1_sel:WORD_0
	v_and_b32_e32 v10, s96, v10
	v_lshlrev_b32_e32 v10, 3, v10
	ds_read_b64 v[10:11], v10
	v_xor_b32_e32 v9, 0x7fff, v9
	s_waitcnt lgkmcnt(0)
	v_lshl_add_u64 v[10:11], v[10:11], 1, s[78:79]
	v_lshl_add_u64 v[10:11], v[10:11], 0, v[22:23]
	global_store_short v[10:11], v9, off
.LBB62_107:
	s_or_b64 exec, exec, s[56:57]
	v_add_u32_e32 v21, 0x900, v2
	v_cmp_gt_u32_e64 s[56:57], s90, v21
	s_and_saveexec_b64 s[58:59], s[56:57]
	s_cbranch_execz .LBB62_109
; %bb.108:
	v_lshlrev_b32_e32 v9, 1, v2
	ds_read_u16 v9, v9 offset:6656
	v_lshlrev_b32_e32 v22, 1, v21
	v_mov_b32_e32 v23, 0
	s_waitcnt lgkmcnt(0)
	v_lshrrev_b32_sdwa v10, s88, v9 dst_sel:DWORD dst_unused:UNUSED_PAD src0_sel:DWORD src1_sel:WORD_0
	v_and_b32_e32 v10, s96, v10
	v_lshlrev_b32_e32 v10, 3, v10
	ds_read_b64 v[10:11], v10
	v_xor_b32_e32 v9, 0x7fff, v9
	s_waitcnt lgkmcnt(0)
	v_lshl_add_u64 v[10:11], v[10:11], 1, s[78:79]
	v_lshl_add_u64 v[10:11], v[10:11], 0, v[22:23]
	global_store_short v[10:11], v9, off
.LBB62_109:
	s_or_b64 exec, exec, s[58:59]
	v_add_u32_e32 v22, 0xa00, v2
	v_cmp_gt_u32_e64 s[58:59], s90, v22
	s_and_saveexec_b64 s[60:61], s[58:59]
	s_cbranch_execz .LBB62_111
; %bb.110:
	v_lshlrev_b32_e32 v9, 1, v2
	ds_read_u16 v9, v9 offset:7168
	v_lshlrev_b32_e32 v24, 1, v22
	v_mov_b32_e32 v25, 0
	s_waitcnt lgkmcnt(0)
	v_lshrrev_b32_sdwa v10, s88, v9 dst_sel:DWORD dst_unused:UNUSED_PAD src0_sel:DWORD src1_sel:WORD_0
	v_and_b32_e32 v10, s96, v10
	v_lshlrev_b32_e32 v10, 3, v10
	ds_read_b64 v[10:11], v10
	v_xor_b32_e32 v9, 0x7fff, v9
	s_waitcnt lgkmcnt(0)
	v_lshl_add_u64 v[10:11], v[10:11], 1, s[78:79]
	v_lshl_add_u64 v[10:11], v[10:11], 0, v[24:25]
	global_store_short v[10:11], v9, off
.LBB62_111:
	s_or_b64 exec, exec, s[60:61]
	v_add_u32_e32 v23, 0xb00, v2
	v_cmp_gt_u32_e64 s[60:61], s90, v23
	s_and_saveexec_b64 s[62:63], s[60:61]
	s_cbranch_execz .LBB62_113
; %bb.112:
	v_lshlrev_b32_e32 v9, 1, v2
	ds_read_u16 v9, v9 offset:7680
	v_lshlrev_b32_e32 v24, 1, v23
	v_mov_b32_e32 v25, 0
	s_waitcnt lgkmcnt(0)
	v_lshrrev_b32_sdwa v10, s88, v9 dst_sel:DWORD dst_unused:UNUSED_PAD src0_sel:DWORD src1_sel:WORD_0
	v_and_b32_e32 v10, s96, v10
	v_lshlrev_b32_e32 v10, 3, v10
	ds_read_b64 v[10:11], v10
	v_xor_b32_e32 v9, 0x7fff, v9
	s_waitcnt lgkmcnt(0)
	v_lshl_add_u64 v[10:11], v[10:11], 1, s[78:79]
	v_lshl_add_u64 v[10:11], v[10:11], 0, v[24:25]
	global_store_short v[10:11], v9, off
.LBB62_113:
	s_or_b64 exec, exec, s[62:63]
	v_or_b32_e32 v24, 0xc00, v2
	v_cmp_gt_u32_e64 s[62:63], s90, v24
	s_and_saveexec_b64 s[64:65], s[62:63]
	s_cbranch_execz .LBB62_115
; %bb.114:
	v_lshlrev_b32_e32 v9, 1, v2
	ds_read_u16 v9, v9 offset:8192
	v_lshlrev_b32_e32 v26, 1, v24
	v_mov_b32_e32 v27, 0
	s_waitcnt lgkmcnt(0)
	v_lshrrev_b32_sdwa v10, s88, v9 dst_sel:DWORD dst_unused:UNUSED_PAD src0_sel:DWORD src1_sel:WORD_0
	v_and_b32_e32 v10, s96, v10
	v_lshlrev_b32_e32 v10, 3, v10
	ds_read_b64 v[10:11], v10
	v_xor_b32_e32 v9, 0x7fff, v9
	s_waitcnt lgkmcnt(0)
	v_lshl_add_u64 v[10:11], v[10:11], 1, s[78:79]
	v_lshl_add_u64 v[10:11], v[10:11], 0, v[26:27]
	global_store_short v[10:11], v9, off
.LBB62_115:
	s_or_b64 exec, exec, s[64:65]
	v_add_u32_e32 v25, 0xd00, v2
	v_cmp_gt_u32_e64 s[64:65], s90, v25
	s_and_saveexec_b64 s[66:67], s[64:65]
	s_cbranch_execz .LBB62_117
; %bb.116:
	v_lshlrev_b32_e32 v9, 1, v2
	ds_read_u16 v9, v9 offset:8704
	v_lshlrev_b32_e32 v26, 1, v25
	v_mov_b32_e32 v27, 0
	s_waitcnt lgkmcnt(0)
	v_lshrrev_b32_sdwa v10, s88, v9 dst_sel:DWORD dst_unused:UNUSED_PAD src0_sel:DWORD src1_sel:WORD_0
	v_and_b32_e32 v10, s96, v10
	v_lshlrev_b32_e32 v10, 3, v10
	ds_read_b64 v[10:11], v10
	v_xor_b32_e32 v9, 0x7fff, v9
	s_waitcnt lgkmcnt(0)
	v_lshl_add_u64 v[10:11], v[10:11], 1, s[78:79]
	v_lshl_add_u64 v[10:11], v[10:11], 0, v[26:27]
	global_store_short v[10:11], v9, off
.LBB62_117:
	s_or_b64 exec, exec, s[66:67]
	v_add_u32_e32 v26, 0xe00, v2
	;; [unrolled: 21-line block ×3, first 2 shown]
	v_cmp_gt_u32_e64 s[68:69], s90, v27
	s_and_saveexec_b64 s[70:71], s[68:69]
	s_cbranch_execz .LBB62_121
; %bb.120:
	v_lshlrev_b32_e32 v9, 1, v2
	ds_read_u16 v9, v9 offset:9728
	v_lshlrev_b32_e32 v46, 1, v27
	v_mov_b32_e32 v47, 0
	s_waitcnt lgkmcnt(0)
	v_lshrrev_b32_sdwa v10, s88, v9 dst_sel:DWORD dst_unused:UNUSED_PAD src0_sel:DWORD src1_sel:WORD_0
	v_and_b32_e32 v10, s96, v10
	v_lshlrev_b32_e32 v10, 3, v10
	ds_read_b64 v[10:11], v10
	v_xor_b32_e32 v9, 0x7fff, v9
	s_waitcnt lgkmcnt(0)
	v_lshl_add_u64 v[10:11], v[10:11], 1, s[78:79]
	v_lshl_add_u64 v[10:11], v[10:11], 0, v[46:47]
	global_store_short v[10:11], v9, off
.LBB62_121:
	s_or_b64 exec, exec, s[70:71]
	v_or_b32_e32 v41, 0x1000, v2
	v_cmp_gt_u32_e64 s[70:71], s90, v41
	s_and_saveexec_b64 s[72:73], s[70:71]
	s_cbranch_execz .LBB62_123
; %bb.122:
	v_lshlrev_b32_e32 v9, 1, v2
	ds_read_u16 v9, v9 offset:10240
	v_lshlrev_b32_e32 v46, 1, v41
	v_mov_b32_e32 v47, 0
	s_waitcnt lgkmcnt(0)
	v_lshrrev_b32_sdwa v10, s88, v9 dst_sel:DWORD dst_unused:UNUSED_PAD src0_sel:DWORD src1_sel:WORD_0
	v_and_b32_e32 v10, s96, v10
	v_lshlrev_b32_e32 v10, 3, v10
	ds_read_b64 v[10:11], v10
	v_xor_b32_e32 v9, 0x7fff, v9
	s_waitcnt lgkmcnt(0)
	v_lshl_add_u64 v[10:11], v[10:11], 1, s[78:79]
	v_lshl_add_u64 v[10:11], v[10:11], 0, v[46:47]
	global_store_short v[10:11], v9, off
.LBB62_123:
	s_or_b64 exec, exec, s[72:73]
	v_add_u32_e32 v43, 0x1100, v2
	v_cmp_gt_u32_e64 s[72:73], s90, v43
	s_and_saveexec_b64 s[90:91], s[72:73]
	s_cbranch_execz .LBB62_125
; %bb.124:
	v_lshlrev_b32_e32 v9, 1, v2
	ds_read_u16 v9, v9 offset:10752
	v_lshlrev_b32_e32 v46, 1, v43
	v_mov_b32_e32 v47, 0
	s_waitcnt lgkmcnt(0)
	v_lshrrev_b32_sdwa v10, s88, v9 dst_sel:DWORD dst_unused:UNUSED_PAD src0_sel:DWORD src1_sel:WORD_0
	v_and_b32_e32 v10, s96, v10
	v_lshlrev_b32_e32 v10, 3, v10
	ds_read_b64 v[10:11], v10
	v_xor_b32_e32 v9, 0x7fff, v9
	s_waitcnt lgkmcnt(0)
	v_lshl_add_u64 v[10:11], v[10:11], 1, s[78:79]
	v_lshl_add_u64 v[10:11], v[10:11], 0, v[46:47]
	global_store_short v[10:11], v9, off
.LBB62_125:
	s_or_b64 exec, exec, s[90:91]
	s_lshl_b64 s[90:91], s[92:93], 3
	s_add_u32 s90, s80, s90
	s_addc_u32 s91, s81, s91
	v_lshlrev_b32_e32 v10, 3, v3
	v_mov_b32_e32 v11, 0
	v_lshl_add_u64 v[46:47], s[90:91], 0, v[10:11]
	v_lshlrev_b32_e32 v10, 3, v14
	v_lshl_add_u64 v[10:11], v[46:47], 0, v[10:11]
                                        ; implicit-def: $vgpr60_vgpr61
	s_and_saveexec_b64 s[90:91], vcc
	s_xor_b64 s[90:91], exec, s[90:91]
	s_cbranch_execz .LBB62_143
; %bb.126:
	global_load_dwordx2 v[60:61], v[10:11], off
	s_or_b64 exec, exec, s[90:91]
                                        ; implicit-def: $vgpr62_vgpr63
	s_and_saveexec_b64 s[90:91], s[74:75]
	s_cbranch_execnz .LBB62_144
.LBB62_127:
	s_or_b64 exec, exec, s[90:91]
                                        ; implicit-def: $vgpr64_vgpr65
	s_and_saveexec_b64 s[74:75], s[4:5]
	s_cbranch_execz .LBB62_145
.LBB62_128:
	global_load_dwordx2 v[64:65], v[10:11], off offset:1024
	s_or_b64 exec, exec, s[74:75]
                                        ; implicit-def: $vgpr66_vgpr67
	s_and_saveexec_b64 s[4:5], s[10:11]
	s_cbranch_execnz .LBB62_146
.LBB62_129:
	s_or_b64 exec, exec, s[4:5]
                                        ; implicit-def: $vgpr68_vgpr69
	s_and_saveexec_b64 s[4:5], s[16:17]
	s_cbranch_execz .LBB62_147
.LBB62_130:
	global_load_dwordx2 v[68:69], v[10:11], off offset:2048
	s_or_b64 exec, exec, s[4:5]
                                        ; implicit-def: $vgpr70_vgpr71
	s_and_saveexec_b64 s[4:5], s[20:21]
	s_cbranch_execnz .LBB62_148
.LBB62_131:
	s_or_b64 exec, exec, s[4:5]
                                        ; implicit-def: $vgpr72_vgpr73
	s_and_saveexec_b64 s[4:5], s[24:25]
	s_cbranch_execz .LBB62_149
.LBB62_132:
	global_load_dwordx2 v[72:73], v[10:11], off offset:3072
	s_or_b64 exec, exec, s[4:5]
                                        ; implicit-def: $vgpr74_vgpr75
	s_and_saveexec_b64 s[4:5], s[30:31]
	s_cbranch_execnz .LBB62_150
.LBB62_133:
	s_or_b64 exec, exec, s[4:5]
                                        ; implicit-def: $vgpr76_vgpr77
	s_and_saveexec_b64 s[4:5], s[36:37]
	s_cbranch_execz .LBB62_151
.LBB62_134:
	v_add_co_u32_e32 v46, vcc, 0x1000, v10
	s_nop 1
	v_addc_co_u32_e32 v47, vcc, 0, v11, vcc
	global_load_dwordx2 v[76:77], v[46:47], off
	s_or_b64 exec, exec, s[4:5]
                                        ; implicit-def: $vgpr78_vgpr79
	s_and_saveexec_b64 s[4:5], s[34:35]
	s_cbranch_execnz .LBB62_152
.LBB62_135:
	s_or_b64 exec, exec, s[4:5]
                                        ; implicit-def: $vgpr80_vgpr81
	s_and_saveexec_b64 s[4:5], s[28:29]
	s_cbranch_execz .LBB62_153
.LBB62_136:
	v_add_co_u32_e32 v46, vcc, 0x1000, v10
	s_nop 1
	v_addc_co_u32_e32 v47, vcc, 0, v11, vcc
	global_load_dwordx2 v[80:81], v[46:47], off offset:1024
	s_or_b64 exec, exec, s[4:5]
                                        ; implicit-def: $vgpr82_vgpr83
	s_and_saveexec_b64 s[4:5], s[26:27]
	s_cbranch_execnz .LBB62_154
.LBB62_137:
	s_or_b64 exec, exec, s[4:5]
                                        ; implicit-def: $vgpr84_vgpr85
	s_and_saveexec_b64 s[4:5], s[22:23]
	s_cbranch_execz .LBB62_155
.LBB62_138:
	v_add_co_u32_e32 v46, vcc, 0x1000, v10
	s_nop 1
	v_addc_co_u32_e32 v47, vcc, 0, v11, vcc
	global_load_dwordx2 v[84:85], v[46:47], off offset:2048
	s_or_b64 exec, exec, s[4:5]
                                        ; implicit-def: $vgpr86_vgpr87
	s_and_saveexec_b64 s[4:5], s[18:19]
	s_cbranch_execnz .LBB62_156
.LBB62_139:
	s_or_b64 exec, exec, s[4:5]
                                        ; implicit-def: $vgpr88_vgpr89
	s_and_saveexec_b64 s[4:5], s[14:15]
	s_cbranch_execz .LBB62_157
.LBB62_140:
	v_add_co_u32_e32 v46, vcc, 0x1000, v10
	s_nop 1
	v_addc_co_u32_e32 v47, vcc, 0, v11, vcc
	global_load_dwordx2 v[88:89], v[46:47], off offset:3072
	s_or_b64 exec, exec, s[4:5]
                                        ; implicit-def: $vgpr90_vgpr91
	s_and_saveexec_b64 s[4:5], s[12:13]
	s_cbranch_execnz .LBB62_158
.LBB62_141:
	s_or_b64 exec, exec, s[4:5]
                                        ; implicit-def: $vgpr92_vgpr93
	s_and_saveexec_b64 s[4:5], s[8:9]
	s_cbranch_execz .LBB62_159
.LBB62_142:
	v_add_co_u32_e32 v46, vcc, 0x2000, v10
	s_nop 1
	v_addc_co_u32_e32 v47, vcc, 0, v11, vcc
	global_load_dwordx2 v[92:93], v[46:47], off
	s_or_b64 exec, exec, s[4:5]
                                        ; implicit-def: $vgpr94_vgpr95
	s_and_saveexec_b64 s[4:5], s[6:7]
	s_cbranch_execnz .LBB62_160
	s_branch .LBB62_161
.LBB62_143:
	s_or_b64 exec, exec, s[90:91]
                                        ; implicit-def: $vgpr62_vgpr63
	s_and_saveexec_b64 s[90:91], s[74:75]
	s_cbranch_execz .LBB62_127
.LBB62_144:
	global_load_dwordx2 v[62:63], v[10:11], off offset:512
	s_or_b64 exec, exec, s[90:91]
                                        ; implicit-def: $vgpr64_vgpr65
	s_and_saveexec_b64 s[74:75], s[4:5]
	s_cbranch_execnz .LBB62_128
.LBB62_145:
	s_or_b64 exec, exec, s[74:75]
                                        ; implicit-def: $vgpr66_vgpr67
	s_and_saveexec_b64 s[4:5], s[10:11]
	s_cbranch_execz .LBB62_129
.LBB62_146:
	global_load_dwordx2 v[66:67], v[10:11], off offset:1536
	s_or_b64 exec, exec, s[4:5]
                                        ; implicit-def: $vgpr68_vgpr69
	s_and_saveexec_b64 s[4:5], s[16:17]
	s_cbranch_execnz .LBB62_130
.LBB62_147:
	s_or_b64 exec, exec, s[4:5]
                                        ; implicit-def: $vgpr70_vgpr71
	s_and_saveexec_b64 s[4:5], s[20:21]
	s_cbranch_execz .LBB62_131
.LBB62_148:
	global_load_dwordx2 v[70:71], v[10:11], off offset:2560
	s_or_b64 exec, exec, s[4:5]
                                        ; implicit-def: $vgpr72_vgpr73
	s_and_saveexec_b64 s[4:5], s[24:25]
	s_cbranch_execnz .LBB62_132
.LBB62_149:
	s_or_b64 exec, exec, s[4:5]
                                        ; implicit-def: $vgpr74_vgpr75
	s_and_saveexec_b64 s[4:5], s[30:31]
	s_cbranch_execz .LBB62_133
.LBB62_150:
	global_load_dwordx2 v[74:75], v[10:11], off offset:3584
	s_or_b64 exec, exec, s[4:5]
                                        ; implicit-def: $vgpr76_vgpr77
	s_and_saveexec_b64 s[4:5], s[36:37]
	s_cbranch_execnz .LBB62_134
.LBB62_151:
	s_or_b64 exec, exec, s[4:5]
                                        ; implicit-def: $vgpr78_vgpr79
	s_and_saveexec_b64 s[4:5], s[34:35]
	s_cbranch_execz .LBB62_135
.LBB62_152:
	v_add_co_u32_e32 v46, vcc, 0x1000, v10
	s_nop 1
	v_addc_co_u32_e32 v47, vcc, 0, v11, vcc
	global_load_dwordx2 v[78:79], v[46:47], off offset:512
	s_or_b64 exec, exec, s[4:5]
                                        ; implicit-def: $vgpr80_vgpr81
	s_and_saveexec_b64 s[4:5], s[28:29]
	s_cbranch_execnz .LBB62_136
.LBB62_153:
	s_or_b64 exec, exec, s[4:5]
                                        ; implicit-def: $vgpr82_vgpr83
	s_and_saveexec_b64 s[4:5], s[26:27]
	s_cbranch_execz .LBB62_137
.LBB62_154:
	v_add_co_u32_e32 v46, vcc, 0x1000, v10
	s_nop 1
	v_addc_co_u32_e32 v47, vcc, 0, v11, vcc
	global_load_dwordx2 v[82:83], v[46:47], off offset:1536
	s_or_b64 exec, exec, s[4:5]
                                        ; implicit-def: $vgpr84_vgpr85
	s_and_saveexec_b64 s[4:5], s[22:23]
	s_cbranch_execnz .LBB62_138
.LBB62_155:
	s_or_b64 exec, exec, s[4:5]
                                        ; implicit-def: $vgpr86_vgpr87
	s_and_saveexec_b64 s[4:5], s[18:19]
	s_cbranch_execz .LBB62_139
.LBB62_156:
	v_add_co_u32_e32 v46, vcc, 0x1000, v10
	s_nop 1
	v_addc_co_u32_e32 v47, vcc, 0, v11, vcc
	global_load_dwordx2 v[86:87], v[46:47], off offset:2560
	s_or_b64 exec, exec, s[4:5]
                                        ; implicit-def: $vgpr88_vgpr89
	s_and_saveexec_b64 s[4:5], s[14:15]
	s_cbranch_execnz .LBB62_140
.LBB62_157:
	s_or_b64 exec, exec, s[4:5]
                                        ; implicit-def: $vgpr90_vgpr91
	s_and_saveexec_b64 s[4:5], s[12:13]
	s_cbranch_execz .LBB62_141
.LBB62_158:
	v_add_co_u32_e32 v46, vcc, 0x1000, v10
	s_nop 1
	v_addc_co_u32_e32 v47, vcc, 0, v11, vcc
	global_load_dwordx2 v[90:91], v[46:47], off offset:3584
	s_or_b64 exec, exec, s[4:5]
                                        ; implicit-def: $vgpr92_vgpr93
	s_and_saveexec_b64 s[4:5], s[8:9]
	s_cbranch_execnz .LBB62_142
.LBB62_159:
	s_or_b64 exec, exec, s[4:5]
                                        ; implicit-def: $vgpr94_vgpr95
	s_and_saveexec_b64 s[4:5], s[6:7]
	s_cbranch_execz .LBB62_161
.LBB62_160:
	v_add_co_u32_e32 v10, vcc, 0x2000, v10
	s_nop 1
	v_addc_co_u32_e32 v11, vcc, 0, v11, vcc
	global_load_dwordx2 v[94:95], v[10:11], off offset:512
.LBB62_161:
	s_or_b64 exec, exec, s[4:5]
	v_mov_b32_e32 v56, 0
	v_mov_b32_e32 v9, 0
	s_and_saveexec_b64 s[4:5], s[38:39]
	s_cbranch_execz .LBB62_163
; %bb.162:
	v_lshlrev_b32_e32 v3, 1, v2
	ds_read_u16 v3, v3 offset:2048
	s_waitcnt lgkmcnt(0)
	v_lshrrev_b32_e32 v3, s88, v3
	v_and_b32_e32 v9, s96, v3
.LBB62_163:
	s_or_b64 exec, exec, s[4:5]
	s_and_saveexec_b64 s[4:5], s[40:41]
	s_cbranch_execz .LBB62_165
; %bb.164:
	v_lshlrev_b32_e32 v3, 1, v2
	ds_read_u16 v3, v3 offset:2560
	s_waitcnt lgkmcnt(0)
	v_lshrrev_b32_e32 v3, s88, v3
	v_and_b32_e32 v56, s96, v3
.LBB62_165:
	s_or_b64 exec, exec, s[4:5]
	v_mov_b32_e32 v54, 0
	v_mov_b32_e32 v58, 0
	s_and_saveexec_b64 s[4:5], s[42:43]
	s_cbranch_execz .LBB62_167
; %bb.166:
	v_lshlrev_b32_e32 v3, 1, v2
	ds_read_u16 v3, v3 offset:3072
	s_waitcnt lgkmcnt(0)
	v_lshrrev_b32_e32 v3, s88, v3
	v_and_b32_e32 v58, s96, v3
.LBB62_167:
	s_or_b64 exec, exec, s[4:5]
	s_and_saveexec_b64 s[4:5], s[44:45]
	s_cbranch_execz .LBB62_169
; %bb.168:
	v_lshlrev_b32_e32 v3, 1, v2
	ds_read_u16 v3, v3 offset:3584
	s_waitcnt lgkmcnt(0)
	v_lshrrev_b32_e32 v3, s88, v3
	v_and_b32_e32 v54, s96, v3
.LBB62_169:
	;; [unrolled: 22-line block ×9, first 2 shown]
	s_or_b64 exec, exec, s[4:5]
	v_lshlrev_b32_e32 v2, 3, v48
	s_barrier
	s_waitcnt vmcnt(0)
	ds_write_b64 v2, v[60:61] offset:2048
	v_lshlrev_b32_e32 v2, 3, v45
	ds_write_b64 v2, v[62:63] offset:2048
	v_lshlrev_b32_e32 v2, 3, v42
	;; [unrolled: 2-line block ×17, first 2 shown]
	ds_write_b64 v2, v[94:95] offset:2048
	s_waitcnt lgkmcnt(0)
	s_barrier
	s_and_saveexec_b64 s[4:5], s[38:39]
	s_cbranch_execz .LBB62_274
; %bb.198:
	v_lshlrev_b32_e32 v2, 3, v9
	ds_read_b64 v[28:29], v2
	ds_read_b64 v[30:31], v8 offset:2048
	v_mov_b32_e32 v9, 0
	s_waitcnt lgkmcnt(1)
	v_lshl_add_u64 v[28:29], v[28:29], 3, s[82:83]
	v_lshl_add_u64 v[28:29], v[28:29], 0, v[8:9]
	s_waitcnt lgkmcnt(0)
	global_store_dwordx2 v[28:29], v[30:31], off
	s_or_b64 exec, exec, s[4:5]
	s_and_saveexec_b64 s[4:5], s[40:41]
	s_cbranch_execnz .LBB62_275
.LBB62_199:
	s_or_b64 exec, exec, s[4:5]
	s_and_saveexec_b64 s[4:5], s[42:43]
	s_cbranch_execz .LBB62_276
.LBB62_200:
	v_lshlrev_b32_e32 v2, 3, v58
	ds_read_b64 v[28:29], v2
	ds_read_b64 v[30:31], v8 offset:6144
	v_lshlrev_b32_e32 v32, 3, v12
	v_mov_b32_e32 v33, 0
	s_waitcnt lgkmcnt(1)
	v_lshl_add_u64 v[28:29], v[28:29], 3, s[82:83]
	v_lshl_add_u64 v[28:29], v[28:29], 0, v[32:33]
	s_waitcnt lgkmcnt(0)
	global_store_dwordx2 v[28:29], v[30:31], off
	s_or_b64 exec, exec, s[4:5]
	s_and_saveexec_b64 s[4:5], s[44:45]
	s_cbranch_execnz .LBB62_277
.LBB62_201:
	s_or_b64 exec, exec, s[4:5]
	s_and_saveexec_b64 s[4:5], s[46:47]
	s_cbranch_execz .LBB62_278
.LBB62_202:
	v_lshlrev_b32_e32 v2, 3, v57
	ds_read_b64 v[12:13], v2
	ds_read_b64 v[28:29], v8 offset:10240
	v_lshlrev_b32_e32 v30, 3, v15
	v_mov_b32_e32 v31, 0
	s_waitcnt lgkmcnt(1)
	v_lshl_add_u64 v[12:13], v[12:13], 3, s[82:83]
	v_lshl_add_u64 v[12:13], v[12:13], 0, v[30:31]
	s_waitcnt lgkmcnt(0)
	global_store_dwordx2 v[12:13], v[28:29], off
	s_or_b64 exec, exec, s[4:5]
	s_and_saveexec_b64 s[4:5], s[48:49]
	s_cbranch_execnz .LBB62_279
.LBB62_203:
	s_or_b64 exec, exec, s[4:5]
	s_and_saveexec_b64 s[4:5], s[50:51]
	s_cbranch_execz .LBB62_280
.LBB62_204:
	v_lshlrev_b32_e32 v2, 3, v55
	ds_read_b64 v[12:13], v2
	ds_read_b64 v[28:29], v8 offset:14336
	v_lshlrev_b32_e32 v16, 3, v17
	v_mov_b32_e32 v17, 0
	s_waitcnt lgkmcnt(1)
	v_lshl_add_u64 v[12:13], v[12:13], 3, s[82:83]
	v_lshl_add_u64 v[12:13], v[12:13], 0, v[16:17]
	s_waitcnt lgkmcnt(0)
	global_store_dwordx2 v[12:13], v[28:29], off
	s_or_b64 exec, exec, s[4:5]
	s_and_saveexec_b64 s[4:5], s[52:53]
	s_cbranch_execnz .LBB62_281
.LBB62_205:
	s_or_b64 exec, exec, s[4:5]
	s_and_saveexec_b64 s[4:5], s[54:55]
	s_cbranch_execz .LBB62_282
.LBB62_206:
	v_lshlrev_b32_e32 v2, 3, v53
	ds_read_b64 v[12:13], v2
	ds_read_b64 v[16:17], v8 offset:18432
	v_lshlrev_b32_e32 v18, 3, v20
	v_mov_b32_e32 v19, 0
	s_waitcnt lgkmcnt(1)
	v_lshl_add_u64 v[12:13], v[12:13], 3, s[82:83]
	v_lshl_add_u64 v[12:13], v[12:13], 0, v[18:19]
	s_waitcnt lgkmcnt(0)
	global_store_dwordx2 v[12:13], v[16:17], off
	s_or_b64 exec, exec, s[4:5]
	s_and_saveexec_b64 s[4:5], s[56:57]
	s_cbranch_execnz .LBB62_283
.LBB62_207:
	s_or_b64 exec, exec, s[4:5]
	s_and_saveexec_b64 s[4:5], s[58:59]
	s_cbranch_execz .LBB62_284
.LBB62_208:
	v_lshlrev_b32_e32 v2, 3, v51
	ds_read_b64 v[12:13], v2
	ds_read_b64 v[16:17], v8 offset:22528
	v_lshlrev_b32_e32 v18, 3, v22
	v_mov_b32_e32 v19, 0
	s_waitcnt lgkmcnt(1)
	v_lshl_add_u64 v[12:13], v[12:13], 3, s[82:83]
	v_lshl_add_u64 v[12:13], v[12:13], 0, v[18:19]
	s_waitcnt lgkmcnt(0)
	global_store_dwordx2 v[12:13], v[16:17], off
	s_or_b64 exec, exec, s[4:5]
	s_and_saveexec_b64 s[4:5], s[60:61]
	s_cbranch_execnz .LBB62_285
.LBB62_209:
	s_or_b64 exec, exec, s[4:5]
	s_and_saveexec_b64 s[4:5], s[62:63]
	s_cbranch_execz .LBB62_286
.LBB62_210:
	v_lshlrev_b32_e32 v2, 3, v49
	ds_read_b64 v[12:13], v2
	ds_read_b64 v[16:17], v8 offset:26624
	v_lshlrev_b32_e32 v18, 3, v24
	v_mov_b32_e32 v19, 0
	s_waitcnt lgkmcnt(1)
	v_lshl_add_u64 v[12:13], v[12:13], 3, s[82:83]
	v_lshl_add_u64 v[12:13], v[12:13], 0, v[18:19]
	s_waitcnt lgkmcnt(0)
	global_store_dwordx2 v[12:13], v[16:17], off
	s_or_b64 exec, exec, s[4:5]
	s_and_saveexec_b64 s[4:5], s[64:65]
	s_cbranch_execnz .LBB62_287
.LBB62_211:
	s_or_b64 exec, exec, s[4:5]
	s_and_saveexec_b64 s[4:5], s[66:67]
	s_cbranch_execz .LBB62_288
.LBB62_212:
	v_lshlrev_b32_e32 v2, 3, v46
	ds_read_b64 v[12:13], v2
	ds_read_b64 v[16:17], v8 offset:30720
	v_lshlrev_b32_e32 v18, 3, v26
	v_mov_b32_e32 v19, 0
	s_waitcnt lgkmcnt(1)
	v_lshl_add_u64 v[12:13], v[12:13], 3, s[82:83]
	v_lshl_add_u64 v[12:13], v[12:13], 0, v[18:19]
	s_waitcnt lgkmcnt(0)
	global_store_dwordx2 v[12:13], v[16:17], off
	s_or_b64 exec, exec, s[4:5]
	s_and_saveexec_b64 s[4:5], s[68:69]
	s_cbranch_execnz .LBB62_289
.LBB62_213:
	s_or_b64 exec, exec, s[4:5]
	s_and_saveexec_b64 s[4:5], s[70:71]
	s_cbranch_execz .LBB62_290
.LBB62_214:
	v_lshlrev_b32_e32 v2, 3, v14
	ds_read_b64 v[10:11], v2
	ds_read_b64 v[12:13], v8 offset:34816
	v_lshlrev_b32_e32 v14, 3, v41
	v_mov_b32_e32 v15, 0
	s_waitcnt lgkmcnt(1)
	v_lshl_add_u64 v[10:11], v[10:11], 3, s[82:83]
	v_lshl_add_u64 v[10:11], v[10:11], 0, v[14:15]
	s_waitcnt lgkmcnt(0)
	global_store_dwordx2 v[10:11], v[12:13], off
	s_or_b64 exec, exec, s[4:5]
	s_and_saveexec_b64 s[4:5], s[72:73]
	s_cbranch_execnz .LBB62_291
.LBB62_215:
	s_or_b64 exec, exec, s[4:5]
	s_add_i32 s33, s33, -1
	s_cmp_eq_u32 s2, s33
	s_cbranch_scc0 .LBB62_217
.LBB62_216:
	ds_read_b64 v[2:3], v8
	v_mov_b32_e32 v7, 0
	v_lshl_add_u64 v[4:5], v[6:7], 0, v[4:5]
	s_waitcnt lgkmcnt(0)
	v_lshl_add_u64 v[2:3], v[4:5], 0, v[2:3]
	global_store_dwordx2 v8, v[2:3], s[86:87]
.LBB62_217:
	s_mov_b64 s[4:5], 0
.LBB62_218:
	s_and_b64 vcc, exec, s[4:5]
	s_cbranch_vccz .LBB62_273
; %bb.219:
	s_mov_b32 s93, 0
	s_lshl_b64 s[4:5], s[92:93], 1
	s_add_u32 s4, s76, s4
	v_mbcnt_hi_u32_b32 v12, -1, v1
	s_addc_u32 s5, s77, s5
	v_mov_b32_e32 v5, 0
	v_lshlrev_b32_e32 v4, 1, v12
	v_lshl_add_u64 v[6:7], s[4:5], 0, v[4:5]
	s_load_dword s8, s[0:1], 0x50
	s_load_dword s4, s[0:1], 0x5c
	v_and_b32_e32 v8, 0xc0, v0
	v_mul_u32_u24_e32 v3, 18, v8
	s_add_u32 s0, s0, 0x50
	v_lshlrev_b32_e32 v4, 1, v3
	s_addc_u32 s1, s1, 0
	s_waitcnt lgkmcnt(0)
	s_lshr_b32 s4, s4, 16
	v_lshl_add_u64 v[16:17], v[6:7], 0, v[4:5]
	s_cmp_lt_u32 s2, s8
	global_load_ushort v1, v[16:17], off
	s_cselect_b32 s5, 12, 18
	s_add_u32 s0, s0, s5
	s_addc_u32 s1, s1, 0
	global_load_ushort v9, v5, s[0:1]
	v_and_b32_e32 v2, 0x3ff, v0
	v_mul_u32_u24_e32 v6, 20, v2
	ds_write2_b32 v6, v5, v5 offset0:4 offset1:5
	ds_write2_b32 v6, v5, v5 offset0:6 offset1:7
	ds_write_b32 v6, v5 offset:32
	global_load_ushort v10, v[16:17], off offset:128
	global_load_ushort v15, v[16:17], off offset:256
	;; [unrolled: 1-line block ×17, first 2 shown]
	v_bfe_u32 v4, v0, 10, 10
	v_bfe_u32 v7, v0, 20, 10
	v_mad_u32_u24 v11, v7, s4, v4
	s_lshl_b32 s0, -1, s89
	v_mov_b32_e32 v0, v5
	s_not_b32 s9, s0
	v_mov_b32_e32 v22, v5
	v_mov_b32_e32 v28, v5
	s_waitcnt lgkmcnt(0)
	s_barrier
	s_waitcnt vmcnt(18)
	; wave barrier
	v_xor_b32_e32 v7, 0x7fff, v1
	v_lshrrev_b32_sdwa v1, s88, v7 dst_sel:DWORD dst_unused:UNUSED_PAD src0_sel:DWORD src1_sel:WORD_0
	v_bitop3_b32 v13, v1, s0, v1 bitop3:0x30
	v_and_b32_e32 v4, 1, v13
	v_lshlrev_b32_e32 v1, 30, v13
	s_waitcnt vmcnt(17)
	v_mad_u64_u32 v[32:33], s[0:1], v11, v9, v[2:3]
	v_lshlrev_b32_e32 v23, 29, v13
	v_lshl_add_u64 v[38:39], v[4:5], 0, -1
	v_cmp_ne_u32_e32 vcc, 0, v4
	v_cmp_gt_i64_e64 s[0:1], 0, v[0:1]
	v_not_b32_e32 v0, v1
	v_lshlrev_b32_e32 v29, 28, v13
	v_not_b32_e32 v1, v23
	v_xor_b32_e32 v14, vcc_lo, v38
	v_ashrrev_i32_e32 v0, 31, v0
	v_cmp_gt_i64_e64 s[4:5], 0, v[22:23]
	v_not_b32_e32 v4, v29
	v_ashrrev_i32_e32 v1, 31, v1
	v_and_b32_e32 v14, exec_lo, v14
	v_xor_b32_e32 v16, s1, v0
	v_xor_b32_e32 v0, s0, v0
	v_cmp_gt_i64_e64 s[6:7], 0, v[28:29]
	v_xor_b32_e32 v11, vcc_hi, v39
	v_ashrrev_i32_e32 v4, 31, v4
	v_xor_b32_e32 v18, s5, v1
	v_xor_b32_e32 v1, s4, v1
	v_and_b32_e32 v0, v14, v0
	v_lshlrev_b32_e32 v17, 27, v13
	v_and_b32_e32 v11, exec_hi, v11
	v_xor_b32_e32 v22, s7, v4
	v_xor_b32_e32 v4, s6, v4
	v_and_b32_e32 v0, v0, v1
	v_and_b32_e32 v11, v11, v16
	;; [unrolled: 1-line block ×3, first 2 shown]
	v_mov_b32_e32 v16, v5
	v_not_b32_e32 v4, v17
	v_and_b32_e32 v11, v11, v18
	v_cmp_gt_i64_e32 vcc, 0, v[16:17]
	v_ashrrev_i32_e32 v4, 31, v4
	v_and_b32_e32 v1, v11, v22
	v_xor_b32_e32 v11, vcc_hi, v4
	v_xor_b32_e32 v4, vcc_lo, v4
	v_and_b32_e32 v11, v1, v11
	v_and_b32_e32 v4, v0, v4
	v_lshlrev_b32_e32 v1, 26, v13
	v_mov_b32_e32 v0, v5
	v_cmp_gt_i64_e32 vcc, 0, v[0:1]
	v_not_b32_e32 v0, v1
	v_ashrrev_i32_e32 v0, 31, v0
	v_xor_b32_e32 v1, vcc_hi, v0
	v_xor_b32_e32 v0, vcc_lo, v0
	v_and_b32_e32 v11, v11, v1
	v_and_b32_e32 v4, v4, v0
	v_lshlrev_b32_e32 v1, 25, v13
	v_mov_b32_e32 v0, v5
	v_cmp_gt_i64_e32 vcc, 0, v[0:1]
	v_not_b32_e32 v0, v1
	v_ashrrev_i32_e32 v0, 31, v0
	;; [unrolled: 9-line block ×3, first 2 shown]
	v_xor_b32_e32 v1, vcc_hi, v0
	v_xor_b32_e32 v0, vcc_lo, v0
	v_and_b32_e32 v0, v4, v0
	v_and_b32_e32 v1, v11, v1
	v_mbcnt_lo_u32_b32 v4, v0, 0
	v_lshrrev_b32_e32 v9, 6, v32
	v_mbcnt_hi_u32_b32 v11, v1, v4
	v_lshlrev_b32_e32 v20, 2, v9
	v_cmp_eq_u32_e32 vcc, 0, v11
	v_cmp_ne_u64_e64 s[0:1], 0, v[0:1]
	v_mad_u32_u24 v9, v13, 20, v20
	s_and_b64 s[4:5], s[0:1], vcc
	s_and_saveexec_b64 s[0:1], s[4:5]
; %bb.220:
	v_bcnt_u32_b32 v0, v0, 0
	v_bcnt_u32_b32 v0, v1, v0
	ds_write_b32 v9, v0 offset:16
; %bb.221:
	s_or_b64 exec, exec, s[0:1]
	s_waitcnt vmcnt(16)
	v_xor_b32_e32 v10, 0x7fff, v10
	v_lshrrev_b32_sdwa v0, s88, v10 dst_sel:DWORD dst_unused:UNUSED_PAD src0_sel:DWORD src1_sel:WORD_0
	v_and_b32_e32 v16, s9, v0
	v_and_b32_e32 v4, 1, v16
	v_lshl_add_u64 v[0:1], v[4:5], 0, -1
	v_cmp_ne_u32_e32 vcc, 0, v4
	v_mad_u32_u24 v14, v16, 20, v20
	s_nop 0
	v_xor_b32_e32 v1, vcc_hi, v1
	v_xor_b32_e32 v0, vcc_lo, v0
	v_and_b32_e32 v4, exec_hi, v1
	v_and_b32_e32 v17, exec_lo, v0
	v_lshlrev_b32_e32 v1, 30, v16
	v_mov_b32_e32 v0, v5
	v_cmp_gt_i64_e32 vcc, 0, v[0:1]
	v_not_b32_e32 v0, v1
	v_ashrrev_i32_e32 v0, 31, v0
	v_xor_b32_e32 v1, vcc_hi, v0
	v_xor_b32_e32 v0, vcc_lo, v0
	v_and_b32_e32 v4, v4, v1
	v_and_b32_e32 v17, v17, v0
	v_lshlrev_b32_e32 v1, 29, v16
	v_mov_b32_e32 v0, v5
	v_cmp_gt_i64_e32 vcc, 0, v[0:1]
	v_not_b32_e32 v0, v1
	v_ashrrev_i32_e32 v0, 31, v0
	v_xor_b32_e32 v1, vcc_hi, v0
	v_xor_b32_e32 v0, vcc_lo, v0
	v_and_b32_e32 v4, v4, v1
	v_and_b32_e32 v17, v17, v0
	;; [unrolled: 9-line block ×6, first 2 shown]
	v_lshlrev_b32_e32 v1, 24, v16
	v_mov_b32_e32 v0, v5
	v_cmp_gt_i64_e32 vcc, 0, v[0:1]
	v_not_b32_e32 v0, v1
	v_ashrrev_i32_e32 v0, 31, v0
	v_xor_b32_e32 v1, vcc_hi, v0
	v_xor_b32_e32 v0, vcc_lo, v0
	; wave barrier
	ds_read_b32 v13, v14 offset:16
	v_and_b32_e32 v0, v17, v0
	v_and_b32_e32 v1, v4, v1
	v_mbcnt_lo_u32_b32 v4, v0, 0
	v_mbcnt_hi_u32_b32 v16, v1, v4
	v_cmp_eq_u32_e32 vcc, 0, v16
	v_cmp_ne_u64_e64 s[0:1], 0, v[0:1]
	s_and_b64 s[4:5], s[0:1], vcc
	; wave barrier
	s_and_saveexec_b64 s[0:1], s[4:5]
	s_cbranch_execz .LBB62_223
; %bb.222:
	v_bcnt_u32_b32 v0, v0, 0
	v_bcnt_u32_b32 v0, v1, v0
	s_waitcnt lgkmcnt(0)
	v_add_u32_e32 v0, v13, v0
	ds_write_b32 v14, v0 offset:16
.LBB62_223:
	s_or_b64 exec, exec, s[0:1]
	s_waitcnt vmcnt(15)
	v_xor_b32_e32 v15, 0x7fff, v15
	v_lshrrev_b32_sdwa v0, s88, v15 dst_sel:DWORD dst_unused:UNUSED_PAD src0_sel:DWORD src1_sel:WORD_0
	v_and_b32_e32 v22, s9, v0
	v_and_b32_e32 v0, 1, v22
	v_mov_b32_e32 v1, 0
	v_lshl_add_u64 v[4:5], v[0:1], 0, -1
	v_cmp_ne_u32_e32 vcc, 0, v0
	v_mad_u32_u24 v18, v22, 20, v20
	s_nop 0
	v_xor_b32_e32 v4, vcc_lo, v4
	v_xor_b32_e32 v0, vcc_hi, v5
	v_and_b32_e32 v23, exec_lo, v4
	v_lshlrev_b32_e32 v5, 30, v22
	v_mov_b32_e32 v4, v1
	v_cmp_gt_i64_e32 vcc, 0, v[4:5]
	v_not_b32_e32 v4, v5
	v_ashrrev_i32_e32 v4, 31, v4
	v_and_b32_e32 v0, exec_hi, v0
	v_xor_b32_e32 v5, vcc_hi, v4
	v_xor_b32_e32 v4, vcc_lo, v4
	v_and_b32_e32 v0, v0, v5
	v_and_b32_e32 v23, v23, v4
	v_lshlrev_b32_e32 v5, 29, v22
	v_mov_b32_e32 v4, v1
	v_cmp_gt_i64_e32 vcc, 0, v[4:5]
	v_not_b32_e32 v4, v5
	v_ashrrev_i32_e32 v4, 31, v4
	v_xor_b32_e32 v5, vcc_hi, v4
	v_xor_b32_e32 v4, vcc_lo, v4
	v_and_b32_e32 v0, v0, v5
	v_and_b32_e32 v23, v23, v4
	v_lshlrev_b32_e32 v5, 28, v22
	v_mov_b32_e32 v4, v1
	v_cmp_gt_i64_e32 vcc, 0, v[4:5]
	v_not_b32_e32 v4, v5
	v_ashrrev_i32_e32 v4, 31, v4
	;; [unrolled: 9-line block ×6, first 2 shown]
	v_xor_b32_e32 v5, vcc_hi, v4
	v_xor_b32_e32 v4, vcc_lo, v4
	; wave barrier
	ds_read_b32 v17, v18 offset:16
	v_and_b32_e32 v4, v23, v4
	v_and_b32_e32 v5, v0, v5
	v_mbcnt_lo_u32_b32 v0, v4, 0
	v_mbcnt_hi_u32_b32 v22, v5, v0
	v_cmp_eq_u32_e32 vcc, 0, v22
	v_cmp_ne_u64_e64 s[0:1], 0, v[4:5]
	s_and_b64 s[4:5], s[0:1], vcc
	; wave barrier
	s_and_saveexec_b64 s[0:1], s[4:5]
	s_cbranch_execz .LBB62_225
; %bb.224:
	v_bcnt_u32_b32 v0, v4, 0
	v_bcnt_u32_b32 v0, v5, v0
	s_waitcnt lgkmcnt(0)
	v_add_u32_e32 v0, v17, v0
	ds_write_b32 v18, v0 offset:16
.LBB62_225:
	s_or_b64 exec, exec, s[0:1]
	s_waitcnt vmcnt(14)
	v_xor_b32_e32 v21, 0x7fff, v21
	v_lshrrev_b32_sdwa v0, s88, v21 dst_sel:DWORD dst_unused:UNUSED_PAD src0_sel:DWORD src1_sel:WORD_0
	v_and_b32_e32 v27, s9, v0
	v_and_b32_e32 v0, 1, v27
	v_lshl_add_u64 v[4:5], v[0:1], 0, -1
	v_cmp_ne_u32_e32 vcc, 0, v0
	v_mad_u32_u24 v24, v27, 20, v20
	s_nop 0
	v_xor_b32_e32 v4, vcc_lo, v4
	v_xor_b32_e32 v0, vcc_hi, v5
	v_and_b32_e32 v28, exec_lo, v4
	v_lshlrev_b32_e32 v5, 30, v27
	v_mov_b32_e32 v4, v1
	v_cmp_gt_i64_e32 vcc, 0, v[4:5]
	v_not_b32_e32 v4, v5
	v_ashrrev_i32_e32 v4, 31, v4
	v_and_b32_e32 v0, exec_hi, v0
	v_xor_b32_e32 v5, vcc_hi, v4
	v_xor_b32_e32 v4, vcc_lo, v4
	v_and_b32_e32 v0, v0, v5
	v_and_b32_e32 v28, v28, v4
	v_lshlrev_b32_e32 v5, 29, v27
	v_mov_b32_e32 v4, v1
	v_cmp_gt_i64_e32 vcc, 0, v[4:5]
	v_not_b32_e32 v4, v5
	v_ashrrev_i32_e32 v4, 31, v4
	v_xor_b32_e32 v5, vcc_hi, v4
	v_xor_b32_e32 v4, vcc_lo, v4
	v_and_b32_e32 v0, v0, v5
	v_and_b32_e32 v28, v28, v4
	v_lshlrev_b32_e32 v5, 28, v27
	v_mov_b32_e32 v4, v1
	v_cmp_gt_i64_e32 vcc, 0, v[4:5]
	v_not_b32_e32 v4, v5
	v_ashrrev_i32_e32 v4, 31, v4
	;; [unrolled: 9-line block ×5, first 2 shown]
	v_xor_b32_e32 v5, vcc_hi, v4
	v_xor_b32_e32 v4, vcc_lo, v4
	v_and_b32_e32 v0, v0, v5
	v_lshlrev_b32_e32 v5, 24, v27
	v_and_b32_e32 v28, v28, v4
	v_mov_b32_e32 v4, v1
	v_not_b32_e32 v1, v5
	v_cmp_gt_i64_e32 vcc, 0, v[4:5]
	v_ashrrev_i32_e32 v1, 31, v1
	; wave barrier
	s_nop 0
	v_xor_b32_e32 v4, vcc_hi, v1
	v_xor_b32_e32 v5, vcc_lo, v1
	ds_read_b32 v23, v24 offset:16
	v_and_b32_e32 v1, v0, v4
	v_and_b32_e32 v0, v28, v5
	v_mbcnt_lo_u32_b32 v4, v0, 0
	v_mbcnt_hi_u32_b32 v27, v1, v4
	v_cmp_eq_u32_e32 vcc, 0, v27
	v_cmp_ne_u64_e64 s[0:1], 0, v[0:1]
	s_and_b64 s[4:5], s[0:1], vcc
	; wave barrier
	s_and_saveexec_b64 s[0:1], s[4:5]
	s_cbranch_execz .LBB62_227
; %bb.226:
	v_bcnt_u32_b32 v0, v0, 0
	v_bcnt_u32_b32 v0, v1, v0
	s_waitcnt lgkmcnt(0)
	v_add_u32_e32 v0, v23, v0
	ds_write_b32 v24, v0 offset:16
.LBB62_227:
	s_or_b64 exec, exec, s[0:1]
	s_waitcnt vmcnt(13)
	v_xor_b32_e32 v26, 0x7fff, v26
	v_lshrrev_b32_sdwa v0, s88, v26 dst_sel:DWORD dst_unused:UNUSED_PAD src0_sel:DWORD src1_sel:WORD_0
	v_and_b32_e32 v32, s9, v0
	v_and_b32_e32 v0, 1, v32
	v_mov_b32_e32 v1, 0
	v_lshl_add_u64 v[4:5], v[0:1], 0, -1
	v_cmp_ne_u32_e32 vcc, 0, v0
	v_mad_u32_u24 v29, v32, 20, v20
	s_nop 0
	v_xor_b32_e32 v4, vcc_lo, v4
	v_xor_b32_e32 v0, vcc_hi, v5
	v_and_b32_e32 v33, exec_lo, v4
	v_lshlrev_b32_e32 v5, 30, v32
	v_mov_b32_e32 v4, v1
	v_cmp_gt_i64_e32 vcc, 0, v[4:5]
	v_not_b32_e32 v4, v5
	v_ashrrev_i32_e32 v4, 31, v4
	v_and_b32_e32 v0, exec_hi, v0
	v_xor_b32_e32 v5, vcc_hi, v4
	v_xor_b32_e32 v4, vcc_lo, v4
	v_and_b32_e32 v0, v0, v5
	v_and_b32_e32 v33, v33, v4
	v_lshlrev_b32_e32 v5, 29, v32
	v_mov_b32_e32 v4, v1
	v_cmp_gt_i64_e32 vcc, 0, v[4:5]
	v_not_b32_e32 v4, v5
	v_ashrrev_i32_e32 v4, 31, v4
	v_xor_b32_e32 v5, vcc_hi, v4
	v_xor_b32_e32 v4, vcc_lo, v4
	v_and_b32_e32 v0, v0, v5
	v_and_b32_e32 v33, v33, v4
	v_lshlrev_b32_e32 v5, 28, v32
	v_mov_b32_e32 v4, v1
	v_cmp_gt_i64_e32 vcc, 0, v[4:5]
	v_not_b32_e32 v4, v5
	v_ashrrev_i32_e32 v4, 31, v4
	v_xor_b32_e32 v5, vcc_hi, v4
	v_xor_b32_e32 v4, vcc_lo, v4
	v_and_b32_e32 v0, v0, v5
	v_and_b32_e32 v33, v33, v4
	v_lshlrev_b32_e32 v5, 27, v32
	v_mov_b32_e32 v4, v1
	v_cmp_gt_i64_e32 vcc, 0, v[4:5]
	v_not_b32_e32 v4, v5
	v_ashrrev_i32_e32 v4, 31, v4
	v_xor_b32_e32 v5, vcc_hi, v4
	v_xor_b32_e32 v4, vcc_lo, v4
	v_and_b32_e32 v0, v0, v5
	v_and_b32_e32 v33, v33, v4
	v_lshlrev_b32_e32 v5, 26, v32
	v_mov_b32_e32 v4, v1
	v_cmp_gt_i64_e32 vcc, 0, v[4:5]
	v_not_b32_e32 v4, v5
	v_ashrrev_i32_e32 v4, 31, v4
	v_xor_b32_e32 v5, vcc_hi, v4
	v_xor_b32_e32 v4, vcc_lo, v4
	v_and_b32_e32 v0, v0, v5
	v_and_b32_e32 v33, v33, v4
	v_lshlrev_b32_e32 v5, 25, v32
	v_mov_b32_e32 v4, v1
	v_cmp_gt_i64_e32 vcc, 0, v[4:5]
	v_not_b32_e32 v4, v5
	v_ashrrev_i32_e32 v4, 31, v4
	v_xor_b32_e32 v5, vcc_hi, v4
	v_xor_b32_e32 v4, vcc_lo, v4
	v_and_b32_e32 v0, v0, v5
	v_and_b32_e32 v33, v33, v4
	v_lshlrev_b32_e32 v5, 24, v32
	v_mov_b32_e32 v4, v1
	v_cmp_gt_i64_e32 vcc, 0, v[4:5]
	v_not_b32_e32 v4, v5
	v_ashrrev_i32_e32 v4, 31, v4
	v_xor_b32_e32 v5, vcc_hi, v4
	v_xor_b32_e32 v4, vcc_lo, v4
	; wave barrier
	ds_read_b32 v28, v29 offset:16
	v_and_b32_e32 v4, v33, v4
	v_and_b32_e32 v5, v0, v5
	v_mbcnt_lo_u32_b32 v0, v4, 0
	v_mbcnt_hi_u32_b32 v32, v5, v0
	v_cmp_eq_u32_e32 vcc, 0, v32
	v_cmp_ne_u64_e64 s[0:1], 0, v[4:5]
	s_and_b64 s[4:5], s[0:1], vcc
	; wave barrier
	s_and_saveexec_b64 s[0:1], s[4:5]
	s_cbranch_execz .LBB62_229
; %bb.228:
	v_bcnt_u32_b32 v0, v4, 0
	v_bcnt_u32_b32 v0, v5, v0
	s_waitcnt lgkmcnt(0)
	v_add_u32_e32 v0, v28, v0
	ds_write_b32 v29, v0 offset:16
.LBB62_229:
	s_or_b64 exec, exec, s[0:1]
	s_waitcnt vmcnt(12)
	v_xor_b32_e32 v31, 0x7fff, v31
	v_lshrrev_b32_sdwa v0, s88, v31 dst_sel:DWORD dst_unused:UNUSED_PAD src0_sel:DWORD src1_sel:WORD_0
	v_and_b32_e32 v37, s9, v0
	v_and_b32_e32 v0, 1, v37
	v_lshl_add_u64 v[4:5], v[0:1], 0, -1
	v_cmp_ne_u32_e32 vcc, 0, v0
	v_mad_u32_u24 v34, v37, 20, v20
	s_nop 0
	v_xor_b32_e32 v4, vcc_lo, v4
	v_xor_b32_e32 v0, vcc_hi, v5
	v_and_b32_e32 v38, exec_lo, v4
	v_lshlrev_b32_e32 v5, 30, v37
	v_mov_b32_e32 v4, v1
	v_cmp_gt_i64_e32 vcc, 0, v[4:5]
	v_not_b32_e32 v4, v5
	v_ashrrev_i32_e32 v4, 31, v4
	v_and_b32_e32 v0, exec_hi, v0
	v_xor_b32_e32 v5, vcc_hi, v4
	v_xor_b32_e32 v4, vcc_lo, v4
	v_and_b32_e32 v0, v0, v5
	v_and_b32_e32 v38, v38, v4
	v_lshlrev_b32_e32 v5, 29, v37
	v_mov_b32_e32 v4, v1
	v_cmp_gt_i64_e32 vcc, 0, v[4:5]
	v_not_b32_e32 v4, v5
	v_ashrrev_i32_e32 v4, 31, v4
	v_xor_b32_e32 v5, vcc_hi, v4
	v_xor_b32_e32 v4, vcc_lo, v4
	v_and_b32_e32 v0, v0, v5
	v_and_b32_e32 v38, v38, v4
	v_lshlrev_b32_e32 v5, 28, v37
	v_mov_b32_e32 v4, v1
	v_cmp_gt_i64_e32 vcc, 0, v[4:5]
	v_not_b32_e32 v4, v5
	v_ashrrev_i32_e32 v4, 31, v4
	;; [unrolled: 9-line block ×5, first 2 shown]
	v_xor_b32_e32 v5, vcc_hi, v4
	v_xor_b32_e32 v4, vcc_lo, v4
	v_and_b32_e32 v0, v0, v5
	v_lshlrev_b32_e32 v5, 24, v37
	v_and_b32_e32 v38, v38, v4
	v_mov_b32_e32 v4, v1
	v_not_b32_e32 v1, v5
	v_cmp_gt_i64_e32 vcc, 0, v[4:5]
	v_ashrrev_i32_e32 v1, 31, v1
	; wave barrier
	s_nop 0
	v_xor_b32_e32 v4, vcc_hi, v1
	v_xor_b32_e32 v5, vcc_lo, v1
	ds_read_b32 v33, v34 offset:16
	v_and_b32_e32 v1, v0, v4
	v_and_b32_e32 v0, v38, v5
	v_mbcnt_lo_u32_b32 v4, v0, 0
	v_mbcnt_hi_u32_b32 v37, v1, v4
	v_cmp_eq_u32_e32 vcc, 0, v37
	v_cmp_ne_u64_e64 s[0:1], 0, v[0:1]
	s_and_b64 s[4:5], s[0:1], vcc
	; wave barrier
	s_and_saveexec_b64 s[0:1], s[4:5]
	s_cbranch_execz .LBB62_231
; %bb.230:
	v_bcnt_u32_b32 v0, v0, 0
	v_bcnt_u32_b32 v0, v1, v0
	s_waitcnt lgkmcnt(0)
	v_add_u32_e32 v0, v33, v0
	ds_write_b32 v34, v0 offset:16
.LBB62_231:
	s_or_b64 exec, exec, s[0:1]
	s_waitcnt vmcnt(11)
	v_xor_b32_e32 v36, 0x7fff, v36
	v_lshrrev_b32_sdwa v0, s88, v36 dst_sel:DWORD dst_unused:UNUSED_PAD src0_sel:DWORD src1_sel:WORD_0
	v_and_b32_e32 v42, s9, v0
	v_and_b32_e32 v0, 1, v42
	v_mov_b32_e32 v1, 0
	v_lshl_add_u64 v[4:5], v[0:1], 0, -1
	v_cmp_ne_u32_e32 vcc, 0, v0
	v_mad_u32_u24 v39, v42, 20, v20
	s_nop 0
	v_xor_b32_e32 v4, vcc_lo, v4
	v_xor_b32_e32 v0, vcc_hi, v5
	v_and_b32_e32 v43, exec_lo, v4
	v_lshlrev_b32_e32 v5, 30, v42
	v_mov_b32_e32 v4, v1
	v_cmp_gt_i64_e32 vcc, 0, v[4:5]
	v_not_b32_e32 v4, v5
	v_ashrrev_i32_e32 v4, 31, v4
	v_and_b32_e32 v0, exec_hi, v0
	v_xor_b32_e32 v5, vcc_hi, v4
	v_xor_b32_e32 v4, vcc_lo, v4
	v_and_b32_e32 v0, v0, v5
	v_and_b32_e32 v43, v43, v4
	v_lshlrev_b32_e32 v5, 29, v42
	v_mov_b32_e32 v4, v1
	v_cmp_gt_i64_e32 vcc, 0, v[4:5]
	v_not_b32_e32 v4, v5
	v_ashrrev_i32_e32 v4, 31, v4
	v_xor_b32_e32 v5, vcc_hi, v4
	v_xor_b32_e32 v4, vcc_lo, v4
	v_and_b32_e32 v0, v0, v5
	v_and_b32_e32 v43, v43, v4
	v_lshlrev_b32_e32 v5, 28, v42
	v_mov_b32_e32 v4, v1
	v_cmp_gt_i64_e32 vcc, 0, v[4:5]
	v_not_b32_e32 v4, v5
	v_ashrrev_i32_e32 v4, 31, v4
	;; [unrolled: 9-line block ×6, first 2 shown]
	v_xor_b32_e32 v5, vcc_hi, v4
	v_xor_b32_e32 v4, vcc_lo, v4
	; wave barrier
	ds_read_b32 v38, v39 offset:16
	v_and_b32_e32 v4, v43, v4
	v_and_b32_e32 v5, v0, v5
	v_mbcnt_lo_u32_b32 v0, v4, 0
	v_mbcnt_hi_u32_b32 v42, v5, v0
	v_cmp_eq_u32_e32 vcc, 0, v42
	v_cmp_ne_u64_e64 s[0:1], 0, v[4:5]
	s_and_b64 s[4:5], s[0:1], vcc
	; wave barrier
	s_and_saveexec_b64 s[0:1], s[4:5]
	s_cbranch_execz .LBB62_233
; %bb.232:
	v_bcnt_u32_b32 v0, v4, 0
	v_bcnt_u32_b32 v0, v5, v0
	s_waitcnt lgkmcnt(0)
	v_add_u32_e32 v0, v38, v0
	ds_write_b32 v39, v0 offset:16
.LBB62_233:
	s_or_b64 exec, exec, s[0:1]
	s_waitcnt vmcnt(10)
	v_xor_b32_e32 v41, 0x7fff, v41
	v_lshrrev_b32_sdwa v0, s88, v41 dst_sel:DWORD dst_unused:UNUSED_PAD src0_sel:DWORD src1_sel:WORD_0
	v_and_b32_e32 v47, s9, v0
	v_and_b32_e32 v0, 1, v47
	v_lshl_add_u64 v[4:5], v[0:1], 0, -1
	v_cmp_ne_u32_e32 vcc, 0, v0
	v_mad_u32_u24 v45, v47, 20, v20
	s_nop 0
	v_xor_b32_e32 v4, vcc_lo, v4
	v_xor_b32_e32 v0, vcc_hi, v5
	v_and_b32_e32 v48, exec_lo, v4
	v_lshlrev_b32_e32 v5, 30, v47
	v_mov_b32_e32 v4, v1
	v_cmp_gt_i64_e32 vcc, 0, v[4:5]
	v_not_b32_e32 v4, v5
	v_ashrrev_i32_e32 v4, 31, v4
	v_and_b32_e32 v0, exec_hi, v0
	v_xor_b32_e32 v5, vcc_hi, v4
	v_xor_b32_e32 v4, vcc_lo, v4
	v_and_b32_e32 v0, v0, v5
	v_and_b32_e32 v48, v48, v4
	v_lshlrev_b32_e32 v5, 29, v47
	v_mov_b32_e32 v4, v1
	v_cmp_gt_i64_e32 vcc, 0, v[4:5]
	v_not_b32_e32 v4, v5
	v_ashrrev_i32_e32 v4, 31, v4
	v_xor_b32_e32 v5, vcc_hi, v4
	v_xor_b32_e32 v4, vcc_lo, v4
	v_and_b32_e32 v0, v0, v5
	v_and_b32_e32 v48, v48, v4
	v_lshlrev_b32_e32 v5, 28, v47
	v_mov_b32_e32 v4, v1
	v_cmp_gt_i64_e32 vcc, 0, v[4:5]
	v_not_b32_e32 v4, v5
	v_ashrrev_i32_e32 v4, 31, v4
	v_xor_b32_e32 v5, vcc_hi, v4
	v_xor_b32_e32 v4, vcc_lo, v4
	v_and_b32_e32 v0, v0, v5
	v_and_b32_e32 v48, v48, v4
	v_lshlrev_b32_e32 v5, 27, v47
	v_mov_b32_e32 v4, v1
	v_cmp_gt_i64_e32 vcc, 0, v[4:5]
	v_not_b32_e32 v4, v5
	v_ashrrev_i32_e32 v4, 31, v4
	v_xor_b32_e32 v5, vcc_hi, v4
	v_xor_b32_e32 v4, vcc_lo, v4
	v_and_b32_e32 v0, v0, v5
	v_and_b32_e32 v48, v48, v4
	v_lshlrev_b32_e32 v5, 26, v47
	v_mov_b32_e32 v4, v1
	v_cmp_gt_i64_e32 vcc, 0, v[4:5]
	v_not_b32_e32 v4, v5
	v_ashrrev_i32_e32 v4, 31, v4
	v_xor_b32_e32 v5, vcc_hi, v4
	v_xor_b32_e32 v4, vcc_lo, v4
	v_and_b32_e32 v0, v0, v5
	v_and_b32_e32 v48, v48, v4
	v_lshlrev_b32_e32 v5, 25, v47
	v_mov_b32_e32 v4, v1
	v_cmp_gt_i64_e32 vcc, 0, v[4:5]
	v_not_b32_e32 v4, v5
	v_ashrrev_i32_e32 v4, 31, v4
	v_xor_b32_e32 v5, vcc_hi, v4
	v_xor_b32_e32 v4, vcc_lo, v4
	v_and_b32_e32 v0, v0, v5
	v_lshlrev_b32_e32 v5, 24, v47
	v_and_b32_e32 v48, v48, v4
	v_mov_b32_e32 v4, v1
	v_not_b32_e32 v1, v5
	v_cmp_gt_i64_e32 vcc, 0, v[4:5]
	v_ashrrev_i32_e32 v1, 31, v1
	; wave barrier
	s_nop 0
	v_xor_b32_e32 v4, vcc_hi, v1
	v_xor_b32_e32 v5, vcc_lo, v1
	ds_read_b32 v43, v45 offset:16
	v_and_b32_e32 v1, v0, v4
	v_and_b32_e32 v0, v48, v5
	v_mbcnt_lo_u32_b32 v4, v0, 0
	v_mbcnt_hi_u32_b32 v47, v1, v4
	v_cmp_eq_u32_e32 vcc, 0, v47
	v_cmp_ne_u64_e64 s[0:1], 0, v[0:1]
	s_and_b64 s[4:5], s[0:1], vcc
	; wave barrier
	s_and_saveexec_b64 s[0:1], s[4:5]
	s_cbranch_execz .LBB62_235
; %bb.234:
	v_bcnt_u32_b32 v0, v0, 0
	v_bcnt_u32_b32 v0, v1, v0
	s_waitcnt lgkmcnt(0)
	v_add_u32_e32 v0, v43, v0
	ds_write_b32 v45, v0 offset:16
.LBB62_235:
	s_or_b64 exec, exec, s[0:1]
	s_waitcnt vmcnt(9)
	v_xor_b32_e32 v46, 0x7fff, v46
	v_lshrrev_b32_sdwa v0, s88, v46 dst_sel:DWORD dst_unused:UNUSED_PAD src0_sel:DWORD src1_sel:WORD_0
	v_and_b32_e32 v52, s9, v0
	v_and_b32_e32 v0, 1, v52
	v_mov_b32_e32 v1, 0
	v_lshl_add_u64 v[4:5], v[0:1], 0, -1
	v_cmp_ne_u32_e32 vcc, 0, v0
	v_mad_u32_u24 v50, v52, 20, v20
	s_nop 0
	v_xor_b32_e32 v4, vcc_lo, v4
	v_xor_b32_e32 v0, vcc_hi, v5
	v_and_b32_e32 v53, exec_lo, v4
	v_lshlrev_b32_e32 v5, 30, v52
	v_mov_b32_e32 v4, v1
	v_cmp_gt_i64_e32 vcc, 0, v[4:5]
	v_not_b32_e32 v4, v5
	v_ashrrev_i32_e32 v4, 31, v4
	v_and_b32_e32 v0, exec_hi, v0
	v_xor_b32_e32 v5, vcc_hi, v4
	v_xor_b32_e32 v4, vcc_lo, v4
	v_and_b32_e32 v0, v0, v5
	v_and_b32_e32 v53, v53, v4
	v_lshlrev_b32_e32 v5, 29, v52
	v_mov_b32_e32 v4, v1
	v_cmp_gt_i64_e32 vcc, 0, v[4:5]
	v_not_b32_e32 v4, v5
	v_ashrrev_i32_e32 v4, 31, v4
	v_xor_b32_e32 v5, vcc_hi, v4
	v_xor_b32_e32 v4, vcc_lo, v4
	v_and_b32_e32 v0, v0, v5
	v_and_b32_e32 v53, v53, v4
	v_lshlrev_b32_e32 v5, 28, v52
	v_mov_b32_e32 v4, v1
	v_cmp_gt_i64_e32 vcc, 0, v[4:5]
	v_not_b32_e32 v4, v5
	v_ashrrev_i32_e32 v4, 31, v4
	;; [unrolled: 9-line block ×6, first 2 shown]
	v_xor_b32_e32 v5, vcc_hi, v4
	v_xor_b32_e32 v4, vcc_lo, v4
	; wave barrier
	ds_read_b32 v48, v50 offset:16
	v_and_b32_e32 v4, v53, v4
	v_and_b32_e32 v5, v0, v5
	v_mbcnt_lo_u32_b32 v0, v4, 0
	v_mbcnt_hi_u32_b32 v52, v5, v0
	v_cmp_eq_u32_e32 vcc, 0, v52
	v_cmp_ne_u64_e64 s[0:1], 0, v[4:5]
	s_and_b64 s[4:5], s[0:1], vcc
	; wave barrier
	s_and_saveexec_b64 s[0:1], s[4:5]
	s_cbranch_execz .LBB62_237
; %bb.236:
	v_bcnt_u32_b32 v0, v4, 0
	v_bcnt_u32_b32 v0, v5, v0
	s_waitcnt lgkmcnt(0)
	v_add_u32_e32 v0, v48, v0
	ds_write_b32 v50, v0 offset:16
.LBB62_237:
	s_or_b64 exec, exec, s[0:1]
	s_waitcnt vmcnt(8)
	v_xor_b32_e32 v51, 0x7fff, v51
	v_lshrrev_b32_sdwa v0, s88, v51 dst_sel:DWORD dst_unused:UNUSED_PAD src0_sel:DWORD src1_sel:WORD_0
	v_and_b32_e32 v56, s9, v0
	v_and_b32_e32 v0, 1, v56
	v_lshl_add_u64 v[4:5], v[0:1], 0, -1
	v_cmp_ne_u32_e32 vcc, 0, v0
	v_mad_u32_u24 v55, v56, 20, v20
	s_nop 0
	v_xor_b32_e32 v4, vcc_lo, v4
	v_xor_b32_e32 v0, vcc_hi, v5
	v_and_b32_e32 v57, exec_lo, v4
	v_lshlrev_b32_e32 v5, 30, v56
	v_mov_b32_e32 v4, v1
	v_cmp_gt_i64_e32 vcc, 0, v[4:5]
	v_not_b32_e32 v4, v5
	v_ashrrev_i32_e32 v4, 31, v4
	v_and_b32_e32 v0, exec_hi, v0
	v_xor_b32_e32 v5, vcc_hi, v4
	v_xor_b32_e32 v4, vcc_lo, v4
	v_and_b32_e32 v0, v0, v5
	v_and_b32_e32 v57, v57, v4
	v_lshlrev_b32_e32 v5, 29, v56
	v_mov_b32_e32 v4, v1
	v_cmp_gt_i64_e32 vcc, 0, v[4:5]
	v_not_b32_e32 v4, v5
	v_ashrrev_i32_e32 v4, 31, v4
	v_xor_b32_e32 v5, vcc_hi, v4
	v_xor_b32_e32 v4, vcc_lo, v4
	v_and_b32_e32 v0, v0, v5
	v_and_b32_e32 v57, v57, v4
	v_lshlrev_b32_e32 v5, 28, v56
	v_mov_b32_e32 v4, v1
	v_cmp_gt_i64_e32 vcc, 0, v[4:5]
	v_not_b32_e32 v4, v5
	v_ashrrev_i32_e32 v4, 31, v4
	;; [unrolled: 9-line block ×5, first 2 shown]
	v_xor_b32_e32 v5, vcc_hi, v4
	v_xor_b32_e32 v4, vcc_lo, v4
	v_and_b32_e32 v0, v0, v5
	v_lshlrev_b32_e32 v5, 24, v56
	v_and_b32_e32 v57, v57, v4
	v_mov_b32_e32 v4, v1
	v_not_b32_e32 v1, v5
	v_cmp_gt_i64_e32 vcc, 0, v[4:5]
	v_ashrrev_i32_e32 v1, 31, v1
	; wave barrier
	s_nop 0
	v_xor_b32_e32 v4, vcc_hi, v1
	v_xor_b32_e32 v5, vcc_lo, v1
	ds_read_b32 v53, v55 offset:16
	v_and_b32_e32 v1, v0, v4
	v_and_b32_e32 v0, v57, v5
	v_mbcnt_lo_u32_b32 v4, v0, 0
	v_mbcnt_hi_u32_b32 v56, v1, v4
	v_cmp_eq_u32_e32 vcc, 0, v56
	v_cmp_ne_u64_e64 s[0:1], 0, v[0:1]
	s_and_b64 s[4:5], s[0:1], vcc
	; wave barrier
	s_and_saveexec_b64 s[0:1], s[4:5]
	s_cbranch_execz .LBB62_239
; %bb.238:
	v_bcnt_u32_b32 v0, v0, 0
	v_bcnt_u32_b32 v0, v1, v0
	s_waitcnt lgkmcnt(0)
	v_add_u32_e32 v0, v53, v0
	ds_write_b32 v55, v0 offset:16
.LBB62_239:
	s_or_b64 exec, exec, s[0:1]
	s_waitcnt vmcnt(7)
	v_xor_b32_e32 v54, 0x7fff, v54
	v_lshrrev_b32_sdwa v0, s88, v54 dst_sel:DWORD dst_unused:UNUSED_PAD src0_sel:DWORD src1_sel:WORD_0
	v_and_b32_e32 v59, s9, v0
	v_and_b32_e32 v0, 1, v59
	v_mov_b32_e32 v1, 0
	v_lshl_add_u64 v[4:5], v[0:1], 0, -1
	v_cmp_ne_u32_e32 vcc, 0, v0
	v_mad_u32_u24 v58, v59, 20, v20
	s_nop 0
	v_xor_b32_e32 v4, vcc_lo, v4
	v_xor_b32_e32 v0, vcc_hi, v5
	v_and_b32_e32 v60, exec_lo, v4
	v_lshlrev_b32_e32 v5, 30, v59
	v_mov_b32_e32 v4, v1
	v_cmp_gt_i64_e32 vcc, 0, v[4:5]
	v_not_b32_e32 v4, v5
	v_ashrrev_i32_e32 v4, 31, v4
	v_and_b32_e32 v0, exec_hi, v0
	v_xor_b32_e32 v5, vcc_hi, v4
	v_xor_b32_e32 v4, vcc_lo, v4
	v_and_b32_e32 v0, v0, v5
	v_and_b32_e32 v60, v60, v4
	v_lshlrev_b32_e32 v5, 29, v59
	v_mov_b32_e32 v4, v1
	v_cmp_gt_i64_e32 vcc, 0, v[4:5]
	v_not_b32_e32 v4, v5
	v_ashrrev_i32_e32 v4, 31, v4
	v_xor_b32_e32 v5, vcc_hi, v4
	v_xor_b32_e32 v4, vcc_lo, v4
	v_and_b32_e32 v0, v0, v5
	v_and_b32_e32 v60, v60, v4
	v_lshlrev_b32_e32 v5, 28, v59
	v_mov_b32_e32 v4, v1
	v_cmp_gt_i64_e32 vcc, 0, v[4:5]
	v_not_b32_e32 v4, v5
	v_ashrrev_i32_e32 v4, 31, v4
	;; [unrolled: 9-line block ×6, first 2 shown]
	v_xor_b32_e32 v5, vcc_hi, v4
	v_xor_b32_e32 v4, vcc_lo, v4
	; wave barrier
	ds_read_b32 v57, v58 offset:16
	v_and_b32_e32 v4, v60, v4
	v_and_b32_e32 v5, v0, v5
	v_mbcnt_lo_u32_b32 v0, v4, 0
	v_mbcnt_hi_u32_b32 v59, v5, v0
	v_cmp_eq_u32_e32 vcc, 0, v59
	v_cmp_ne_u64_e64 s[0:1], 0, v[4:5]
	s_and_b64 s[4:5], s[0:1], vcc
	; wave barrier
	s_and_saveexec_b64 s[0:1], s[4:5]
	s_cbranch_execz .LBB62_241
; %bb.240:
	v_bcnt_u32_b32 v0, v4, 0
	v_bcnt_u32_b32 v0, v5, v0
	s_waitcnt lgkmcnt(0)
	v_add_u32_e32 v0, v57, v0
	ds_write_b32 v58, v0 offset:16
.LBB62_241:
	s_or_b64 exec, exec, s[0:1]
	s_waitcnt vmcnt(6)
	v_xor_b32_e32 v49, 0x7fff, v49
	v_lshrrev_b32_sdwa v0, s88, v49 dst_sel:DWORD dst_unused:UNUSED_PAD src0_sel:DWORD src1_sel:WORD_0
	v_and_b32_e32 v62, s9, v0
	v_and_b32_e32 v0, 1, v62
	v_lshl_add_u64 v[4:5], v[0:1], 0, -1
	v_cmp_ne_u32_e32 vcc, 0, v0
	v_mad_u32_u24 v61, v62, 20, v20
	s_nop 0
	v_xor_b32_e32 v4, vcc_lo, v4
	v_xor_b32_e32 v0, vcc_hi, v5
	v_and_b32_e32 v63, exec_lo, v4
	v_lshlrev_b32_e32 v5, 30, v62
	v_mov_b32_e32 v4, v1
	v_cmp_gt_i64_e32 vcc, 0, v[4:5]
	v_not_b32_e32 v4, v5
	v_ashrrev_i32_e32 v4, 31, v4
	v_and_b32_e32 v0, exec_hi, v0
	v_xor_b32_e32 v5, vcc_hi, v4
	v_xor_b32_e32 v4, vcc_lo, v4
	v_and_b32_e32 v0, v0, v5
	v_and_b32_e32 v63, v63, v4
	v_lshlrev_b32_e32 v5, 29, v62
	v_mov_b32_e32 v4, v1
	v_cmp_gt_i64_e32 vcc, 0, v[4:5]
	v_not_b32_e32 v4, v5
	v_ashrrev_i32_e32 v4, 31, v4
	v_xor_b32_e32 v5, vcc_hi, v4
	v_xor_b32_e32 v4, vcc_lo, v4
	v_and_b32_e32 v0, v0, v5
	v_and_b32_e32 v63, v63, v4
	v_lshlrev_b32_e32 v5, 28, v62
	v_mov_b32_e32 v4, v1
	v_cmp_gt_i64_e32 vcc, 0, v[4:5]
	v_not_b32_e32 v4, v5
	v_ashrrev_i32_e32 v4, 31, v4
	;; [unrolled: 9-line block ×5, first 2 shown]
	v_xor_b32_e32 v5, vcc_hi, v4
	v_xor_b32_e32 v4, vcc_lo, v4
	v_and_b32_e32 v0, v0, v5
	v_lshlrev_b32_e32 v5, 24, v62
	v_and_b32_e32 v63, v63, v4
	v_mov_b32_e32 v4, v1
	v_not_b32_e32 v1, v5
	v_cmp_gt_i64_e32 vcc, 0, v[4:5]
	v_ashrrev_i32_e32 v1, 31, v1
	; wave barrier
	s_nop 0
	v_xor_b32_e32 v4, vcc_hi, v1
	v_xor_b32_e32 v5, vcc_lo, v1
	ds_read_b32 v60, v61 offset:16
	v_and_b32_e32 v1, v0, v4
	v_and_b32_e32 v0, v63, v5
	v_mbcnt_lo_u32_b32 v4, v0, 0
	v_mbcnt_hi_u32_b32 v62, v1, v4
	v_cmp_eq_u32_e32 vcc, 0, v62
	v_cmp_ne_u64_e64 s[0:1], 0, v[0:1]
	s_and_b64 s[4:5], s[0:1], vcc
	; wave barrier
	s_and_saveexec_b64 s[0:1], s[4:5]
	s_cbranch_execz .LBB62_243
; %bb.242:
	v_bcnt_u32_b32 v0, v0, 0
	v_bcnt_u32_b32 v0, v1, v0
	s_waitcnt lgkmcnt(0)
	v_add_u32_e32 v0, v60, v0
	ds_write_b32 v61, v0 offset:16
.LBB62_243:
	s_or_b64 exec, exec, s[0:1]
	s_waitcnt vmcnt(5)
	v_xor_b32_e32 v44, 0x7fff, v44
	v_lshrrev_b32_sdwa v0, s88, v44 dst_sel:DWORD dst_unused:UNUSED_PAD src0_sel:DWORD src1_sel:WORD_0
	v_and_b32_e32 v65, s9, v0
	v_and_b32_e32 v0, 1, v65
	v_mov_b32_e32 v1, 0
	v_lshl_add_u64 v[4:5], v[0:1], 0, -1
	v_cmp_ne_u32_e32 vcc, 0, v0
	v_mad_u32_u24 v64, v65, 20, v20
	s_nop 0
	v_xor_b32_e32 v4, vcc_lo, v4
	v_xor_b32_e32 v0, vcc_hi, v5
	v_and_b32_e32 v66, exec_lo, v4
	v_lshlrev_b32_e32 v5, 30, v65
	v_mov_b32_e32 v4, v1
	v_cmp_gt_i64_e32 vcc, 0, v[4:5]
	v_not_b32_e32 v4, v5
	v_ashrrev_i32_e32 v4, 31, v4
	v_and_b32_e32 v0, exec_hi, v0
	v_xor_b32_e32 v5, vcc_hi, v4
	v_xor_b32_e32 v4, vcc_lo, v4
	v_and_b32_e32 v0, v0, v5
	v_and_b32_e32 v66, v66, v4
	v_lshlrev_b32_e32 v5, 29, v65
	v_mov_b32_e32 v4, v1
	v_cmp_gt_i64_e32 vcc, 0, v[4:5]
	v_not_b32_e32 v4, v5
	v_ashrrev_i32_e32 v4, 31, v4
	v_xor_b32_e32 v5, vcc_hi, v4
	v_xor_b32_e32 v4, vcc_lo, v4
	v_and_b32_e32 v0, v0, v5
	v_and_b32_e32 v66, v66, v4
	v_lshlrev_b32_e32 v5, 28, v65
	v_mov_b32_e32 v4, v1
	v_cmp_gt_i64_e32 vcc, 0, v[4:5]
	v_not_b32_e32 v4, v5
	v_ashrrev_i32_e32 v4, 31, v4
	;; [unrolled: 9-line block ×6, first 2 shown]
	v_xor_b32_e32 v5, vcc_hi, v4
	v_xor_b32_e32 v4, vcc_lo, v4
	; wave barrier
	ds_read_b32 v63, v64 offset:16
	v_and_b32_e32 v4, v66, v4
	v_and_b32_e32 v5, v0, v5
	v_mbcnt_lo_u32_b32 v0, v4, 0
	v_mbcnt_hi_u32_b32 v65, v5, v0
	v_cmp_eq_u32_e32 vcc, 0, v65
	v_cmp_ne_u64_e64 s[0:1], 0, v[4:5]
	s_and_b64 s[4:5], s[0:1], vcc
	; wave barrier
	s_and_saveexec_b64 s[0:1], s[4:5]
	s_cbranch_execz .LBB62_245
; %bb.244:
	v_bcnt_u32_b32 v0, v4, 0
	v_bcnt_u32_b32 v0, v5, v0
	s_waitcnt lgkmcnt(0)
	v_add_u32_e32 v0, v63, v0
	ds_write_b32 v64, v0 offset:16
.LBB62_245:
	s_or_b64 exec, exec, s[0:1]
	s_waitcnt vmcnt(4)
	v_xor_b32_e32 v40, 0x7fff, v40
	v_lshrrev_b32_sdwa v0, s88, v40 dst_sel:DWORD dst_unused:UNUSED_PAD src0_sel:DWORD src1_sel:WORD_0
	v_and_b32_e32 v68, s9, v0
	v_and_b32_e32 v0, 1, v68
	v_lshl_add_u64 v[4:5], v[0:1], 0, -1
	v_cmp_ne_u32_e32 vcc, 0, v0
	v_mad_u32_u24 v67, v68, 20, v20
	s_nop 0
	v_xor_b32_e32 v4, vcc_lo, v4
	v_xor_b32_e32 v0, vcc_hi, v5
	v_and_b32_e32 v69, exec_lo, v4
	v_lshlrev_b32_e32 v5, 30, v68
	v_mov_b32_e32 v4, v1
	v_cmp_gt_i64_e32 vcc, 0, v[4:5]
	v_not_b32_e32 v4, v5
	v_ashrrev_i32_e32 v4, 31, v4
	v_and_b32_e32 v0, exec_hi, v0
	v_xor_b32_e32 v5, vcc_hi, v4
	v_xor_b32_e32 v4, vcc_lo, v4
	v_and_b32_e32 v0, v0, v5
	v_and_b32_e32 v69, v69, v4
	v_lshlrev_b32_e32 v5, 29, v68
	v_mov_b32_e32 v4, v1
	v_cmp_gt_i64_e32 vcc, 0, v[4:5]
	v_not_b32_e32 v4, v5
	v_ashrrev_i32_e32 v4, 31, v4
	v_xor_b32_e32 v5, vcc_hi, v4
	v_xor_b32_e32 v4, vcc_lo, v4
	v_and_b32_e32 v0, v0, v5
	v_and_b32_e32 v69, v69, v4
	v_lshlrev_b32_e32 v5, 28, v68
	v_mov_b32_e32 v4, v1
	v_cmp_gt_i64_e32 vcc, 0, v[4:5]
	v_not_b32_e32 v4, v5
	v_ashrrev_i32_e32 v4, 31, v4
	;; [unrolled: 9-line block ×5, first 2 shown]
	v_xor_b32_e32 v5, vcc_hi, v4
	v_xor_b32_e32 v4, vcc_lo, v4
	v_and_b32_e32 v0, v0, v5
	v_lshlrev_b32_e32 v5, 24, v68
	v_and_b32_e32 v69, v69, v4
	v_mov_b32_e32 v4, v1
	v_not_b32_e32 v1, v5
	v_cmp_gt_i64_e32 vcc, 0, v[4:5]
	v_ashrrev_i32_e32 v1, 31, v1
	; wave barrier
	s_nop 0
	v_xor_b32_e32 v4, vcc_hi, v1
	v_xor_b32_e32 v5, vcc_lo, v1
	ds_read_b32 v66, v67 offset:16
	v_and_b32_e32 v1, v0, v4
	v_and_b32_e32 v0, v69, v5
	v_mbcnt_lo_u32_b32 v4, v0, 0
	v_mbcnt_hi_u32_b32 v68, v1, v4
	v_cmp_eq_u32_e32 vcc, 0, v68
	v_cmp_ne_u64_e64 s[0:1], 0, v[0:1]
	s_and_b64 s[4:5], s[0:1], vcc
	; wave barrier
	s_and_saveexec_b64 s[0:1], s[4:5]
	s_cbranch_execz .LBB62_247
; %bb.246:
	v_bcnt_u32_b32 v0, v0, 0
	v_bcnt_u32_b32 v0, v1, v0
	s_waitcnt lgkmcnt(0)
	v_add_u32_e32 v0, v66, v0
	ds_write_b32 v67, v0 offset:16
.LBB62_247:
	s_or_b64 exec, exec, s[0:1]
	s_waitcnt vmcnt(3)
	v_xor_b32_e32 v35, 0x7fff, v35
	v_lshrrev_b32_sdwa v0, s88, v35 dst_sel:DWORD dst_unused:UNUSED_PAD src0_sel:DWORD src1_sel:WORD_0
	v_and_b32_e32 v71, s9, v0
	v_and_b32_e32 v0, 1, v71
	v_mov_b32_e32 v1, 0
	v_lshl_add_u64 v[4:5], v[0:1], 0, -1
	v_cmp_ne_u32_e32 vcc, 0, v0
	v_mad_u32_u24 v70, v71, 20, v20
	s_nop 0
	v_xor_b32_e32 v4, vcc_lo, v4
	v_xor_b32_e32 v0, vcc_hi, v5
	v_and_b32_e32 v72, exec_lo, v4
	v_lshlrev_b32_e32 v5, 30, v71
	v_mov_b32_e32 v4, v1
	v_cmp_gt_i64_e32 vcc, 0, v[4:5]
	v_not_b32_e32 v4, v5
	v_ashrrev_i32_e32 v4, 31, v4
	v_and_b32_e32 v0, exec_hi, v0
	v_xor_b32_e32 v5, vcc_hi, v4
	v_xor_b32_e32 v4, vcc_lo, v4
	v_and_b32_e32 v0, v0, v5
	v_and_b32_e32 v72, v72, v4
	v_lshlrev_b32_e32 v5, 29, v71
	v_mov_b32_e32 v4, v1
	v_cmp_gt_i64_e32 vcc, 0, v[4:5]
	v_not_b32_e32 v4, v5
	v_ashrrev_i32_e32 v4, 31, v4
	v_xor_b32_e32 v5, vcc_hi, v4
	v_xor_b32_e32 v4, vcc_lo, v4
	v_and_b32_e32 v0, v0, v5
	v_and_b32_e32 v72, v72, v4
	v_lshlrev_b32_e32 v5, 28, v71
	v_mov_b32_e32 v4, v1
	v_cmp_gt_i64_e32 vcc, 0, v[4:5]
	v_not_b32_e32 v4, v5
	v_ashrrev_i32_e32 v4, 31, v4
	;; [unrolled: 9-line block ×6, first 2 shown]
	v_xor_b32_e32 v5, vcc_hi, v4
	v_xor_b32_e32 v4, vcc_lo, v4
	; wave barrier
	ds_read_b32 v69, v70 offset:16
	v_and_b32_e32 v4, v72, v4
	v_and_b32_e32 v5, v0, v5
	v_mbcnt_lo_u32_b32 v0, v4, 0
	v_mbcnt_hi_u32_b32 v72, v5, v0
	v_cmp_eq_u32_e32 vcc, 0, v72
	v_cmp_ne_u64_e64 s[0:1], 0, v[4:5]
	s_and_b64 s[4:5], s[0:1], vcc
	; wave barrier
	s_and_saveexec_b64 s[0:1], s[4:5]
	s_cbranch_execz .LBB62_249
; %bb.248:
	v_bcnt_u32_b32 v0, v4, 0
	v_bcnt_u32_b32 v0, v5, v0
	s_waitcnt lgkmcnt(0)
	v_add_u32_e32 v0, v69, v0
	ds_write_b32 v70, v0 offset:16
.LBB62_249:
	s_or_b64 exec, exec, s[0:1]
	s_waitcnt vmcnt(2)
	v_xor_b32_e32 v71, 0x7fff, v30
	v_lshrrev_b32_sdwa v0, s88, v71 dst_sel:DWORD dst_unused:UNUSED_PAD src0_sel:DWORD src1_sel:WORD_0
	v_and_b32_e32 v74, s9, v0
	v_and_b32_e32 v0, 1, v74
	v_lshl_add_u64 v[4:5], v[0:1], 0, -1
	v_cmp_ne_u32_e32 vcc, 0, v0
	v_mad_u32_u24 v30, v74, 20, v20
	s_nop 0
	v_xor_b32_e32 v4, vcc_lo, v4
	v_xor_b32_e32 v0, vcc_hi, v5
	v_and_b32_e32 v75, exec_lo, v4
	v_lshlrev_b32_e32 v5, 30, v74
	v_mov_b32_e32 v4, v1
	v_cmp_gt_i64_e32 vcc, 0, v[4:5]
	v_not_b32_e32 v4, v5
	v_ashrrev_i32_e32 v4, 31, v4
	v_and_b32_e32 v0, exec_hi, v0
	v_xor_b32_e32 v5, vcc_hi, v4
	v_xor_b32_e32 v4, vcc_lo, v4
	v_and_b32_e32 v0, v0, v5
	v_and_b32_e32 v75, v75, v4
	v_lshlrev_b32_e32 v5, 29, v74
	v_mov_b32_e32 v4, v1
	v_cmp_gt_i64_e32 vcc, 0, v[4:5]
	v_not_b32_e32 v4, v5
	v_ashrrev_i32_e32 v4, 31, v4
	v_xor_b32_e32 v5, vcc_hi, v4
	v_xor_b32_e32 v4, vcc_lo, v4
	v_and_b32_e32 v0, v0, v5
	v_and_b32_e32 v75, v75, v4
	v_lshlrev_b32_e32 v5, 28, v74
	v_mov_b32_e32 v4, v1
	v_cmp_gt_i64_e32 vcc, 0, v[4:5]
	v_not_b32_e32 v4, v5
	v_ashrrev_i32_e32 v4, 31, v4
	;; [unrolled: 9-line block ×5, first 2 shown]
	v_xor_b32_e32 v5, vcc_hi, v4
	v_xor_b32_e32 v4, vcc_lo, v4
	v_and_b32_e32 v0, v0, v5
	v_lshlrev_b32_e32 v5, 24, v74
	v_and_b32_e32 v75, v75, v4
	v_mov_b32_e32 v4, v1
	v_not_b32_e32 v1, v5
	v_cmp_gt_i64_e32 vcc, 0, v[4:5]
	v_ashrrev_i32_e32 v1, 31, v1
	; wave barrier
	s_nop 0
	v_xor_b32_e32 v4, vcc_hi, v1
	v_xor_b32_e32 v5, vcc_lo, v1
	ds_read_b32 v73, v30 offset:16
	v_and_b32_e32 v1, v0, v4
	v_and_b32_e32 v0, v75, v5
	v_mbcnt_lo_u32_b32 v4, v0, 0
	v_mbcnt_hi_u32_b32 v75, v1, v4
	v_cmp_eq_u32_e32 vcc, 0, v75
	v_cmp_ne_u64_e64 s[0:1], 0, v[0:1]
	s_and_b64 s[4:5], s[0:1], vcc
	; wave barrier
	s_and_saveexec_b64 s[0:1], s[4:5]
	s_cbranch_execz .LBB62_251
; %bb.250:
	v_bcnt_u32_b32 v0, v0, 0
	v_bcnt_u32_b32 v0, v1, v0
	s_waitcnt lgkmcnt(0)
	v_add_u32_e32 v0, v73, v0
	ds_write_b32 v30, v0 offset:16
.LBB62_251:
	s_or_b64 exec, exec, s[0:1]
	s_waitcnt vmcnt(1)
	v_xor_b32_e32 v74, 0x7fff, v25
	v_lshrrev_b32_sdwa v0, s88, v74 dst_sel:DWORD dst_unused:UNUSED_PAD src0_sel:DWORD src1_sel:WORD_0
	v_and_b32_e32 v77, s9, v0
	v_and_b32_e32 v0, 1, v77
	v_mov_b32_e32 v1, 0
	v_lshl_add_u64 v[4:5], v[0:1], 0, -1
	v_cmp_ne_u32_e32 vcc, 0, v0
	v_mad_u32_u24 v25, v77, 20, v20
	s_nop 0
	v_xor_b32_e32 v4, vcc_lo, v4
	v_xor_b32_e32 v0, vcc_hi, v5
	v_and_b32_e32 v78, exec_lo, v4
	v_lshlrev_b32_e32 v5, 30, v77
	v_mov_b32_e32 v4, v1
	v_cmp_gt_i64_e32 vcc, 0, v[4:5]
	v_not_b32_e32 v4, v5
	v_ashrrev_i32_e32 v4, 31, v4
	v_and_b32_e32 v0, exec_hi, v0
	v_xor_b32_e32 v5, vcc_hi, v4
	v_xor_b32_e32 v4, vcc_lo, v4
	v_and_b32_e32 v0, v0, v5
	v_and_b32_e32 v78, v78, v4
	v_lshlrev_b32_e32 v5, 29, v77
	v_mov_b32_e32 v4, v1
	v_cmp_gt_i64_e32 vcc, 0, v[4:5]
	v_not_b32_e32 v4, v5
	v_ashrrev_i32_e32 v4, 31, v4
	v_xor_b32_e32 v5, vcc_hi, v4
	v_xor_b32_e32 v4, vcc_lo, v4
	v_and_b32_e32 v0, v0, v5
	v_and_b32_e32 v78, v78, v4
	v_lshlrev_b32_e32 v5, 28, v77
	v_mov_b32_e32 v4, v1
	v_cmp_gt_i64_e32 vcc, 0, v[4:5]
	v_not_b32_e32 v4, v5
	v_ashrrev_i32_e32 v4, 31, v4
	;; [unrolled: 9-line block ×6, first 2 shown]
	v_xor_b32_e32 v5, vcc_hi, v4
	v_xor_b32_e32 v4, vcc_lo, v4
	; wave barrier
	ds_read_b32 v76, v25 offset:16
	v_and_b32_e32 v4, v78, v4
	v_and_b32_e32 v5, v0, v5
	v_mbcnt_lo_u32_b32 v0, v4, 0
	v_mbcnt_hi_u32_b32 v78, v5, v0
	v_cmp_eq_u32_e32 vcc, 0, v78
	v_cmp_ne_u64_e64 s[0:1], 0, v[4:5]
	s_and_b64 s[4:5], s[0:1], vcc
	; wave barrier
	s_and_saveexec_b64 s[0:1], s[4:5]
	s_cbranch_execz .LBB62_253
; %bb.252:
	v_bcnt_u32_b32 v0, v4, 0
	v_bcnt_u32_b32 v0, v5, v0
	s_waitcnt lgkmcnt(0)
	v_add_u32_e32 v0, v76, v0
	ds_write_b32 v25, v0 offset:16
.LBB62_253:
	s_or_b64 exec, exec, s[0:1]
	s_waitcnt vmcnt(0)
	v_xor_b32_e32 v77, 0x7fff, v19
	v_lshrrev_b32_sdwa v0, s88, v77 dst_sel:DWORD dst_unused:UNUSED_PAD src0_sel:DWORD src1_sel:WORD_0
	v_and_b32_e32 v80, s9, v0
	v_and_b32_e32 v0, 1, v80
	v_lshl_add_u64 v[4:5], v[0:1], 0, -1
	v_cmp_ne_u32_e32 vcc, 0, v0
	v_mad_u32_u24 v19, v80, 20, v20
	s_nop 0
	v_xor_b32_e32 v4, vcc_lo, v4
	v_xor_b32_e32 v0, vcc_hi, v5
	v_and_b32_e32 v20, exec_lo, v4
	v_lshlrev_b32_e32 v5, 30, v80
	v_mov_b32_e32 v4, v1
	v_cmp_gt_i64_e32 vcc, 0, v[4:5]
	v_not_b32_e32 v4, v5
	v_ashrrev_i32_e32 v4, 31, v4
	v_and_b32_e32 v0, exec_hi, v0
	v_xor_b32_e32 v5, vcc_hi, v4
	v_xor_b32_e32 v4, vcc_lo, v4
	v_and_b32_e32 v0, v0, v5
	v_and_b32_e32 v20, v20, v4
	v_lshlrev_b32_e32 v5, 29, v80
	v_mov_b32_e32 v4, v1
	v_cmp_gt_i64_e32 vcc, 0, v[4:5]
	v_not_b32_e32 v4, v5
	v_ashrrev_i32_e32 v4, 31, v4
	v_xor_b32_e32 v5, vcc_hi, v4
	v_xor_b32_e32 v4, vcc_lo, v4
	v_and_b32_e32 v0, v0, v5
	v_and_b32_e32 v20, v20, v4
	v_lshlrev_b32_e32 v5, 28, v80
	v_mov_b32_e32 v4, v1
	v_cmp_gt_i64_e32 vcc, 0, v[4:5]
	v_not_b32_e32 v4, v5
	v_ashrrev_i32_e32 v4, 31, v4
	;; [unrolled: 9-line block ×5, first 2 shown]
	v_xor_b32_e32 v5, vcc_hi, v4
	v_xor_b32_e32 v4, vcc_lo, v4
	v_and_b32_e32 v0, v0, v5
	v_lshlrev_b32_e32 v5, 24, v80
	v_and_b32_e32 v20, v20, v4
	v_mov_b32_e32 v4, v1
	v_not_b32_e32 v1, v5
	v_cmp_gt_i64_e32 vcc, 0, v[4:5]
	v_ashrrev_i32_e32 v1, 31, v1
	; wave barrier
	s_nop 0
	v_xor_b32_e32 v4, vcc_hi, v1
	v_xor_b32_e32 v5, vcc_lo, v1
	ds_read_b32 v79, v19 offset:16
	v_and_b32_e32 v1, v0, v4
	v_and_b32_e32 v0, v20, v5
	v_mbcnt_lo_u32_b32 v4, v0, 0
	v_mbcnt_hi_u32_b32 v80, v1, v4
	v_cmp_eq_u32_e32 vcc, 0, v80
	v_cmp_ne_u64_e64 s[0:1], 0, v[0:1]
	s_and_b64 s[4:5], s[0:1], vcc
	; wave barrier
	s_and_saveexec_b64 s[0:1], s[4:5]
	s_cbranch_execz .LBB62_255
; %bb.254:
	v_bcnt_u32_b32 v0, v0, 0
	v_bcnt_u32_b32 v0, v1, v0
	s_waitcnt lgkmcnt(0)
	v_add_u32_e32 v0, v79, v0
	ds_write_b32 v19, v0 offset:16
.LBB62_255:
	s_or_b64 exec, exec, s[0:1]
	; wave barrier
	s_waitcnt lgkmcnt(0)
	s_barrier
	ds_read2_b32 v[4:5], v6 offset0:4 offset1:5
	ds_read2_b32 v[0:1], v6 offset0:6 offset1:7
	ds_read_b32 v20, v6 offset:32
	v_min_u32_e32 v8, 0xc0, v8
	v_or_b32_e32 v8, 63, v8
	s_waitcnt lgkmcnt(1)
	v_add3_u32 v81, v5, v4, v0
	s_waitcnt lgkmcnt(0)
	v_add3_u32 v20, v81, v1, v20
	v_and_b32_e32 v81, 15, v12
	v_cmp_ne_u32_e32 vcc, 0, v81
	v_mov_b32_dpp v82, v20 row_shr:1 row_mask:0xf bank_mask:0xf
	s_nop 0
	v_cndmask_b32_e32 v82, 0, v82, vcc
	v_add_u32_e32 v20, v82, v20
	v_cmp_lt_u32_e32 vcc, 1, v81
	s_nop 0
	v_mov_b32_dpp v82, v20 row_shr:2 row_mask:0xf bank_mask:0xf
	v_cndmask_b32_e32 v82, 0, v82, vcc
	v_add_u32_e32 v20, v20, v82
	v_cmp_lt_u32_e32 vcc, 3, v81
	s_nop 0
	v_mov_b32_dpp v82, v20 row_shr:4 row_mask:0xf bank_mask:0xf
	v_cndmask_b32_e32 v82, 0, v82, vcc
	v_add_u32_e32 v20, v20, v82
	v_cmp_lt_u32_e32 vcc, 7, v81
	s_nop 0
	v_mov_b32_dpp v82, v20 row_shr:8 row_mask:0xf bank_mask:0xf
	v_cndmask_b32_e32 v81, 0, v82, vcc
	v_add_u32_e32 v20, v20, v81
	v_bfe_i32 v82, v12, 4, 1
	v_cmp_lt_u32_e32 vcc, 31, v12
	v_mov_b32_dpp v81, v20 row_bcast:15 row_mask:0xf bank_mask:0xf
	v_and_b32_e32 v81, v82, v81
	v_add_u32_e32 v20, v20, v81
	s_nop 1
	v_mov_b32_dpp v81, v20 row_bcast:31 row_mask:0xf bank_mask:0xf
	v_cndmask_b32_e32 v81, 0, v81, vcc
	v_add_u32_e32 v20, v20, v81
	v_lshrrev_b32_e32 v81, 6, v2
	v_cmp_eq_u32_e32 vcc, v2, v8
	s_and_saveexec_b64 s[0:1], vcc
; %bb.256:
	v_lshlrev_b32_e32 v8, 2, v81
	ds_write_b32 v8, v20
; %bb.257:
	s_or_b64 exec, exec, s[0:1]
	v_cmp_gt_u32_e32 vcc, 4, v2
	s_waitcnt lgkmcnt(0)
	s_barrier
	s_and_saveexec_b64 s[0:1], vcc
	s_cbranch_execz .LBB62_259
; %bb.258:
	v_lshlrev_b32_e32 v8, 2, v2
	ds_read_b32 v82, v8
	v_and_b32_e32 v83, 3, v12
	v_cmp_ne_u32_e32 vcc, 0, v83
	s_waitcnt lgkmcnt(0)
	v_mov_b32_dpp v84, v82 row_shr:1 row_mask:0xf bank_mask:0xf
	v_cndmask_b32_e32 v84, 0, v84, vcc
	v_add_u32_e32 v82, v84, v82
	v_cmp_lt_u32_e32 vcc, 1, v83
	s_nop 0
	v_mov_b32_dpp v84, v82 row_shr:2 row_mask:0xf bank_mask:0xf
	v_cndmask_b32_e32 v83, 0, v84, vcc
	v_add_u32_e32 v82, v82, v83
	ds_write_b32 v8, v82
.LBB62_259:
	s_or_b64 exec, exec, s[0:1]
	v_cmp_lt_u32_e32 vcc, 63, v2
	v_mov_b32_e32 v8, 0
	s_waitcnt lgkmcnt(0)
	s_barrier
	s_and_saveexec_b64 s[0:1], vcc
; %bb.260:
	v_lshl_add_u32 v8, v81, 2, -4
	ds_read_b32 v8, v8
; %bb.261:
	s_or_b64 exec, exec, s[0:1]
	v_add_u32_e32 v81, -1, v12
	v_and_b32_e32 v82, 64, v12
	v_cmp_lt_i32_e32 vcc, v81, v82
	s_waitcnt lgkmcnt(0)
	v_add_u32_e32 v20, v8, v20
	s_movk_i32 s0, 0x100
	v_cndmask_b32_e32 v81, v81, v12, vcc
	v_lshlrev_b32_e32 v81, 2, v81
	ds_bpermute_b32 v20, v81, v20
	v_cmp_eq_u32_e32 vcc, 0, v12
	s_waitcnt lgkmcnt(0)
	s_nop 0
	v_cndmask_b32_e32 v8, v20, v8, vcc
	v_cmp_ne_u32_e32 vcc, 0, v2
	s_nop 1
	v_cndmask_b32_e32 v8, 0, v8, vcc
	v_add_u32_e32 v4, v8, v4
	v_add_u32_e32 v5, v4, v5
	;; [unrolled: 1-line block ×4, first 2 shown]
	ds_write2_b32 v6, v8, v4 offset0:4 offset1:5
	ds_write2_b32 v6, v5, v0 offset0:6 offset1:7
	ds_write_b32 v6, v1 offset:32
	s_waitcnt lgkmcnt(0)
	s_barrier
	ds_read_b32 v4, v45 offset:16
	ds_read_b32 v5, v50 offset:16
	;; [unrolled: 1-line block ×19, first 2 shown]
	v_add_u32_e32 v6, 1, v2
	v_cmp_ne_u32_e32 vcc, s0, v6
	v_mov_b32_e32 v1, 0x1200
	s_and_saveexec_b64 s[0:1], vcc
; %bb.262:
	v_mul_u32_u24_e32 v1, 20, v6
	ds_read_b32 v1, v1 offset:16
; %bb.263:
	s_or_b64 exec, exec, s[0:1]
	s_waitcnt lgkmcnt(7)
	v_add_u32_e32 v39, v9, v11
	s_waitcnt lgkmcnt(6)
	v_add3_u32 v34, v16, v13, v14
	s_waitcnt lgkmcnt(3)
	v_add3_u32 v28, v32, v28, v24
	v_add3_u32 v24, v47, v43, v4
	v_lshlrev_b32_e32 v4, 1, v39
	v_add3_u32 v30, v22, v17, v18
	s_waitcnt lgkmcnt(0)
	s_barrier
	ds_write_b16 v4, v7 offset:2048
	v_lshlrev_b32_e32 v4, 1, v34
	v_add3_u32 v29, v27, v23, v19
	ds_write_b16 v4, v10 offset:2048
	v_lshlrev_b32_e32 v4, 1, v30
	ds_write_b16 v4, v15 offset:2048
	v_lshlrev_b32_e32 v4, 1, v29
	v_add3_u32 v27, v37, v33, v25
	ds_write_b16 v4, v21 offset:2048
	v_lshlrev_b32_e32 v4, 1, v28
	v_add3_u32 v25, v42, v38, v70
	ds_write_b16 v4, v26 offset:2048
	v_lshlrev_b32_e32 v4, 1, v27
	ds_write_b16 v4, v31 offset:2048
	v_lshlrev_b32_e32 v4, 1, v25
	v_add3_u32 v23, v52, v48, v5
	ds_write_b16 v4, v36 offset:2048
	v_lshlrev_b32_e32 v4, 1, v24
	v_add3_u32 v22, v56, v53, v8
	;; [unrolled: 3-line block ×10, first 2 shown]
	ds_write_b16 v4, v71 offset:2048
	v_lshlrev_b32_e32 v4, 1, v13
	ds_write_b16 v4, v74 offset:2048
	v_lshlrev_b32_e32 v4, 1, v5
	ds_write_b16 v4, v77 offset:2048
	v_sub_u32_e32 v4, v1, v0
	v_lshl_add_u32 v6, s2, 8, v2
	v_mov_b32_e32 v7, 0
	v_lshl_add_u64 v[8:9], v[6:7], 2, s[94:95]
	v_or_b32_e32 v1, 2.0, v4
	s_mov_b64 s[0:1], 0
	s_brev_b32 s10, -4
	v_mov_b32_e32 v15, 0
	s_waitcnt lgkmcnt(0)
	s_barrier
	global_store_dword v[8:9], v1, off sc1
                                        ; implicit-def: $sgpr4_sgpr5
	s_branch .LBB62_266
.LBB62_264:                             ;   in Loop: Header=BB62_266 Depth=1
	s_or_b64 exec, exec, s[6:7]
.LBB62_265:                             ;   in Loop: Header=BB62_266 Depth=1
	s_or_b64 exec, exec, s[4:5]
	v_and_b32_e32 v6, 0x3fffffff, v1
	v_add_u32_e32 v15, v6, v15
	v_cmp_gt_i32_e64 s[4:5], -2.0, v1
	s_and_b64 s[6:7], exec, s[4:5]
	s_or_b64 s[0:1], s[6:7], s[0:1]
	s_andn2_b64 exec, exec, s[0:1]
	s_cbranch_execz .LBB62_271
.LBB62_266:                             ; =>This Loop Header: Depth=1
                                        ;     Child Loop BB62_269 Depth 2
	s_or_b64 s[4:5], s[4:5], exec
	s_cmp_eq_u32 s3, 0
	s_cbranch_scc1 .LBB62_270
; %bb.267:                              ;   in Loop: Header=BB62_266 Depth=1
	s_add_i32 s3, s3, -1
	v_lshl_add_u32 v6, s3, 8, v2
	v_lshl_add_u64 v[10:11], v[6:7], 2, s[94:95]
	global_load_dword v1, v[10:11], off sc1
	s_waitcnt vmcnt(0)
	v_cmp_gt_u32_e32 vcc, 2.0, v1
	s_and_saveexec_b64 s[4:5], vcc
	s_cbranch_execz .LBB62_265
; %bb.268:                              ;   in Loop: Header=BB62_266 Depth=1
	s_mov_b64 s[6:7], 0
.LBB62_269:                             ;   Parent Loop BB62_266 Depth=1
                                        ; =>  This Inner Loop Header: Depth=2
	global_load_dword v1, v[10:11], off sc1
	s_waitcnt vmcnt(0)
	v_cmp_lt_u32_e32 vcc, s10, v1
	s_or_b64 s[6:7], vcc, s[6:7]
	s_andn2_b64 exec, exec, s[6:7]
	s_cbranch_execnz .LBB62_269
	s_branch .LBB62_264
.LBB62_270:                             ;   in Loop: Header=BB62_266 Depth=1
                                        ; implicit-def: $sgpr3
	s_and_b64 s[6:7], exec, s[4:5]
	s_or_b64 s[0:1], s[6:7], s[0:1]
	s_andn2_b64 exec, exec, s[0:1]
	s_cbranch_execnz .LBB62_266
.LBB62_271:
	s_or_b64 exec, exec, s[0:1]
	v_add_u32_e32 v1, v15, v4
	v_or_b32_e32 v1, 0x80000000, v1
	v_lshlrev_b32_e32 v6, 3, v2
	global_store_dword v[8:9], v1, off sc1
	global_load_dwordx2 v[10:11], v6, s[84:85]
	v_sub_co_u32_e32 v32, vcc, v15, v0
	v_mad_i32_i24 v15, v2, -6, v6
	s_nop 0
	v_subb_co_u32_e64 v33, s[0:1], 0, 0, vcc
	v_mov_b32_e32 v1, 0
	v_lshlrev_b32_e32 v8, 1, v2
	v_mov_b32_e32 v9, v1
	v_or_b32_e32 v93, 0xc00, v2
	s_lshl_b64 s[0:1], s[92:93], 3
	s_add_u32 s0, s80, s0
	s_addc_u32 s1, s81, s1
	s_movk_i32 s3, 0x1000
	v_add_u32_e32 v94, 0xd00, v2
	v_lshlrev_b32_e32 v60, 1, v94
	v_mov_b32_e32 v61, v1
	v_add_u32_e32 v95, 0xe00, v2
	v_lshlrev_b32_e32 v76, 1, v95
	v_mov_b32_e32 v77, v1
	v_mov_b32_e32 v7, v1
	s_add_i32 s8, s8, -1
	s_cmp_lg_u32 s2, s8
	s_waitcnt vmcnt(0)
	v_lshl_add_u64 v[10:11], v[32:33], 0, v[10:11]
	ds_write_b64 v6, v[10:11]
	s_waitcnt lgkmcnt(0)
	s_barrier
	ds_read_u16 v10, v15 offset:2048
	ds_read_u16 v11, v15 offset:2560
	;; [unrolled: 1-line block ×16, first 2 shown]
	s_waitcnt lgkmcnt(14)
	v_lshrrev_b32_sdwa v36, s88, v10 dst_sel:DWORD dst_unused:UNUSED_PAD src0_sel:DWORD src1_sel:WORD_0
	v_xor_b32_e32 v53, 0x7fff, v10
	v_lshrrev_b32_sdwa v10, s88, v11 dst_sel:DWORD dst_unused:UNUSED_PAD src0_sel:DWORD src1_sel:WORD_0
	v_xor_b32_e32 v54, 0x7fff, v11
	s_waitcnt lgkmcnt(13)
	v_lshrrev_b32_sdwa v11, s88, v21 dst_sel:DWORD dst_unused:UNUSED_PAD src0_sel:DWORD src1_sel:WORD_0
	s_waitcnt lgkmcnt(12)
	v_lshrrev_b32_sdwa v37, s88, v26 dst_sel:DWORD dst_unused:UNUSED_PAD src0_sel:DWORD src1_sel:WORD_0
	;; [unrolled: 2-line block ×4, first 2 shown]
	v_xor_b32_e32 v55, 0x7fff, v32
	s_waitcnt lgkmcnt(9)
	v_lshrrev_b32_sdwa v32, s88, v33 dst_sel:DWORD dst_unused:UNUSED_PAD src0_sel:DWORD src1_sel:WORD_0
	v_xor_b32_e32 v56, 0x7fff, v33
	s_waitcnt lgkmcnt(8)
	v_lshrrev_b32_sdwa v33, s88, v35 dst_sel:DWORD dst_unused:UNUSED_PAD src0_sel:DWORD src1_sel:WORD_0
	s_waitcnt lgkmcnt(7)
	v_lshrrev_b32_sdwa v42, s88, v38 dst_sel:DWORD dst_unused:UNUSED_PAD src0_sel:DWORD src1_sel:WORD_0
	;; [unrolled: 2-line block ×3, first 2 shown]
	v_and_b32_e32 v36, s9, v36
	v_and_b32_e32 v10, s9, v10
	v_and_b32_e32 v11, s9, v11
	v_and_b32_e32 v37, s9, v37
	v_and_b32_e32 v40, s9, v40
	v_and_b32_e32 v41, s9, v41
	v_and_b32_e32 v32, s9, v32
	v_and_b32_e32 v33, s9, v33
	v_and_b32_e32 v42, s9, v42
	v_and_b32_e32 v43, s9, v43
	v_lshlrev_b32_e32 v79, 3, v36
	v_lshlrev_b32_e32 v80, 3, v10
	;; [unrolled: 1-line block ×10, first 2 shown]
	ds_read_b64 v[10:11], v79
	ds_read_b64 v[32:33], v80
	;; [unrolled: 1-line block ×7, first 2 shown]
	ds_read_u16 v89, v15 offset:10240
	ds_read_u16 v15, v15 offset:10752
	s_waitcnt lgkmcnt(8)
	v_lshl_add_u64 v[10:11], v[10:11], 1, s[78:79]
	s_waitcnt lgkmcnt(7)
	v_lshl_add_u64 v[32:33], v[32:33], 1, s[78:79]
	s_waitcnt lgkmcnt(6)
	v_lshl_add_u64 v[36:37], v[36:37], 1, s[78:79]
	s_waitcnt lgkmcnt(5)
	v_lshl_add_u64 v[40:41], v[40:41], 1, s[78:79]
	s_waitcnt lgkmcnt(4)
	v_lshl_add_u64 v[42:43], v[42:43], 1, s[78:79]
	s_waitcnt lgkmcnt(3)
	v_lshl_add_u64 v[44:45], v[44:45], 1, s[78:79]
	v_lshl_add_u64 v[10:11], v[10:11], 0, v[8:9]
	v_xor_b32_e32 v21, 0x7fff, v21
	v_xor_b32_e32 v26, 0x7fff, v26
	;; [unrolled: 1-line block ×3, first 2 shown]
	v_lshl_add_u64 v[32:33], v[32:33], 0, v[8:9]
	v_lshl_add_u64 v[36:37], v[36:37], 0, v[8:9]
	;; [unrolled: 1-line block ×5, first 2 shown]
	global_store_short v[10:11], v53, off
	global_store_short v[32:33], v54, off offset:512
	global_store_short v[36:37], v21, off offset:1024
	;; [unrolled: 1-line block ×5, first 2 shown]
	ds_read_b64 v[10:11], v86
	ds_read_b64 v[32:33], v87
	;; [unrolled: 1-line block ×3, first 2 shown]
	s_waitcnt lgkmcnt(5)
	v_lshl_add_u64 v[40:41], v[46:47], 1, s[78:79]
	v_lshl_add_u64 v[40:41], v[40:41], 0, v[8:9]
	s_waitcnt lgkmcnt(2)
	v_lshl_add_u64 v[10:11], v[10:11], 1, s[78:79]
	v_xor_b32_e32 v21, 0x7fff, v35
	v_lshl_add_u64 v[8:9], v[10:11], 0, v[8:9]
	global_store_short v[40:41], v56, off offset:3072
	global_store_short v[8:9], v21, off offset:3584
	v_or_b32_e32 v21, 0x800, v2
	s_waitcnt lgkmcnt(1)
	v_lshl_add_u64 v[8:9], v[32:33], 1, s[78:79]
	v_lshlrev_b32_e32 v10, 1, v21
	v_mov_b32_e32 v11, v1
	v_xor_b32_e32 v26, 0x7fff, v38
	v_lshl_add_u64 v[8:9], v[8:9], 0, v[10:11]
	global_store_short v[8:9], v26, off
	v_add_u32_e32 v26, 0x900, v2
	s_waitcnt lgkmcnt(0)
	v_lshl_add_u64 v[8:9], v[36:37], 1, s[78:79]
	v_lshlrev_b32_e32 v10, 1, v26
	v_xor_b32_e32 v31, 0x7fff, v48
	v_lshl_add_u64 v[8:9], v[8:9], 0, v[10:11]
	global_store_short v[8:9], v31, off
	v_lshrrev_b32_sdwa v8, s88, v49 dst_sel:DWORD dst_unused:UNUSED_PAD src0_sel:DWORD src1_sel:WORD_0
	v_and_b32_e32 v8, s9, v8
	v_lshlrev_b32_e32 v38, 3, v8
	v_lshrrev_b32_sdwa v10, s88, v50 dst_sel:DWORD dst_unused:UNUSED_PAD src0_sel:DWORD src1_sel:WORD_0
	ds_read_b64 v[8:9], v38
	v_and_b32_e32 v10, s9, v10
	v_lshlrev_b32_e32 v90, 3, v10
	v_lshrrev_b32_sdwa v10, s88, v51 dst_sel:DWORD dst_unused:UNUSED_PAD src0_sel:DWORD src1_sel:WORD_0
	v_and_b32_e32 v10, s9, v10
	v_lshlrev_b32_e32 v91, 3, v10
	v_lshrrev_b32_sdwa v10, s88, v52 dst_sel:DWORD dst_unused:UNUSED_PAD src0_sel:DWORD src1_sel:WORD_0
	v_add_u32_e32 v31, 0xa00, v2
	v_and_b32_e32 v10, s9, v10
	v_lshlrev_b32_e32 v92, 3, v10
	ds_read_b64 v[10:11], v90
	ds_read_b64 v[32:33], v91
	;; [unrolled: 1-line block ×3, first 2 shown]
	s_waitcnt lgkmcnt(3)
	v_lshl_add_u64 v[8:9], v[8:9], 1, s[78:79]
	v_lshlrev_b32_e32 v40, 1, v31
	v_mov_b32_e32 v41, v1
	v_xor_b32_e32 v35, 0x7fff, v49
	v_lshl_add_u64 v[8:9], v[8:9], 0, v[40:41]
	global_store_short v[8:9], v35, off
	v_add_u32_e32 v35, 0xb00, v2
	s_waitcnt lgkmcnt(2)
	v_lshl_add_u64 v[8:9], v[10:11], 1, s[78:79]
	v_lshlrev_b32_e32 v10, 1, v35
	v_mov_b32_e32 v11, v1
	v_xor_b32_e32 v40, 0x7fff, v50
	v_lshl_add_u64 v[8:9], v[8:9], 0, v[10:11]
	global_store_short v[8:9], v40, off
	s_waitcnt lgkmcnt(1)
	v_lshl_add_u64 v[8:9], v[32:33], 1, s[78:79]
	v_lshlrev_b32_e32 v10, 1, v93
	v_xor_b32_e32 v40, 0x7fff, v51
	v_lshl_add_u64 v[8:9], v[8:9], 0, v[10:11]
	global_store_short v[8:9], v40, off
	v_lshlrev_b32_e32 v8, 3, v12
	v_mov_b32_e32 v9, v1
	v_lshl_add_u64 v[8:9], s[0:1], 0, v[8:9]
	v_lshlrev_b32_e32 v10, 3, v3
	v_lshl_add_u64 v[8:9], v[8:9], 0, v[10:11]
	s_movk_i32 s0, 0x2000
	v_xor_b32_e32 v66, 0x7fff, v52
	v_add_co_u32_e32 v52, vcc, s0, v8
	global_load_dwordx2 v[10:11], v[8:9], off
	global_load_dwordx2 v[32:33], v[8:9], off offset:512
	global_load_dwordx2 v[40:41], v[8:9], off offset:1024
	;; [unrolled: 1-line block ×7, first 2 shown]
	v_addc_co_u32_e32 v53, vcc, 0, v9, vcc
	v_add_co_u32_e32 v8, vcc, s3, v8
	global_load_dwordx2 v[54:55], v[52:53], off offset:-4096
	s_nop 0
	v_addc_co_u32_e32 v9, vcc, 0, v9, vcc
	global_load_dwordx2 v[56:57], v[8:9], off offset:512
	global_load_dwordx2 v[58:59], v[8:9], off offset:1024
	;; [unrolled: 1-line block ×4, first 2 shown]
	s_waitcnt lgkmcnt(0)
	v_lshl_add_u64 v[36:37], v[36:37], 1, s[78:79]
	v_lshl_add_u64 v[36:37], v[36:37], 0, v[60:61]
	global_load_dwordx2 v[60:61], v[8:9], off offset:2560
	v_lshrrev_b32_sdwa v3, s88, v68 dst_sel:DWORD dst_unused:UNUSED_PAD src0_sel:DWORD src1_sel:WORD_0
	global_store_short v[36:37], v66, off
	global_load_dwordx2 v[36:37], v[8:9], off offset:3072
	v_and_b32_e32 v3, s9, v3
	global_load_dwordx2 v[8:9], v[8:9], off offset:3584
	v_lshlrev_b32_e32 v96, 3, v3
	global_load_dwordx2 v[66:67], v[52:53], off
	v_lshrrev_b32_sdwa v3, s88, v78 dst_sel:DWORD dst_unused:UNUSED_PAD src0_sel:DWORD src1_sel:WORD_0
	global_load_dwordx2 v[52:53], v[52:53], off offset:512
	v_and_b32_e32 v3, s9, v3
	v_xor_b32_e32 v12, 0x7fff, v68
	ds_read_b64 v[68:69], v96
	v_lshlrev_b32_e32 v97, 3, v3
	v_lshrrev_b32_sdwa v3, s88, v89 dst_sel:DWORD dst_unused:UNUSED_PAD src0_sel:DWORD src1_sel:WORD_0
	v_and_b32_e32 v3, s9, v3
	v_lshlrev_b32_e32 v98, 3, v3
	v_lshrrev_b32_sdwa v3, s88, v15 dst_sel:DWORD dst_unused:UNUSED_PAD src0_sel:DWORD src1_sel:WORD_0
	v_and_b32_e32 v3, s9, v3
	v_lshlrev_b32_e32 v99, 3, v3
	ds_read_b64 v[70:71], v97
	ds_read_b64 v[72:73], v98
	;; [unrolled: 1-line block ×3, first 2 shown]
	s_waitcnt lgkmcnt(3)
	v_lshl_add_u64 v[68:69], v[68:69], 1, s[78:79]
	v_lshl_add_u64 v[68:69], v[68:69], 0, v[76:77]
	v_add_u32_e32 v76, 0xf00, v2
	global_store_short v[68:69], v12, off
	s_waitcnt lgkmcnt(2)
	v_lshl_add_u64 v[68:69], v[70:71], 1, s[78:79]
	v_lshlrev_b32_e32 v70, 1, v76
	v_mov_b32_e32 v71, v1
	v_xor_b32_e32 v3, 0x7fff, v78
	v_lshl_add_u64 v[68:69], v[68:69], 0, v[70:71]
	v_or_b32_e32 v77, 0x1000, v2
	global_store_short v[68:69], v3, off
	s_waitcnt lgkmcnt(1)
	v_lshl_add_u64 v[68:69], v[72:73], 1, s[78:79]
	v_lshlrev_b32_e32 v70, 1, v77
	v_xor_b32_e32 v3, 0x7fff, v89
	v_lshl_add_u64 v[68:69], v[68:69], 0, v[70:71]
	v_add_u32_e32 v70, 0x1100, v2
	global_store_short v[68:69], v3, off
	s_waitcnt lgkmcnt(0)
	v_lshl_add_u64 v[2:3], v[74:75], 1, s[78:79]
	v_lshlrev_b32_e32 v68, 1, v70
	v_mov_b32_e32 v69, v1
	v_xor_b32_e32 v12, 0x7fff, v15
	v_lshl_add_u64 v[2:3], v[2:3], 0, v[68:69]
	global_store_short v[2:3], v12, off
	v_lshlrev_b32_e32 v2, 3, v39
	s_barrier
	s_waitcnt vmcnt(22)
	ds_write_b64 v2, v[10:11] offset:2048
	v_lshlrev_b32_e32 v2, 3, v34
	s_waitcnt vmcnt(21)
	ds_write_b64 v2, v[32:33] offset:2048
	v_lshlrev_b32_e32 v2, 3, v30
	s_waitcnt vmcnt(20)
	ds_write_b64 v2, v[40:41] offset:2048
	v_lshlrev_b32_e32 v2, 3, v29
	s_waitcnt vmcnt(19)
	ds_write_b64 v2, v[42:43] offset:2048
	v_lshlrev_b32_e32 v2, 3, v28
	s_waitcnt vmcnt(18)
	ds_write_b64 v2, v[44:45] offset:2048
	v_lshlrev_b32_e32 v2, 3, v27
	s_waitcnt vmcnt(17)
	ds_write_b64 v2, v[46:47] offset:2048
	v_lshlrev_b32_e32 v2, 3, v25
	s_waitcnt vmcnt(16)
	ds_write_b64 v2, v[48:49] offset:2048
	v_lshlrev_b32_e32 v2, 3, v24
	s_waitcnt vmcnt(15)
	ds_write_b64 v2, v[50:51] offset:2048
	v_lshlrev_b32_e32 v2, 3, v23
	s_waitcnt vmcnt(14)
	ds_write_b64 v2, v[54:55] offset:2048
	v_lshlrev_b32_e32 v2, 3, v22
	s_waitcnt vmcnt(13)
	ds_write_b64 v2, v[56:57] offset:2048
	v_lshlrev_b32_e32 v2, 3, v20
	s_waitcnt vmcnt(12)
	ds_write_b64 v2, v[58:59] offset:2048
	v_lshlrev_b32_e32 v2, 3, v19
	s_waitcnt vmcnt(11)
	ds_write_b64 v2, v[62:63] offset:2048
	v_lshlrev_b32_e32 v2, 3, v18
	s_waitcnt vmcnt(10)
	ds_write_b64 v2, v[64:65] offset:2048
	v_lshlrev_b32_e32 v2, 3, v17
	s_waitcnt vmcnt(9)
	ds_write_b64 v2, v[60:61] offset:2048
	v_lshlrev_b32_e32 v2, 3, v16
	s_waitcnt vmcnt(7)
	ds_write_b64 v2, v[36:37] offset:2048
	v_lshlrev_b32_e32 v2, 3, v14
	s_waitcnt vmcnt(6)
	ds_write_b64 v2, v[8:9] offset:2048
	v_lshlrev_b32_e32 v2, 3, v13
	s_waitcnt vmcnt(5)
	ds_write_b64 v2, v[66:67] offset:2048
	v_lshlrev_b32_e32 v2, 3, v5
	s_waitcnt vmcnt(4)
	ds_write_b64 v2, v[52:53] offset:2048
	s_waitcnt lgkmcnt(0)
	s_barrier
	ds_read_b64 v[2:3], v79
	ds_read2st64_b64 v[8:11], v6 offset0:4 offset1:8
	ds_read_b64 v[12:13], v80
	ds_read_b64 v[14:15], v81
	;; [unrolled: 1-line block ×3, first 2 shown]
	s_waitcnt lgkmcnt(4)
	v_lshl_add_u64 v[2:3], v[2:3], 3, s[82:83]
	v_lshl_add_u64 v[2:3], v[2:3], 0, v[6:7]
	s_waitcnt lgkmcnt(3)
	global_store_dwordx2 v[2:3], v[8:9], off
	s_waitcnt lgkmcnt(2)
	v_lshl_add_u64 v[2:3], v[12:13], 3, s[82:83]
	v_lshl_add_u64 v[2:3], v[2:3], 0, v[6:7]
	global_store_dwordx2 v[2:3], v[10:11], off offset:2048
	ds_read2st64_b64 v[8:11], v6 offset0:12 offset1:16
	s_waitcnt lgkmcnt(2)
	v_lshl_add_u64 v[2:3], v[14:15], 3, s[82:83]
	v_add_u32_e32 v12, 0x1000, v6
	v_mov_b32_e32 v13, v1
	v_lshl_add_u64 v[2:3], v[2:3], 0, v[12:13]
	s_waitcnt lgkmcnt(0)
	global_store_dwordx2 v[2:3], v[8:9], off
	v_lshl_add_u64 v[2:3], v[16:17], 3, s[82:83]
	v_add_u32_e32 v8, 0x1800, v6
	v_mov_b32_e32 v9, v1
	v_lshl_add_u64 v[2:3], v[2:3], 0, v[8:9]
	global_store_dwordx2 v[2:3], v[10:11], off
	ds_read_b64 v[2:3], v83
	ds_read2st64_b64 v[8:11], v6 offset0:20 offset1:24
	ds_read_b64 v[12:13], v84
	ds_read_b64 v[14:15], v85
	;; [unrolled: 1-line block ×3, first 2 shown]
	s_waitcnt lgkmcnt(4)
	v_lshl_add_u64 v[2:3], v[2:3], 3, s[82:83]
	v_or_b32_e32 v18, 0x2000, v6
	v_mov_b32_e32 v19, v1
	v_lshl_add_u64 v[2:3], v[2:3], 0, v[18:19]
	s_waitcnt lgkmcnt(3)
	global_store_dwordx2 v[2:3], v[8:9], off
	s_waitcnt lgkmcnt(2)
	v_lshl_add_u64 v[2:3], v[12:13], 3, s[82:83]
	v_add_u32_e32 v8, 0x2800, v6
	v_mov_b32_e32 v9, v1
	v_lshl_add_u64 v[2:3], v[2:3], 0, v[8:9]
	global_store_dwordx2 v[2:3], v[10:11], off
	ds_read2st64_b64 v[8:11], v6 offset0:28 offset1:32
	s_waitcnt lgkmcnt(2)
	v_lshl_add_u64 v[2:3], v[14:15], 3, s[82:83]
	v_add_u32_e32 v12, 0x3000, v6
	v_mov_b32_e32 v13, v1
	v_lshl_add_u64 v[2:3], v[2:3], 0, v[12:13]
	s_waitcnt lgkmcnt(0)
	global_store_dwordx2 v[2:3], v[8:9], off
	v_lshl_add_u64 v[2:3], v[16:17], 3, s[82:83]
	v_add_u32_e32 v8, 0x3800, v6
	v_mov_b32_e32 v9, v1
	v_lshl_add_u64 v[2:3], v[2:3], 0, v[8:9]
	global_store_dwordx2 v[2:3], v[10:11], off
	ds_read_b64 v[2:3], v87
	ds_read2st64_b64 v[8:11], v6 offset0:36 offset1:40
	ds_read_b64 v[12:13], v88
	ds_read_b64 v[14:15], v38
	;; [unrolled: 1-line block ×3, first 2 shown]
	s_waitcnt lgkmcnt(4)
	v_lshl_add_u64 v[2:3], v[2:3], 3, s[82:83]
	v_lshlrev_b32_e32 v18, 3, v21
	v_lshl_add_u64 v[2:3], v[2:3], 0, v[18:19]
	s_waitcnt lgkmcnt(3)
	global_store_dwordx2 v[2:3], v[8:9], off
	s_waitcnt lgkmcnt(2)
	v_lshl_add_u64 v[2:3], v[12:13], 3, s[82:83]
	v_lshlrev_b32_e32 v8, 3, v26
	v_mov_b32_e32 v9, v1
	v_lshl_add_u64 v[2:3], v[2:3], 0, v[8:9]
	global_store_dwordx2 v[2:3], v[10:11], off
	ds_read2st64_b64 v[8:11], v6 offset0:44 offset1:48
	s_waitcnt lgkmcnt(2)
	v_lshl_add_u64 v[2:3], v[14:15], 3, s[82:83]
	v_lshlrev_b32_e32 v12, 3, v31
	v_mov_b32_e32 v13, v1
	v_lshl_add_u64 v[2:3], v[2:3], 0, v[12:13]
	s_waitcnt lgkmcnt(0)
	global_store_dwordx2 v[2:3], v[8:9], off
	v_lshl_add_u64 v[2:3], v[16:17], 3, s[82:83]
	v_lshlrev_b32_e32 v8, 3, v35
	v_mov_b32_e32 v9, v1
	v_lshl_add_u64 v[2:3], v[2:3], 0, v[8:9]
	global_store_dwordx2 v[2:3], v[10:11], off
	ds_read_b64 v[2:3], v91
	ds_read2st64_b64 v[8:11], v6 offset0:52 offset1:56
	ds_read_b64 v[12:13], v92
	ds_read_b64 v[14:15], v96
	;; [unrolled: 1-line block ×3, first 2 shown]
	s_waitcnt lgkmcnt(4)
	v_lshl_add_u64 v[2:3], v[2:3], 3, s[82:83]
	v_lshlrev_b32_e32 v18, 3, v93
	v_lshl_add_u64 v[2:3], v[2:3], 0, v[18:19]
	s_waitcnt lgkmcnt(3)
	global_store_dwordx2 v[2:3], v[8:9], off
	s_waitcnt lgkmcnt(2)
	v_lshl_add_u64 v[2:3], v[12:13], 3, s[82:83]
	v_lshlrev_b32_e32 v8, 3, v94
	v_mov_b32_e32 v9, v1
	v_lshl_add_u64 v[2:3], v[2:3], 0, v[8:9]
	global_store_dwordx2 v[2:3], v[10:11], off
	ds_read2st64_b64 v[8:11], v6 offset0:60 offset1:64
	s_waitcnt lgkmcnt(2)
	v_lshl_add_u64 v[2:3], v[14:15], 3, s[82:83]
	v_lshlrev_b32_e32 v12, 3, v95
	v_mov_b32_e32 v13, v1
	v_lshl_add_u64 v[2:3], v[2:3], 0, v[12:13]
	s_waitcnt lgkmcnt(0)
	global_store_dwordx2 v[2:3], v[8:9], off
	v_lshl_add_u64 v[2:3], v[16:17], 3, s[82:83]
	v_lshlrev_b32_e32 v8, 3, v76
	v_mov_b32_e32 v9, v1
	ds_read_b64 v[12:13], v98
	v_lshl_add_u64 v[2:3], v[2:3], 0, v[8:9]
	global_store_dwordx2 v[2:3], v[10:11], off
	ds_read2st64_b64 v[8:11], v6 offset0:68 offset1:72
	ds_read_b64 v[2:3], v99
	v_lshlrev_b32_e32 v14, 3, v77
	s_waitcnt lgkmcnt(2)
	v_lshl_add_u64 v[12:13], v[12:13], 3, s[82:83]
	v_mov_b32_e32 v15, v1
	v_lshl_add_u64 v[12:13], v[12:13], 0, v[14:15]
	s_waitcnt lgkmcnt(1)
	global_store_dwordx2 v[12:13], v[8:9], off
	s_waitcnt lgkmcnt(0)
	v_lshl_add_u64 v[2:3], v[2:3], 3, s[82:83]
	v_lshlrev_b32_e32 v8, 3, v70
	v_mov_b32_e32 v9, v1
	v_lshl_add_u64 v[2:3], v[2:3], 0, v[8:9]
	global_store_dwordx2 v[2:3], v[10:11], off
	s_cbranch_scc1 .LBB62_273
; %bb.272:
	ds_read_b64 v[2:3], v6
	v_mov_b32_e32 v5, v1
	v_lshl_add_u64 v[0:1], v[4:5], 0, v[0:1]
	s_waitcnt lgkmcnt(0)
	v_lshl_add_u64 v[0:1], v[0:1], 0, v[2:3]
	global_store_dwordx2 v6, v[0:1], s[86:87]
.LBB62_273:
	s_endpgm
.LBB62_274:
	s_or_b64 exec, exec, s[4:5]
	s_and_saveexec_b64 s[4:5], s[40:41]
	s_cbranch_execz .LBB62_199
.LBB62_275:
	v_lshlrev_b32_e32 v2, 3, v56
	ds_read_b64 v[28:29], v2
	ds_read_b64 v[30:31], v8 offset:4096
	v_mov_b32_e32 v9, 0
	s_waitcnt lgkmcnt(1)
	v_lshl_add_u64 v[28:29], v[28:29], 3, s[82:83]
	v_lshl_add_u64 v[28:29], v[28:29], 0, v[8:9]
	s_waitcnt lgkmcnt(0)
	global_store_dwordx2 v[28:29], v[30:31], off offset:2048
	s_or_b64 exec, exec, s[4:5]
	s_and_saveexec_b64 s[4:5], s[42:43]
	s_cbranch_execnz .LBB62_200
.LBB62_276:
	s_or_b64 exec, exec, s[4:5]
	s_and_saveexec_b64 s[4:5], s[44:45]
	s_cbranch_execz .LBB62_201
.LBB62_277:
	v_lshlrev_b32_e32 v2, 3, v54
	ds_read_b64 v[28:29], v2
	ds_read_b64 v[30:31], v8 offset:8192
	v_lshlrev_b32_e32 v12, 3, v13
	v_mov_b32_e32 v13, 0
	s_waitcnt lgkmcnt(1)
	v_lshl_add_u64 v[28:29], v[28:29], 3, s[82:83]
	v_lshl_add_u64 v[12:13], v[28:29], 0, v[12:13]
	s_waitcnt lgkmcnt(0)
	global_store_dwordx2 v[12:13], v[30:31], off
	s_or_b64 exec, exec, s[4:5]
	s_and_saveexec_b64 s[4:5], s[46:47]
	s_cbranch_execnz .LBB62_202
.LBB62_278:
	s_or_b64 exec, exec, s[4:5]
	s_and_saveexec_b64 s[4:5], s[48:49]
	s_cbranch_execz .LBB62_203
.LBB62_279:
	v_lshlrev_b32_e32 v2, 3, v52
	ds_read_b64 v[12:13], v2
	ds_read_b64 v[28:29], v8 offset:12288
	v_lshlrev_b32_e32 v30, 3, v16
	v_mov_b32_e32 v31, 0
	s_waitcnt lgkmcnt(1)
	v_lshl_add_u64 v[12:13], v[12:13], 3, s[82:83]
	v_lshl_add_u64 v[12:13], v[12:13], 0, v[30:31]
	s_waitcnt lgkmcnt(0)
	global_store_dwordx2 v[12:13], v[28:29], off
	s_or_b64 exec, exec, s[4:5]
	s_and_saveexec_b64 s[4:5], s[50:51]
	s_cbranch_execnz .LBB62_204
.LBB62_280:
	s_or_b64 exec, exec, s[4:5]
	s_and_saveexec_b64 s[4:5], s[52:53]
	s_cbranch_execz .LBB62_205
.LBB62_281:
	v_lshlrev_b32_e32 v2, 3, v50
	ds_read_b64 v[12:13], v2
	ds_read_b64 v[16:17], v8 offset:16384
	v_lshlrev_b32_e32 v18, 3, v18
	v_mov_b32_e32 v19, 0
	s_waitcnt lgkmcnt(1)
	v_lshl_add_u64 v[12:13], v[12:13], 3, s[82:83]
	v_lshl_add_u64 v[12:13], v[12:13], 0, v[18:19]
	s_waitcnt lgkmcnt(0)
	global_store_dwordx2 v[12:13], v[16:17], off
	s_or_b64 exec, exec, s[4:5]
	s_and_saveexec_b64 s[4:5], s[54:55]
	s_cbranch_execnz .LBB62_206
.LBB62_282:
	s_or_b64 exec, exec, s[4:5]
	s_and_saveexec_b64 s[4:5], s[56:57]
	s_cbranch_execz .LBB62_207
.LBB62_283:
	v_lshlrev_b32_e32 v2, 3, v47
	ds_read_b64 v[12:13], v2
	ds_read_b64 v[16:17], v8 offset:20480
	v_lshlrev_b32_e32 v18, 3, v21
	v_mov_b32_e32 v19, 0
	s_waitcnt lgkmcnt(1)
	v_lshl_add_u64 v[12:13], v[12:13], 3, s[82:83]
	v_lshl_add_u64 v[12:13], v[12:13], 0, v[18:19]
	s_waitcnt lgkmcnt(0)
	global_store_dwordx2 v[12:13], v[16:17], off
	s_or_b64 exec, exec, s[4:5]
	s_and_saveexec_b64 s[4:5], s[58:59]
	s_cbranch_execnz .LBB62_208
.LBB62_284:
	s_or_b64 exec, exec, s[4:5]
	s_and_saveexec_b64 s[4:5], s[60:61]
	s_cbranch_execz .LBB62_209
.LBB62_285:
	v_lshlrev_b32_e32 v2, 3, v44
	ds_read_b64 v[12:13], v2
	ds_read_b64 v[16:17], v8 offset:24576
	v_lshlrev_b32_e32 v18, 3, v23
	v_mov_b32_e32 v19, 0
	s_waitcnt lgkmcnt(1)
	v_lshl_add_u64 v[12:13], v[12:13], 3, s[82:83]
	v_lshl_add_u64 v[12:13], v[12:13], 0, v[18:19]
	s_waitcnt lgkmcnt(0)
	global_store_dwordx2 v[12:13], v[16:17], off
	s_or_b64 exec, exec, s[4:5]
	s_and_saveexec_b64 s[4:5], s[62:63]
	s_cbranch_execnz .LBB62_210
.LBB62_286:
	s_or_b64 exec, exec, s[4:5]
	s_and_saveexec_b64 s[4:5], s[64:65]
	s_cbranch_execz .LBB62_211
.LBB62_287:
	v_lshlrev_b32_e32 v2, 3, v11
	ds_read_b64 v[12:13], v2
	ds_read_b64 v[16:17], v8 offset:28672
	v_lshlrev_b32_e32 v18, 3, v25
	v_mov_b32_e32 v19, 0
	s_waitcnt lgkmcnt(1)
	v_lshl_add_u64 v[12:13], v[12:13], 3, s[82:83]
	v_lshl_add_u64 v[12:13], v[12:13], 0, v[18:19]
	s_waitcnt lgkmcnt(0)
	global_store_dwordx2 v[12:13], v[16:17], off
	s_or_b64 exec, exec, s[4:5]
	s_and_saveexec_b64 s[4:5], s[66:67]
	s_cbranch_execnz .LBB62_212
.LBB62_288:
	s_or_b64 exec, exec, s[4:5]
	s_and_saveexec_b64 s[4:5], s[68:69]
	s_cbranch_execz .LBB62_213
.LBB62_289:
	v_lshlrev_b32_e32 v2, 3, v10
	ds_read_b64 v[10:11], v2
	ds_read_b64 v[12:13], v8 offset:32768
	v_lshlrev_b32_e32 v16, 3, v27
	v_mov_b32_e32 v17, 0
	s_waitcnt lgkmcnt(1)
	v_lshl_add_u64 v[10:11], v[10:11], 3, s[82:83]
	v_lshl_add_u64 v[10:11], v[10:11], 0, v[16:17]
	s_waitcnt lgkmcnt(0)
	global_store_dwordx2 v[10:11], v[12:13], off
	s_or_b64 exec, exec, s[4:5]
	s_and_saveexec_b64 s[4:5], s[70:71]
	s_cbranch_execnz .LBB62_214
.LBB62_290:
	s_or_b64 exec, exec, s[4:5]
	s_and_saveexec_b64 s[4:5], s[72:73]
	s_cbranch_execz .LBB62_215
.LBB62_291:
	v_lshlrev_b32_e32 v2, 3, v3
	ds_read_b64 v[2:3], v2
	ds_read_b64 v[10:11], v8 offset:36864
	v_lshlrev_b32_e32 v12, 3, v43
	v_mov_b32_e32 v13, 0
	s_waitcnt lgkmcnt(1)
	v_lshl_add_u64 v[2:3], v[2:3], 3, s[82:83]
	v_lshl_add_u64 v[2:3], v[2:3], 0, v[12:13]
	s_waitcnt lgkmcnt(0)
	global_store_dwordx2 v[2:3], v[10:11], off
	s_or_b64 exec, exec, s[4:5]
	s_add_i32 s33, s33, -1
	s_cmp_eq_u32 s2, s33
	s_cbranch_scc1 .LBB62_216
	s_branch .LBB62_217
	.section	.rodata,"a",@progbits
	.p2align	6, 0x0
	.amdhsa_kernel _ZN7rocprim17ROCPRIM_304000_NS6detail25onesweep_iteration_kernelINS1_34wrapped_radix_sort_onesweep_configINS0_14default_configEsN2at4cuda3cub6detail10OpaqueTypeILi8EEEEELb1EPKsPsPKSA_PSA_mNS0_19identity_decomposerEEEvT1_T2_T3_T4_jPT5_SO_PNS1_23onesweep_lookback_stateET6_jjj
		.amdhsa_group_segment_fixed_size 38912
		.amdhsa_private_segment_fixed_size 0
		.amdhsa_kernarg_size 336
		.amdhsa_user_sgpr_count 2
		.amdhsa_user_sgpr_dispatch_ptr 0
		.amdhsa_user_sgpr_queue_ptr 0
		.amdhsa_user_sgpr_kernarg_segment_ptr 1
		.amdhsa_user_sgpr_dispatch_id 0
		.amdhsa_user_sgpr_kernarg_preload_length 0
		.amdhsa_user_sgpr_kernarg_preload_offset 0
		.amdhsa_user_sgpr_private_segment_size 0
		.amdhsa_uses_dynamic_stack 0
		.amdhsa_enable_private_segment 0
		.amdhsa_system_sgpr_workgroup_id_x 1
		.amdhsa_system_sgpr_workgroup_id_y 0
		.amdhsa_system_sgpr_workgroup_id_z 0
		.amdhsa_system_sgpr_workgroup_info 0
		.amdhsa_system_vgpr_workitem_id 2
		.amdhsa_next_free_vgpr 100
		.amdhsa_next_free_sgpr 97
		.amdhsa_accum_offset 100
		.amdhsa_reserve_vcc 1
		.amdhsa_float_round_mode_32 0
		.amdhsa_float_round_mode_16_64 0
		.amdhsa_float_denorm_mode_32 3
		.amdhsa_float_denorm_mode_16_64 3
		.amdhsa_dx10_clamp 1
		.amdhsa_ieee_mode 1
		.amdhsa_fp16_overflow 0
		.amdhsa_tg_split 0
		.amdhsa_exception_fp_ieee_invalid_op 0
		.amdhsa_exception_fp_denorm_src 0
		.amdhsa_exception_fp_ieee_div_zero 0
		.amdhsa_exception_fp_ieee_overflow 0
		.amdhsa_exception_fp_ieee_underflow 0
		.amdhsa_exception_fp_ieee_inexact 0
		.amdhsa_exception_int_div_zero 0
	.end_amdhsa_kernel
	.section	.text._ZN7rocprim17ROCPRIM_304000_NS6detail25onesweep_iteration_kernelINS1_34wrapped_radix_sort_onesweep_configINS0_14default_configEsN2at4cuda3cub6detail10OpaqueTypeILi8EEEEELb1EPKsPsPKSA_PSA_mNS0_19identity_decomposerEEEvT1_T2_T3_T4_jPT5_SO_PNS1_23onesweep_lookback_stateET6_jjj,"axG",@progbits,_ZN7rocprim17ROCPRIM_304000_NS6detail25onesweep_iteration_kernelINS1_34wrapped_radix_sort_onesweep_configINS0_14default_configEsN2at4cuda3cub6detail10OpaqueTypeILi8EEEEELb1EPKsPsPKSA_PSA_mNS0_19identity_decomposerEEEvT1_T2_T3_T4_jPT5_SO_PNS1_23onesweep_lookback_stateET6_jjj,comdat
.Lfunc_end62:
	.size	_ZN7rocprim17ROCPRIM_304000_NS6detail25onesweep_iteration_kernelINS1_34wrapped_radix_sort_onesweep_configINS0_14default_configEsN2at4cuda3cub6detail10OpaqueTypeILi8EEEEELb1EPKsPsPKSA_PSA_mNS0_19identity_decomposerEEEvT1_T2_T3_T4_jPT5_SO_PNS1_23onesweep_lookback_stateET6_jjj, .Lfunc_end62-_ZN7rocprim17ROCPRIM_304000_NS6detail25onesweep_iteration_kernelINS1_34wrapped_radix_sort_onesweep_configINS0_14default_configEsN2at4cuda3cub6detail10OpaqueTypeILi8EEEEELb1EPKsPsPKSA_PSA_mNS0_19identity_decomposerEEEvT1_T2_T3_T4_jPT5_SO_PNS1_23onesweep_lookback_stateET6_jjj
                                        ; -- End function
	.set _ZN7rocprim17ROCPRIM_304000_NS6detail25onesweep_iteration_kernelINS1_34wrapped_radix_sort_onesweep_configINS0_14default_configEsN2at4cuda3cub6detail10OpaqueTypeILi8EEEEELb1EPKsPsPKSA_PSA_mNS0_19identity_decomposerEEEvT1_T2_T3_T4_jPT5_SO_PNS1_23onesweep_lookback_stateET6_jjj.num_vgpr, 100
	.set _ZN7rocprim17ROCPRIM_304000_NS6detail25onesweep_iteration_kernelINS1_34wrapped_radix_sort_onesweep_configINS0_14default_configEsN2at4cuda3cub6detail10OpaqueTypeILi8EEEEELb1EPKsPsPKSA_PSA_mNS0_19identity_decomposerEEEvT1_T2_T3_T4_jPT5_SO_PNS1_23onesweep_lookback_stateET6_jjj.num_agpr, 0
	.set _ZN7rocprim17ROCPRIM_304000_NS6detail25onesweep_iteration_kernelINS1_34wrapped_radix_sort_onesweep_configINS0_14default_configEsN2at4cuda3cub6detail10OpaqueTypeILi8EEEEELb1EPKsPsPKSA_PSA_mNS0_19identity_decomposerEEEvT1_T2_T3_T4_jPT5_SO_PNS1_23onesweep_lookback_stateET6_jjj.numbered_sgpr, 97
	.set _ZN7rocprim17ROCPRIM_304000_NS6detail25onesweep_iteration_kernelINS1_34wrapped_radix_sort_onesweep_configINS0_14default_configEsN2at4cuda3cub6detail10OpaqueTypeILi8EEEEELb1EPKsPsPKSA_PSA_mNS0_19identity_decomposerEEEvT1_T2_T3_T4_jPT5_SO_PNS1_23onesweep_lookback_stateET6_jjj.num_named_barrier, 0
	.set _ZN7rocprim17ROCPRIM_304000_NS6detail25onesweep_iteration_kernelINS1_34wrapped_radix_sort_onesweep_configINS0_14default_configEsN2at4cuda3cub6detail10OpaqueTypeILi8EEEEELb1EPKsPsPKSA_PSA_mNS0_19identity_decomposerEEEvT1_T2_T3_T4_jPT5_SO_PNS1_23onesweep_lookback_stateET6_jjj.private_seg_size, 0
	.set _ZN7rocprim17ROCPRIM_304000_NS6detail25onesweep_iteration_kernelINS1_34wrapped_radix_sort_onesweep_configINS0_14default_configEsN2at4cuda3cub6detail10OpaqueTypeILi8EEEEELb1EPKsPsPKSA_PSA_mNS0_19identity_decomposerEEEvT1_T2_T3_T4_jPT5_SO_PNS1_23onesweep_lookback_stateET6_jjj.uses_vcc, 1
	.set _ZN7rocprim17ROCPRIM_304000_NS6detail25onesweep_iteration_kernelINS1_34wrapped_radix_sort_onesweep_configINS0_14default_configEsN2at4cuda3cub6detail10OpaqueTypeILi8EEEEELb1EPKsPsPKSA_PSA_mNS0_19identity_decomposerEEEvT1_T2_T3_T4_jPT5_SO_PNS1_23onesweep_lookback_stateET6_jjj.uses_flat_scratch, 0
	.set _ZN7rocprim17ROCPRIM_304000_NS6detail25onesweep_iteration_kernelINS1_34wrapped_radix_sort_onesweep_configINS0_14default_configEsN2at4cuda3cub6detail10OpaqueTypeILi8EEEEELb1EPKsPsPKSA_PSA_mNS0_19identity_decomposerEEEvT1_T2_T3_T4_jPT5_SO_PNS1_23onesweep_lookback_stateET6_jjj.has_dyn_sized_stack, 0
	.set _ZN7rocprim17ROCPRIM_304000_NS6detail25onesweep_iteration_kernelINS1_34wrapped_radix_sort_onesweep_configINS0_14default_configEsN2at4cuda3cub6detail10OpaqueTypeILi8EEEEELb1EPKsPsPKSA_PSA_mNS0_19identity_decomposerEEEvT1_T2_T3_T4_jPT5_SO_PNS1_23onesweep_lookback_stateET6_jjj.has_recursion, 0
	.set _ZN7rocprim17ROCPRIM_304000_NS6detail25onesweep_iteration_kernelINS1_34wrapped_radix_sort_onesweep_configINS0_14default_configEsN2at4cuda3cub6detail10OpaqueTypeILi8EEEEELb1EPKsPsPKSA_PSA_mNS0_19identity_decomposerEEEvT1_T2_T3_T4_jPT5_SO_PNS1_23onesweep_lookback_stateET6_jjj.has_indirect_call, 0
	.section	.AMDGPU.csdata,"",@progbits
; Kernel info:
; codeLenInByte = 27716
; TotalNumSgprs: 103
; NumVgprs: 100
; NumAgprs: 0
; TotalNumVgprs: 100
; ScratchSize: 0
; MemoryBound: 0
; FloatMode: 240
; IeeeMode: 1
; LDSByteSize: 38912 bytes/workgroup (compile time only)
; SGPRBlocks: 12
; VGPRBlocks: 12
; NumSGPRsForWavesPerEU: 103
; NumVGPRsForWavesPerEU: 100
; AccumOffset: 100
; Occupancy: 4
; WaveLimiterHint : 1
; COMPUTE_PGM_RSRC2:SCRATCH_EN: 0
; COMPUTE_PGM_RSRC2:USER_SGPR: 2
; COMPUTE_PGM_RSRC2:TRAP_HANDLER: 0
; COMPUTE_PGM_RSRC2:TGID_X_EN: 1
; COMPUTE_PGM_RSRC2:TGID_Y_EN: 0
; COMPUTE_PGM_RSRC2:TGID_Z_EN: 0
; COMPUTE_PGM_RSRC2:TIDIG_COMP_CNT: 2
; COMPUTE_PGM_RSRC3_GFX90A:ACCUM_OFFSET: 24
; COMPUTE_PGM_RSRC3_GFX90A:TG_SPLIT: 0
	.section	.text._ZN7rocprim17ROCPRIM_304000_NS6detail25onesweep_iteration_kernelINS1_34wrapped_radix_sort_onesweep_configINS0_14default_configEsN2at4cuda3cub6detail10OpaqueTypeILi8EEEEELb1EPsSC_PSA_SD_mNS0_19identity_decomposerEEEvT1_T2_T3_T4_jPT5_SK_PNS1_23onesweep_lookback_stateET6_jjj,"axG",@progbits,_ZN7rocprim17ROCPRIM_304000_NS6detail25onesweep_iteration_kernelINS1_34wrapped_radix_sort_onesweep_configINS0_14default_configEsN2at4cuda3cub6detail10OpaqueTypeILi8EEEEELb1EPsSC_PSA_SD_mNS0_19identity_decomposerEEEvT1_T2_T3_T4_jPT5_SK_PNS1_23onesweep_lookback_stateET6_jjj,comdat
	.protected	_ZN7rocprim17ROCPRIM_304000_NS6detail25onesweep_iteration_kernelINS1_34wrapped_radix_sort_onesweep_configINS0_14default_configEsN2at4cuda3cub6detail10OpaqueTypeILi8EEEEELb1EPsSC_PSA_SD_mNS0_19identity_decomposerEEEvT1_T2_T3_T4_jPT5_SK_PNS1_23onesweep_lookback_stateET6_jjj ; -- Begin function _ZN7rocprim17ROCPRIM_304000_NS6detail25onesweep_iteration_kernelINS1_34wrapped_radix_sort_onesweep_configINS0_14default_configEsN2at4cuda3cub6detail10OpaqueTypeILi8EEEEELb1EPsSC_PSA_SD_mNS0_19identity_decomposerEEEvT1_T2_T3_T4_jPT5_SK_PNS1_23onesweep_lookback_stateET6_jjj
	.globl	_ZN7rocprim17ROCPRIM_304000_NS6detail25onesweep_iteration_kernelINS1_34wrapped_radix_sort_onesweep_configINS0_14default_configEsN2at4cuda3cub6detail10OpaqueTypeILi8EEEEELb1EPsSC_PSA_SD_mNS0_19identity_decomposerEEEvT1_T2_T3_T4_jPT5_SK_PNS1_23onesweep_lookback_stateET6_jjj
	.p2align	8
	.type	_ZN7rocprim17ROCPRIM_304000_NS6detail25onesweep_iteration_kernelINS1_34wrapped_radix_sort_onesweep_configINS0_14default_configEsN2at4cuda3cub6detail10OpaqueTypeILi8EEEEELb1EPsSC_PSA_SD_mNS0_19identity_decomposerEEEvT1_T2_T3_T4_jPT5_SK_PNS1_23onesweep_lookback_stateET6_jjj,@function
_ZN7rocprim17ROCPRIM_304000_NS6detail25onesweep_iteration_kernelINS1_34wrapped_radix_sort_onesweep_configINS0_14default_configEsN2at4cuda3cub6detail10OpaqueTypeILi8EEEEELb1EPsSC_PSA_SD_mNS0_19identity_decomposerEEEvT1_T2_T3_T4_jPT5_SK_PNS1_23onesweep_lookback_stateET6_jjj: ; @_ZN7rocprim17ROCPRIM_304000_NS6detail25onesweep_iteration_kernelINS1_34wrapped_radix_sort_onesweep_configINS0_14default_configEsN2at4cuda3cub6detail10OpaqueTypeILi8EEEEELb1EPsSC_PSA_SD_mNS0_19identity_decomposerEEEvT1_T2_T3_T4_jPT5_SK_PNS1_23onesweep_lookback_stateET6_jjj
; %bb.0:
	s_load_dwordx8 s[76:83], s[0:1], 0x0
	s_load_dwordx4 s[88:91], s[0:1], 0x44
	s_load_dwordx4 s[84:87], s[0:1], 0x28
	s_load_dwordx2 s[94:95], s[0:1], 0x38
	s_mov_b32 s3, s2
	s_mov_b64 s[4:5], -1
	s_waitcnt lgkmcnt(0)
	s_cmp_ge_u32 s2, s90
	s_mul_i32 s92, s2, 0x1200
	v_mbcnt_lo_u32_b32 v1, -1, 0
	s_cbranch_scc0 .LBB63_218
; %bb.1:
	s_load_dword s6, s[0:1], 0x20
	s_mulk_i32 s90, 0xee00
	s_mov_b32 s93, 0
	s_lshl_b64 s[4:5], s[92:93], 1
	v_mbcnt_hi_u32_b32 v3, -1, v1
	s_waitcnt lgkmcnt(0)
	s_add_i32 s90, s90, s6
	s_add_u32 s4, s76, s4
	v_and_b32_e32 v19, 0xc0, v0
	s_addc_u32 s5, s77, s5
	v_mul_u32_u24_e32 v14, 18, v19
	v_mov_b32_e32 v5, 0
	v_lshlrev_b32_e32 v4, 1, v3
	v_lshl_add_u64 v[6:7], s[4:5], 0, v[4:5]
	v_lshlrev_b32_e32 v4, 1, v14
	v_lshl_add_u64 v[4:5], v[6:7], 0, v[4:5]
	v_or_b32_e32 v6, v3, v14
	v_cmp_gt_u32_e32 vcc, s90, v6
	v_mov_b32_e32 v8, -1
	v_mov_b32_e32 v9, -1
	s_and_saveexec_b64 s[4:5], vcc
	s_cbranch_execz .LBB63_3
; %bb.2:
	global_load_ushort v2, v[4:5], off
	s_waitcnt vmcnt(0)
	v_xor_b32_e32 v9, 0x7fff, v2
.LBB63_3:
	s_or_b64 exec, exec, s[4:5]
	v_add_u32_e32 v2, 64, v6
	v_cmp_gt_u32_e64 s[74:75], s90, v2
	s_and_saveexec_b64 s[4:5], s[74:75]
	s_cbranch_execz .LBB63_5
; %bb.4:
	global_load_ushort v2, v[4:5], off offset:128
	s_waitcnt vmcnt(0)
	v_xor_b32_e32 v8, 0x7fff, v2
.LBB63_5:
	s_or_b64 exec, exec, s[4:5]
	v_add_u32_e32 v2, 0x80, v6
	v_cmp_gt_u32_e64 s[4:5], s90, v2
	v_mov_b32_e32 v10, -1
	v_mov_b32_e32 v11, -1
	s_and_saveexec_b64 s[6:7], s[4:5]
	s_cbranch_execz .LBB63_7
; %bb.6:
	global_load_ushort v2, v[4:5], off offset:256
	s_waitcnt vmcnt(0)
	v_xor_b32_e32 v11, 0x7fff, v2
.LBB63_7:
	s_or_b64 exec, exec, s[6:7]
	v_add_u32_e32 v2, 0xc0, v6
	v_cmp_gt_u32_e64 s[10:11], s90, v2
	s_and_saveexec_b64 s[6:7], s[10:11]
	s_cbranch_execz .LBB63_9
; %bb.8:
	global_load_ushort v2, v[4:5], off offset:384
	s_waitcnt vmcnt(0)
	v_xor_b32_e32 v10, 0x7fff, v2
.LBB63_9:
	s_or_b64 exec, exec, s[6:7]
	v_add_u32_e32 v2, 0x100, v6
	v_cmp_gt_u32_e64 s[16:17], s90, v2
	v_mov_b32_e32 v12, -1
	v_mov_b32_e32 v13, -1
	s_and_saveexec_b64 s[6:7], s[16:17]
	s_cbranch_execz .LBB63_11
; %bb.10:
	global_load_ushort v2, v[4:5], off offset:512
	s_waitcnt vmcnt(0)
	v_xor_b32_e32 v13, 0x7fff, v2
.LBB63_11:
	;; [unrolled: 22-line block ×8, first 2 shown]
	s_or_b64 exec, exec, s[6:7]
	v_add_u32_e32 v6, 0x440, v6
	v_and_b32_e32 v2, 0x3ff, v0
	v_cmp_gt_u32_e64 s[6:7], s90, v6
	s_and_saveexec_b64 s[38:39], s[6:7]
	s_cbranch_execz .LBB63_37
; %bb.36:
	global_load_ushort v4, v[4:5], off offset:2176
	s_waitcnt vmcnt(0)
	v_xor_b32_e32 v26, 0x7fff, v4
.LBB63_37:
	s_or_b64 exec, exec, s[38:39]
	s_load_dword s38, s[0:1], 0x5c
	s_load_dword s33, s[0:1], 0x50
	s_add_u32 s39, s0, 0x50
	s_addc_u32 s40, s1, 0
	v_mov_b32_e32 v5, 0
	s_waitcnt lgkmcnt(0)
	s_lshr_b32 s41, s38, 16
	s_cmp_lt_u32 s2, s33
	s_cselect_b32 s38, 12, 18
	s_add_u32 s38, s39, s38
	s_addc_u32 s39, s40, 0
	global_load_ushort v29, v5, s[38:39]
	v_lshrrev_b32_sdwa v31, s88, v9 dst_sel:DWORD dst_unused:UNUSED_PAD src0_sel:DWORD src1_sel:WORD_0
	s_lshl_b32 s38, -1, s89
	v_bfe_u32 v4, v0, 10, 10
	v_bfe_u32 v7, v0, 20, 10
	v_bitop3_b32 v45, v31, s38, v31 bitop3:0x30
	v_mad_u32_u24 v44, v7, s41, v4
	v_and_b32_e32 v4, 1, v45
	v_lshlrev_b32_e32 v7, 30, v45
	v_mov_b32_e32 v6, v5
	v_mov_b32_e32 v32, v5
	s_not_b32 s96, s38
	v_lshlrev_b32_e32 v31, 29, v45
	v_lshlrev_b32_e32 v33, 28, v45
	v_lshl_add_u64 v[42:43], v[4:5], 0, -1
	v_cmp_ne_u32_e64 s[38:39], 0, v4
	v_not_b32_e32 v4, v7
	v_mov_b32_e32 v30, v5
	v_mov_b32_e32 v34, v5
	v_lshlrev_b32_e32 v35, 27, v45
	v_cmp_gt_i64_e64 s[40:41], 0, v[6:7]
	v_not_b32_e32 v6, v31
	v_cmp_gt_i64_e64 s[44:45], 0, v[32:33]
	v_not_b32_e32 v7, v33
	v_xor_b32_e32 v33, s39, v43
	v_ashrrev_i32_e32 v4, 31, v4
	v_mov_b32_e32 v36, v5
	v_lshlrev_b32_e32 v37, 26, v45
	v_cmp_gt_i64_e64 s[42:43], 0, v[30:31]
	v_cmp_gt_i64_e64 s[46:47], 0, v[34:35]
	v_not_b32_e32 v30, v35
	v_xor_b32_e32 v34, s38, v42
	v_ashrrev_i32_e32 v6, 31, v6
	v_and_b32_e32 v33, exec_hi, v33
	v_xor_b32_e32 v35, s41, v4
	v_cmp_gt_i64_e64 s[48:49], 0, v[36:37]
	v_ashrrev_i32_e32 v7, 31, v7
	v_and_b32_e32 v34, exec_lo, v34
	v_xor_b32_e32 v4, s40, v4
	v_xor_b32_e32 v36, s43, v6
	v_and_b32_e32 v33, v33, v35
	v_mov_b32_e32 v38, v5
	v_lshlrev_b32_e32 v39, 25, v45
	v_not_b32_e32 v31, v37
	v_ashrrev_i32_e32 v30, 31, v30
	v_xor_b32_e32 v6, s42, v6
	v_xor_b32_e32 v37, s45, v7
	v_and_b32_e32 v4, v34, v4
	v_and_b32_e32 v33, v33, v36
	v_cmp_gt_i64_e64 s[50:51], 0, v[38:39]
	v_not_b32_e32 v32, v39
	v_ashrrev_i32_e32 v31, 31, v31
	v_xor_b32_e32 v7, s44, v7
	v_xor_b32_e32 v38, s47, v30
	v_and_b32_e32 v4, v4, v6
	v_and_b32_e32 v6, v33, v37
	v_mov_b32_e32 v40, v5
	v_lshlrev_b32_e32 v41, 24, v45
	v_ashrrev_i32_e32 v32, 31, v32
	v_xor_b32_e32 v30, s46, v30
	v_xor_b32_e32 v39, s49, v31
	v_and_b32_e32 v4, v4, v7
	v_and_b32_e32 v6, v6, v38
	v_cmp_gt_i64_e64 s[52:53], 0, v[40:41]
	v_xor_b32_e32 v31, s48, v31
	v_xor_b32_e32 v40, s51, v32
	v_and_b32_e32 v4, v4, v30
	v_and_b32_e32 v6, v6, v39
	;; [unrolled: 1-line block ×4, first 2 shown]
	v_xor_b32_e32 v32, s50, v32
	v_and_b32_e32 v4, v4, v32
	v_mul_u32_u24_e32 v28, 20, v2
	ds_write2_b32 v28, v5, v5 offset0:4 offset1:5
	ds_write2_b32 v28, v5, v5 offset0:6 offset1:7
	ds_write_b32 v28, v5 offset:32
	s_waitcnt lgkmcnt(0)
	s_barrier
	s_waitcnt vmcnt(0)
	; wave barrier
	v_mad_u64_u32 v[6:7], s[38:39], v44, v29, v[2:3]
	v_lshrrev_b32_e32 v6, 6, v6
	v_lshlrev_b32_e32 v38, 2, v6
	v_not_b32_e32 v6, v41
	v_ashrrev_i32_e32 v6, 31, v6
	v_xor_b32_e32 v7, s53, v6
	v_xor_b32_e32 v6, s52, v6
	v_and_b32_e32 v6, v4, v6
	v_and_b32_e32 v7, v31, v7
	v_mbcnt_lo_u32_b32 v4, v6, 0
	v_mbcnt_hi_u32_b32 v29, v7, v4
	v_cmp_eq_u32_e64 s[38:39], 0, v29
	v_cmp_ne_u64_e64 s[40:41], 0, v[6:7]
	v_mad_u32_u24 v30, v45, 20, v38
	s_and_b64 s[40:41], s[40:41], s[38:39]
	s_and_saveexec_b64 s[38:39], s[40:41]
; %bb.38:
	v_bcnt_u32_b32 v4, v6, 0
	v_bcnt_u32_b32 v4, v7, v4
	ds_write_b32 v30, v4 offset:16
; %bb.39:
	s_or_b64 exec, exec, s[38:39]
	v_lshrrev_b32_sdwa v4, s88, v8 dst_sel:DWORD dst_unused:UNUSED_PAD src0_sel:DWORD src1_sel:WORD_0
	v_and_b32_e32 v33, s96, v4
	v_and_b32_e32 v4, 1, v33
	v_lshl_add_u64 v[6:7], v[4:5], 0, -1
	v_cmp_ne_u32_e64 s[38:39], 0, v4
	v_mad_u32_u24 v32, v33, 20, v38
	s_nop 0
	v_xor_b32_e32 v6, s38, v6
	v_xor_b32_e32 v4, s39, v7
	v_and_b32_e32 v34, exec_lo, v6
	v_lshlrev_b32_e32 v7, 30, v33
	v_mov_b32_e32 v6, v5
	v_cmp_gt_i64_e64 s[38:39], 0, v[6:7]
	v_not_b32_e32 v6, v7
	v_ashrrev_i32_e32 v6, 31, v6
	v_and_b32_e32 v4, exec_hi, v4
	v_xor_b32_e32 v7, s39, v6
	v_xor_b32_e32 v6, s38, v6
	v_and_b32_e32 v4, v4, v7
	v_and_b32_e32 v34, v34, v6
	v_lshlrev_b32_e32 v7, 29, v33
	v_mov_b32_e32 v6, v5
	v_cmp_gt_i64_e64 s[38:39], 0, v[6:7]
	v_not_b32_e32 v6, v7
	v_ashrrev_i32_e32 v6, 31, v6
	v_xor_b32_e32 v7, s39, v6
	v_xor_b32_e32 v6, s38, v6
	v_and_b32_e32 v4, v4, v7
	v_and_b32_e32 v34, v34, v6
	v_lshlrev_b32_e32 v7, 28, v33
	v_mov_b32_e32 v6, v5
	v_cmp_gt_i64_e64 s[38:39], 0, v[6:7]
	v_not_b32_e32 v6, v7
	v_ashrrev_i32_e32 v6, 31, v6
	;; [unrolled: 9-line block ×5, first 2 shown]
	v_xor_b32_e32 v7, s39, v6
	v_xor_b32_e32 v6, s38, v6
	v_and_b32_e32 v4, v4, v7
	v_lshlrev_b32_e32 v7, 24, v33
	v_and_b32_e32 v34, v34, v6
	v_mov_b32_e32 v6, v5
	v_not_b32_e32 v5, v7
	v_cmp_gt_i64_e64 s[38:39], 0, v[6:7]
	v_ashrrev_i32_e32 v5, 31, v5
	; wave barrier
	s_nop 0
	v_xor_b32_e32 v6, s39, v5
	v_xor_b32_e32 v7, s38, v5
	ds_read_b32 v31, v32 offset:16
	v_and_b32_e32 v5, v4, v6
	v_and_b32_e32 v4, v34, v7
	v_mbcnt_lo_u32_b32 v6, v4, 0
	v_mbcnt_hi_u32_b32 v33, v5, v6
	v_cmp_eq_u32_e64 s[38:39], 0, v33
	v_cmp_ne_u64_e64 s[40:41], 0, v[4:5]
	s_and_b64 s[40:41], s[40:41], s[38:39]
	; wave barrier
	s_and_saveexec_b64 s[38:39], s[40:41]
	s_cbranch_execz .LBB63_41
; %bb.40:
	v_bcnt_u32_b32 v4, v4, 0
	v_bcnt_u32_b32 v4, v5, v4
	s_waitcnt lgkmcnt(0)
	v_add_u32_e32 v4, v31, v4
	ds_write_b32 v32, v4 offset:16
.LBB63_41:
	s_or_b64 exec, exec, s[38:39]
	v_lshrrev_b32_sdwa v4, s88, v11 dst_sel:DWORD dst_unused:UNUSED_PAD src0_sel:DWORD src1_sel:WORD_0
	v_and_b32_e32 v36, s96, v4
	v_and_b32_e32 v4, 1, v36
	v_mov_b32_e32 v5, 0
	v_lshl_add_u64 v[6:7], v[4:5], 0, -1
	v_cmp_ne_u32_e64 s[38:39], 0, v4
	v_mad_u32_u24 v35, v36, 20, v38
	s_nop 0
	v_xor_b32_e32 v6, s38, v6
	v_xor_b32_e32 v4, s39, v7
	v_and_b32_e32 v37, exec_lo, v6
	v_lshlrev_b32_e32 v7, 30, v36
	v_mov_b32_e32 v6, v5
	v_cmp_gt_i64_e64 s[38:39], 0, v[6:7]
	v_not_b32_e32 v6, v7
	v_ashrrev_i32_e32 v6, 31, v6
	v_and_b32_e32 v4, exec_hi, v4
	v_xor_b32_e32 v7, s39, v6
	v_xor_b32_e32 v6, s38, v6
	v_and_b32_e32 v4, v4, v7
	v_and_b32_e32 v37, v37, v6
	v_lshlrev_b32_e32 v7, 29, v36
	v_mov_b32_e32 v6, v5
	v_cmp_gt_i64_e64 s[38:39], 0, v[6:7]
	v_not_b32_e32 v6, v7
	v_ashrrev_i32_e32 v6, 31, v6
	v_xor_b32_e32 v7, s39, v6
	v_xor_b32_e32 v6, s38, v6
	v_and_b32_e32 v4, v4, v7
	v_and_b32_e32 v37, v37, v6
	v_lshlrev_b32_e32 v7, 28, v36
	v_mov_b32_e32 v6, v5
	v_cmp_gt_i64_e64 s[38:39], 0, v[6:7]
	v_not_b32_e32 v6, v7
	v_ashrrev_i32_e32 v6, 31, v6
	;; [unrolled: 9-line block ×6, first 2 shown]
	v_xor_b32_e32 v7, s39, v6
	v_xor_b32_e32 v6, s38, v6
	; wave barrier
	ds_read_b32 v34, v35 offset:16
	v_and_b32_e32 v6, v37, v6
	v_and_b32_e32 v7, v4, v7
	v_mbcnt_lo_u32_b32 v4, v6, 0
	v_mbcnt_hi_u32_b32 v36, v7, v4
	v_cmp_eq_u32_e64 s[38:39], 0, v36
	v_cmp_ne_u64_e64 s[40:41], 0, v[6:7]
	s_and_b64 s[40:41], s[40:41], s[38:39]
	; wave barrier
	s_and_saveexec_b64 s[38:39], s[40:41]
	s_cbranch_execz .LBB63_43
; %bb.42:
	v_bcnt_u32_b32 v4, v6, 0
	v_bcnt_u32_b32 v4, v7, v4
	s_waitcnt lgkmcnt(0)
	v_add_u32_e32 v4, v34, v4
	ds_write_b32 v35, v4 offset:16
.LBB63_43:
	s_or_b64 exec, exec, s[38:39]
	v_lshrrev_b32_sdwa v4, s88, v10 dst_sel:DWORD dst_unused:UNUSED_PAD src0_sel:DWORD src1_sel:WORD_0
	v_and_b32_e32 v40, s96, v4
	v_and_b32_e32 v4, 1, v40
	v_lshl_add_u64 v[6:7], v[4:5], 0, -1
	v_cmp_ne_u32_e64 s[38:39], 0, v4
	v_mad_u32_u24 v39, v40, 20, v38
	s_nop 0
	v_xor_b32_e32 v6, s38, v6
	v_xor_b32_e32 v4, s39, v7
	v_and_b32_e32 v41, exec_lo, v6
	v_lshlrev_b32_e32 v7, 30, v40
	v_mov_b32_e32 v6, v5
	v_cmp_gt_i64_e64 s[38:39], 0, v[6:7]
	v_not_b32_e32 v6, v7
	v_ashrrev_i32_e32 v6, 31, v6
	v_and_b32_e32 v4, exec_hi, v4
	v_xor_b32_e32 v7, s39, v6
	v_xor_b32_e32 v6, s38, v6
	v_and_b32_e32 v4, v4, v7
	v_and_b32_e32 v41, v41, v6
	v_lshlrev_b32_e32 v7, 29, v40
	v_mov_b32_e32 v6, v5
	v_cmp_gt_i64_e64 s[38:39], 0, v[6:7]
	v_not_b32_e32 v6, v7
	v_ashrrev_i32_e32 v6, 31, v6
	v_xor_b32_e32 v7, s39, v6
	v_xor_b32_e32 v6, s38, v6
	v_and_b32_e32 v4, v4, v7
	v_and_b32_e32 v41, v41, v6
	v_lshlrev_b32_e32 v7, 28, v40
	v_mov_b32_e32 v6, v5
	v_cmp_gt_i64_e64 s[38:39], 0, v[6:7]
	v_not_b32_e32 v6, v7
	v_ashrrev_i32_e32 v6, 31, v6
	;; [unrolled: 9-line block ×5, first 2 shown]
	v_xor_b32_e32 v7, s39, v6
	v_xor_b32_e32 v6, s38, v6
	v_and_b32_e32 v4, v4, v7
	v_lshlrev_b32_e32 v7, 24, v40
	v_and_b32_e32 v41, v41, v6
	v_mov_b32_e32 v6, v5
	v_not_b32_e32 v5, v7
	v_cmp_gt_i64_e64 s[38:39], 0, v[6:7]
	v_ashrrev_i32_e32 v5, 31, v5
	; wave barrier
	s_nop 0
	v_xor_b32_e32 v6, s39, v5
	v_xor_b32_e32 v7, s38, v5
	ds_read_b32 v37, v39 offset:16
	v_and_b32_e32 v5, v4, v6
	v_and_b32_e32 v4, v41, v7
	v_mbcnt_lo_u32_b32 v6, v4, 0
	v_mbcnt_hi_u32_b32 v40, v5, v6
	v_cmp_eq_u32_e64 s[38:39], 0, v40
	v_cmp_ne_u64_e64 s[40:41], 0, v[4:5]
	s_and_b64 s[40:41], s[40:41], s[38:39]
	; wave barrier
	s_and_saveexec_b64 s[38:39], s[40:41]
	s_cbranch_execz .LBB63_45
; %bb.44:
	v_bcnt_u32_b32 v4, v4, 0
	v_bcnt_u32_b32 v4, v5, v4
	s_waitcnt lgkmcnt(0)
	v_add_u32_e32 v4, v37, v4
	ds_write_b32 v39, v4 offset:16
.LBB63_45:
	s_or_b64 exec, exec, s[38:39]
	v_lshrrev_b32_sdwa v4, s88, v13 dst_sel:DWORD dst_unused:UNUSED_PAD src0_sel:DWORD src1_sel:WORD_0
	v_and_b32_e32 v43, s96, v4
	v_and_b32_e32 v4, 1, v43
	v_mov_b32_e32 v5, 0
	v_lshl_add_u64 v[6:7], v[4:5], 0, -1
	v_cmp_ne_u32_e64 s[38:39], 0, v4
	v_mad_u32_u24 v42, v43, 20, v38
	s_nop 0
	v_xor_b32_e32 v6, s38, v6
	v_xor_b32_e32 v4, s39, v7
	v_and_b32_e32 v44, exec_lo, v6
	v_lshlrev_b32_e32 v7, 30, v43
	v_mov_b32_e32 v6, v5
	v_cmp_gt_i64_e64 s[38:39], 0, v[6:7]
	v_not_b32_e32 v6, v7
	v_ashrrev_i32_e32 v6, 31, v6
	v_and_b32_e32 v4, exec_hi, v4
	v_xor_b32_e32 v7, s39, v6
	v_xor_b32_e32 v6, s38, v6
	v_and_b32_e32 v4, v4, v7
	v_and_b32_e32 v44, v44, v6
	v_lshlrev_b32_e32 v7, 29, v43
	v_mov_b32_e32 v6, v5
	v_cmp_gt_i64_e64 s[38:39], 0, v[6:7]
	v_not_b32_e32 v6, v7
	v_ashrrev_i32_e32 v6, 31, v6
	v_xor_b32_e32 v7, s39, v6
	v_xor_b32_e32 v6, s38, v6
	v_and_b32_e32 v4, v4, v7
	v_and_b32_e32 v44, v44, v6
	v_lshlrev_b32_e32 v7, 28, v43
	v_mov_b32_e32 v6, v5
	v_cmp_gt_i64_e64 s[38:39], 0, v[6:7]
	v_not_b32_e32 v6, v7
	v_ashrrev_i32_e32 v6, 31, v6
	;; [unrolled: 9-line block ×6, first 2 shown]
	v_xor_b32_e32 v7, s39, v6
	v_xor_b32_e32 v6, s38, v6
	; wave barrier
	ds_read_b32 v41, v42 offset:16
	v_and_b32_e32 v6, v44, v6
	v_and_b32_e32 v7, v4, v7
	v_mbcnt_lo_u32_b32 v4, v6, 0
	v_mbcnt_hi_u32_b32 v43, v7, v4
	v_cmp_eq_u32_e64 s[38:39], 0, v43
	v_cmp_ne_u64_e64 s[40:41], 0, v[6:7]
	s_and_b64 s[40:41], s[40:41], s[38:39]
	; wave barrier
	s_and_saveexec_b64 s[38:39], s[40:41]
	s_cbranch_execz .LBB63_47
; %bb.46:
	v_bcnt_u32_b32 v4, v6, 0
	v_bcnt_u32_b32 v4, v7, v4
	s_waitcnt lgkmcnt(0)
	v_add_u32_e32 v4, v41, v4
	ds_write_b32 v42, v4 offset:16
.LBB63_47:
	s_or_b64 exec, exec, s[38:39]
	v_lshrrev_b32_sdwa v4, s88, v12 dst_sel:DWORD dst_unused:UNUSED_PAD src0_sel:DWORD src1_sel:WORD_0
	v_and_b32_e32 v46, s96, v4
	v_and_b32_e32 v4, 1, v46
	v_lshl_add_u64 v[6:7], v[4:5], 0, -1
	v_cmp_ne_u32_e64 s[38:39], 0, v4
	v_mad_u32_u24 v45, v46, 20, v38
	s_nop 0
	v_xor_b32_e32 v6, s38, v6
	v_xor_b32_e32 v4, s39, v7
	v_and_b32_e32 v47, exec_lo, v6
	v_lshlrev_b32_e32 v7, 30, v46
	v_mov_b32_e32 v6, v5
	v_cmp_gt_i64_e64 s[38:39], 0, v[6:7]
	v_not_b32_e32 v6, v7
	v_ashrrev_i32_e32 v6, 31, v6
	v_and_b32_e32 v4, exec_hi, v4
	v_xor_b32_e32 v7, s39, v6
	v_xor_b32_e32 v6, s38, v6
	v_and_b32_e32 v4, v4, v7
	v_and_b32_e32 v47, v47, v6
	v_lshlrev_b32_e32 v7, 29, v46
	v_mov_b32_e32 v6, v5
	v_cmp_gt_i64_e64 s[38:39], 0, v[6:7]
	v_not_b32_e32 v6, v7
	v_ashrrev_i32_e32 v6, 31, v6
	v_xor_b32_e32 v7, s39, v6
	v_xor_b32_e32 v6, s38, v6
	v_and_b32_e32 v4, v4, v7
	v_and_b32_e32 v47, v47, v6
	v_lshlrev_b32_e32 v7, 28, v46
	v_mov_b32_e32 v6, v5
	v_cmp_gt_i64_e64 s[38:39], 0, v[6:7]
	v_not_b32_e32 v6, v7
	v_ashrrev_i32_e32 v6, 31, v6
	;; [unrolled: 9-line block ×5, first 2 shown]
	v_xor_b32_e32 v7, s39, v6
	v_xor_b32_e32 v6, s38, v6
	v_and_b32_e32 v4, v4, v7
	v_lshlrev_b32_e32 v7, 24, v46
	v_and_b32_e32 v47, v47, v6
	v_mov_b32_e32 v6, v5
	v_not_b32_e32 v5, v7
	v_cmp_gt_i64_e64 s[38:39], 0, v[6:7]
	v_ashrrev_i32_e32 v5, 31, v5
	; wave barrier
	s_nop 0
	v_xor_b32_e32 v6, s39, v5
	v_xor_b32_e32 v7, s38, v5
	ds_read_b32 v44, v45 offset:16
	v_and_b32_e32 v5, v4, v6
	v_and_b32_e32 v4, v47, v7
	v_mbcnt_lo_u32_b32 v6, v4, 0
	v_mbcnt_hi_u32_b32 v46, v5, v6
	v_cmp_eq_u32_e64 s[38:39], 0, v46
	v_cmp_ne_u64_e64 s[40:41], 0, v[4:5]
	s_and_b64 s[40:41], s[40:41], s[38:39]
	; wave barrier
	s_and_saveexec_b64 s[38:39], s[40:41]
	s_cbranch_execz .LBB63_49
; %bb.48:
	v_bcnt_u32_b32 v4, v4, 0
	v_bcnt_u32_b32 v4, v5, v4
	s_waitcnt lgkmcnt(0)
	v_add_u32_e32 v4, v44, v4
	ds_write_b32 v45, v4 offset:16
.LBB63_49:
	s_or_b64 exec, exec, s[38:39]
	v_lshrrev_b32_sdwa v4, s88, v16 dst_sel:DWORD dst_unused:UNUSED_PAD src0_sel:DWORD src1_sel:WORD_0
	v_and_b32_e32 v49, s96, v4
	v_and_b32_e32 v4, 1, v49
	v_mov_b32_e32 v5, 0
	v_lshl_add_u64 v[6:7], v[4:5], 0, -1
	v_cmp_ne_u32_e64 s[38:39], 0, v4
	v_mad_u32_u24 v48, v49, 20, v38
	s_nop 0
	v_xor_b32_e32 v6, s38, v6
	v_xor_b32_e32 v4, s39, v7
	v_and_b32_e32 v50, exec_lo, v6
	v_lshlrev_b32_e32 v7, 30, v49
	v_mov_b32_e32 v6, v5
	v_cmp_gt_i64_e64 s[38:39], 0, v[6:7]
	v_not_b32_e32 v6, v7
	v_ashrrev_i32_e32 v6, 31, v6
	v_and_b32_e32 v4, exec_hi, v4
	v_xor_b32_e32 v7, s39, v6
	v_xor_b32_e32 v6, s38, v6
	v_and_b32_e32 v4, v4, v7
	v_and_b32_e32 v50, v50, v6
	v_lshlrev_b32_e32 v7, 29, v49
	v_mov_b32_e32 v6, v5
	v_cmp_gt_i64_e64 s[38:39], 0, v[6:7]
	v_not_b32_e32 v6, v7
	v_ashrrev_i32_e32 v6, 31, v6
	v_xor_b32_e32 v7, s39, v6
	v_xor_b32_e32 v6, s38, v6
	v_and_b32_e32 v4, v4, v7
	v_and_b32_e32 v50, v50, v6
	v_lshlrev_b32_e32 v7, 28, v49
	v_mov_b32_e32 v6, v5
	v_cmp_gt_i64_e64 s[38:39], 0, v[6:7]
	v_not_b32_e32 v6, v7
	v_ashrrev_i32_e32 v6, 31, v6
	;; [unrolled: 9-line block ×6, first 2 shown]
	v_xor_b32_e32 v7, s39, v6
	v_xor_b32_e32 v6, s38, v6
	; wave barrier
	ds_read_b32 v47, v48 offset:16
	v_and_b32_e32 v6, v50, v6
	v_and_b32_e32 v7, v4, v7
	v_mbcnt_lo_u32_b32 v4, v6, 0
	v_mbcnt_hi_u32_b32 v49, v7, v4
	v_cmp_eq_u32_e64 s[38:39], 0, v49
	v_cmp_ne_u64_e64 s[40:41], 0, v[6:7]
	s_and_b64 s[40:41], s[40:41], s[38:39]
	; wave barrier
	s_and_saveexec_b64 s[38:39], s[40:41]
	s_cbranch_execz .LBB63_51
; %bb.50:
	v_bcnt_u32_b32 v4, v6, 0
	v_bcnt_u32_b32 v4, v7, v4
	s_waitcnt lgkmcnt(0)
	v_add_u32_e32 v4, v47, v4
	ds_write_b32 v48, v4 offset:16
.LBB63_51:
	s_or_b64 exec, exec, s[38:39]
	v_lshrrev_b32_sdwa v4, s88, v15 dst_sel:DWORD dst_unused:UNUSED_PAD src0_sel:DWORD src1_sel:WORD_0
	v_and_b32_e32 v52, s96, v4
	v_and_b32_e32 v4, 1, v52
	v_lshl_add_u64 v[6:7], v[4:5], 0, -1
	v_cmp_ne_u32_e64 s[38:39], 0, v4
	v_mad_u32_u24 v51, v52, 20, v38
	s_nop 0
	v_xor_b32_e32 v6, s38, v6
	v_xor_b32_e32 v4, s39, v7
	v_and_b32_e32 v53, exec_lo, v6
	v_lshlrev_b32_e32 v7, 30, v52
	v_mov_b32_e32 v6, v5
	v_cmp_gt_i64_e64 s[38:39], 0, v[6:7]
	v_not_b32_e32 v6, v7
	v_ashrrev_i32_e32 v6, 31, v6
	v_and_b32_e32 v4, exec_hi, v4
	v_xor_b32_e32 v7, s39, v6
	v_xor_b32_e32 v6, s38, v6
	v_and_b32_e32 v4, v4, v7
	v_and_b32_e32 v53, v53, v6
	v_lshlrev_b32_e32 v7, 29, v52
	v_mov_b32_e32 v6, v5
	v_cmp_gt_i64_e64 s[38:39], 0, v[6:7]
	v_not_b32_e32 v6, v7
	v_ashrrev_i32_e32 v6, 31, v6
	v_xor_b32_e32 v7, s39, v6
	v_xor_b32_e32 v6, s38, v6
	v_and_b32_e32 v4, v4, v7
	v_and_b32_e32 v53, v53, v6
	v_lshlrev_b32_e32 v7, 28, v52
	v_mov_b32_e32 v6, v5
	v_cmp_gt_i64_e64 s[38:39], 0, v[6:7]
	v_not_b32_e32 v6, v7
	v_ashrrev_i32_e32 v6, 31, v6
	v_xor_b32_e32 v7, s39, v6
	v_xor_b32_e32 v6, s38, v6
	v_and_b32_e32 v4, v4, v7
	v_and_b32_e32 v53, v53, v6
	v_lshlrev_b32_e32 v7, 27, v52
	v_mov_b32_e32 v6, v5
	v_cmp_gt_i64_e64 s[38:39], 0, v[6:7]
	v_not_b32_e32 v6, v7
	v_ashrrev_i32_e32 v6, 31, v6
	v_xor_b32_e32 v7, s39, v6
	v_xor_b32_e32 v6, s38, v6
	v_and_b32_e32 v4, v4, v7
	v_and_b32_e32 v53, v53, v6
	v_lshlrev_b32_e32 v7, 26, v52
	v_mov_b32_e32 v6, v5
	v_cmp_gt_i64_e64 s[38:39], 0, v[6:7]
	v_not_b32_e32 v6, v7
	v_ashrrev_i32_e32 v6, 31, v6
	v_xor_b32_e32 v7, s39, v6
	v_xor_b32_e32 v6, s38, v6
	v_and_b32_e32 v4, v4, v7
	v_and_b32_e32 v53, v53, v6
	v_lshlrev_b32_e32 v7, 25, v52
	v_mov_b32_e32 v6, v5
	v_cmp_gt_i64_e64 s[38:39], 0, v[6:7]
	v_not_b32_e32 v6, v7
	v_ashrrev_i32_e32 v6, 31, v6
	v_xor_b32_e32 v7, s39, v6
	v_xor_b32_e32 v6, s38, v6
	v_and_b32_e32 v4, v4, v7
	v_lshlrev_b32_e32 v7, 24, v52
	v_and_b32_e32 v53, v53, v6
	v_mov_b32_e32 v6, v5
	v_not_b32_e32 v5, v7
	v_cmp_gt_i64_e64 s[38:39], 0, v[6:7]
	v_ashrrev_i32_e32 v5, 31, v5
	; wave barrier
	s_nop 0
	v_xor_b32_e32 v6, s39, v5
	v_xor_b32_e32 v7, s38, v5
	ds_read_b32 v50, v51 offset:16
	v_and_b32_e32 v5, v4, v6
	v_and_b32_e32 v4, v53, v7
	v_mbcnt_lo_u32_b32 v6, v4, 0
	v_mbcnt_hi_u32_b32 v52, v5, v6
	v_cmp_eq_u32_e64 s[38:39], 0, v52
	v_cmp_ne_u64_e64 s[40:41], 0, v[4:5]
	s_and_b64 s[40:41], s[40:41], s[38:39]
	; wave barrier
	s_and_saveexec_b64 s[38:39], s[40:41]
	s_cbranch_execz .LBB63_53
; %bb.52:
	v_bcnt_u32_b32 v4, v4, 0
	v_bcnt_u32_b32 v4, v5, v4
	s_waitcnt lgkmcnt(0)
	v_add_u32_e32 v4, v50, v4
	ds_write_b32 v51, v4 offset:16
.LBB63_53:
	s_or_b64 exec, exec, s[38:39]
	v_lshrrev_b32_sdwa v4, s88, v18 dst_sel:DWORD dst_unused:UNUSED_PAD src0_sel:DWORD src1_sel:WORD_0
	v_and_b32_e32 v55, s96, v4
	v_and_b32_e32 v4, 1, v55
	v_mov_b32_e32 v5, 0
	v_lshl_add_u64 v[6:7], v[4:5], 0, -1
	v_cmp_ne_u32_e64 s[38:39], 0, v4
	v_mad_u32_u24 v54, v55, 20, v38
	s_nop 0
	v_xor_b32_e32 v6, s38, v6
	v_xor_b32_e32 v4, s39, v7
	v_and_b32_e32 v56, exec_lo, v6
	v_lshlrev_b32_e32 v7, 30, v55
	v_mov_b32_e32 v6, v5
	v_cmp_gt_i64_e64 s[38:39], 0, v[6:7]
	v_not_b32_e32 v6, v7
	v_ashrrev_i32_e32 v6, 31, v6
	v_and_b32_e32 v4, exec_hi, v4
	v_xor_b32_e32 v7, s39, v6
	v_xor_b32_e32 v6, s38, v6
	v_and_b32_e32 v4, v4, v7
	v_and_b32_e32 v56, v56, v6
	v_lshlrev_b32_e32 v7, 29, v55
	v_mov_b32_e32 v6, v5
	v_cmp_gt_i64_e64 s[38:39], 0, v[6:7]
	v_not_b32_e32 v6, v7
	v_ashrrev_i32_e32 v6, 31, v6
	v_xor_b32_e32 v7, s39, v6
	v_xor_b32_e32 v6, s38, v6
	v_and_b32_e32 v4, v4, v7
	v_and_b32_e32 v56, v56, v6
	v_lshlrev_b32_e32 v7, 28, v55
	v_mov_b32_e32 v6, v5
	v_cmp_gt_i64_e64 s[38:39], 0, v[6:7]
	v_not_b32_e32 v6, v7
	v_ashrrev_i32_e32 v6, 31, v6
	;; [unrolled: 9-line block ×6, first 2 shown]
	v_xor_b32_e32 v7, s39, v6
	v_xor_b32_e32 v6, s38, v6
	; wave barrier
	ds_read_b32 v53, v54 offset:16
	v_and_b32_e32 v6, v56, v6
	v_and_b32_e32 v7, v4, v7
	v_mbcnt_lo_u32_b32 v4, v6, 0
	v_mbcnt_hi_u32_b32 v55, v7, v4
	v_cmp_eq_u32_e64 s[38:39], 0, v55
	v_cmp_ne_u64_e64 s[40:41], 0, v[6:7]
	s_and_b64 s[40:41], s[40:41], s[38:39]
	; wave barrier
	s_and_saveexec_b64 s[38:39], s[40:41]
	s_cbranch_execz .LBB63_55
; %bb.54:
	v_bcnt_u32_b32 v4, v6, 0
	v_bcnt_u32_b32 v4, v7, v4
	s_waitcnt lgkmcnt(0)
	v_add_u32_e32 v4, v53, v4
	ds_write_b32 v54, v4 offset:16
.LBB63_55:
	s_or_b64 exec, exec, s[38:39]
	v_lshrrev_b32_sdwa v4, s88, v17 dst_sel:DWORD dst_unused:UNUSED_PAD src0_sel:DWORD src1_sel:WORD_0
	v_and_b32_e32 v58, s96, v4
	v_and_b32_e32 v4, 1, v58
	v_lshl_add_u64 v[6:7], v[4:5], 0, -1
	v_cmp_ne_u32_e64 s[38:39], 0, v4
	v_mad_u32_u24 v57, v58, 20, v38
	s_nop 0
	v_xor_b32_e32 v6, s38, v6
	v_xor_b32_e32 v4, s39, v7
	v_and_b32_e32 v59, exec_lo, v6
	v_lshlrev_b32_e32 v7, 30, v58
	v_mov_b32_e32 v6, v5
	v_cmp_gt_i64_e64 s[38:39], 0, v[6:7]
	v_not_b32_e32 v6, v7
	v_ashrrev_i32_e32 v6, 31, v6
	v_and_b32_e32 v4, exec_hi, v4
	v_xor_b32_e32 v7, s39, v6
	v_xor_b32_e32 v6, s38, v6
	v_and_b32_e32 v4, v4, v7
	v_and_b32_e32 v59, v59, v6
	v_lshlrev_b32_e32 v7, 29, v58
	v_mov_b32_e32 v6, v5
	v_cmp_gt_i64_e64 s[38:39], 0, v[6:7]
	v_not_b32_e32 v6, v7
	v_ashrrev_i32_e32 v6, 31, v6
	v_xor_b32_e32 v7, s39, v6
	v_xor_b32_e32 v6, s38, v6
	v_and_b32_e32 v4, v4, v7
	v_and_b32_e32 v59, v59, v6
	v_lshlrev_b32_e32 v7, 28, v58
	v_mov_b32_e32 v6, v5
	v_cmp_gt_i64_e64 s[38:39], 0, v[6:7]
	v_not_b32_e32 v6, v7
	v_ashrrev_i32_e32 v6, 31, v6
	;; [unrolled: 9-line block ×5, first 2 shown]
	v_xor_b32_e32 v7, s39, v6
	v_xor_b32_e32 v6, s38, v6
	v_and_b32_e32 v4, v4, v7
	v_lshlrev_b32_e32 v7, 24, v58
	v_and_b32_e32 v59, v59, v6
	v_mov_b32_e32 v6, v5
	v_not_b32_e32 v5, v7
	v_cmp_gt_i64_e64 s[38:39], 0, v[6:7]
	v_ashrrev_i32_e32 v5, 31, v5
	; wave barrier
	s_nop 0
	v_xor_b32_e32 v6, s39, v5
	v_xor_b32_e32 v7, s38, v5
	ds_read_b32 v56, v57 offset:16
	v_and_b32_e32 v5, v4, v6
	v_and_b32_e32 v4, v59, v7
	v_mbcnt_lo_u32_b32 v6, v4, 0
	v_mbcnt_hi_u32_b32 v58, v5, v6
	v_cmp_eq_u32_e64 s[38:39], 0, v58
	v_cmp_ne_u64_e64 s[40:41], 0, v[4:5]
	s_and_b64 s[40:41], s[40:41], s[38:39]
	; wave barrier
	s_and_saveexec_b64 s[38:39], s[40:41]
	s_cbranch_execz .LBB63_57
; %bb.56:
	v_bcnt_u32_b32 v4, v4, 0
	v_bcnt_u32_b32 v4, v5, v4
	s_waitcnt lgkmcnt(0)
	v_add_u32_e32 v4, v56, v4
	ds_write_b32 v57, v4 offset:16
.LBB63_57:
	s_or_b64 exec, exec, s[38:39]
	v_lshrrev_b32_sdwa v4, s88, v21 dst_sel:DWORD dst_unused:UNUSED_PAD src0_sel:DWORD src1_sel:WORD_0
	v_and_b32_e32 v61, s96, v4
	v_and_b32_e32 v4, 1, v61
	v_mov_b32_e32 v5, 0
	v_lshl_add_u64 v[6:7], v[4:5], 0, -1
	v_cmp_ne_u32_e64 s[38:39], 0, v4
	v_mad_u32_u24 v60, v61, 20, v38
	s_nop 0
	v_xor_b32_e32 v6, s38, v6
	v_xor_b32_e32 v4, s39, v7
	v_and_b32_e32 v62, exec_lo, v6
	v_lshlrev_b32_e32 v7, 30, v61
	v_mov_b32_e32 v6, v5
	v_cmp_gt_i64_e64 s[38:39], 0, v[6:7]
	v_not_b32_e32 v6, v7
	v_ashrrev_i32_e32 v6, 31, v6
	v_and_b32_e32 v4, exec_hi, v4
	v_xor_b32_e32 v7, s39, v6
	v_xor_b32_e32 v6, s38, v6
	v_and_b32_e32 v4, v4, v7
	v_and_b32_e32 v62, v62, v6
	v_lshlrev_b32_e32 v7, 29, v61
	v_mov_b32_e32 v6, v5
	v_cmp_gt_i64_e64 s[38:39], 0, v[6:7]
	v_not_b32_e32 v6, v7
	v_ashrrev_i32_e32 v6, 31, v6
	v_xor_b32_e32 v7, s39, v6
	v_xor_b32_e32 v6, s38, v6
	v_and_b32_e32 v4, v4, v7
	v_and_b32_e32 v62, v62, v6
	v_lshlrev_b32_e32 v7, 28, v61
	v_mov_b32_e32 v6, v5
	v_cmp_gt_i64_e64 s[38:39], 0, v[6:7]
	v_not_b32_e32 v6, v7
	v_ashrrev_i32_e32 v6, 31, v6
	;; [unrolled: 9-line block ×6, first 2 shown]
	v_xor_b32_e32 v7, s39, v6
	v_xor_b32_e32 v6, s38, v6
	; wave barrier
	ds_read_b32 v59, v60 offset:16
	v_and_b32_e32 v6, v62, v6
	v_and_b32_e32 v7, v4, v7
	v_mbcnt_lo_u32_b32 v4, v6, 0
	v_mbcnt_hi_u32_b32 v61, v7, v4
	v_cmp_eq_u32_e64 s[38:39], 0, v61
	v_cmp_ne_u64_e64 s[40:41], 0, v[6:7]
	s_and_b64 s[40:41], s[40:41], s[38:39]
	; wave barrier
	s_and_saveexec_b64 s[38:39], s[40:41]
	s_cbranch_execz .LBB63_59
; %bb.58:
	v_bcnt_u32_b32 v4, v6, 0
	v_bcnt_u32_b32 v4, v7, v4
	s_waitcnt lgkmcnt(0)
	v_add_u32_e32 v4, v59, v4
	ds_write_b32 v60, v4 offset:16
.LBB63_59:
	s_or_b64 exec, exec, s[38:39]
	v_lshrrev_b32_sdwa v4, s88, v20 dst_sel:DWORD dst_unused:UNUSED_PAD src0_sel:DWORD src1_sel:WORD_0
	v_and_b32_e32 v64, s96, v4
	v_and_b32_e32 v4, 1, v64
	v_lshl_add_u64 v[6:7], v[4:5], 0, -1
	v_cmp_ne_u32_e64 s[38:39], 0, v4
	v_mad_u32_u24 v63, v64, 20, v38
	s_nop 0
	v_xor_b32_e32 v6, s38, v6
	v_xor_b32_e32 v4, s39, v7
	v_and_b32_e32 v65, exec_lo, v6
	v_lshlrev_b32_e32 v7, 30, v64
	v_mov_b32_e32 v6, v5
	v_cmp_gt_i64_e64 s[38:39], 0, v[6:7]
	v_not_b32_e32 v6, v7
	v_ashrrev_i32_e32 v6, 31, v6
	v_and_b32_e32 v4, exec_hi, v4
	v_xor_b32_e32 v7, s39, v6
	v_xor_b32_e32 v6, s38, v6
	v_and_b32_e32 v4, v4, v7
	v_and_b32_e32 v65, v65, v6
	v_lshlrev_b32_e32 v7, 29, v64
	v_mov_b32_e32 v6, v5
	v_cmp_gt_i64_e64 s[38:39], 0, v[6:7]
	v_not_b32_e32 v6, v7
	v_ashrrev_i32_e32 v6, 31, v6
	v_xor_b32_e32 v7, s39, v6
	v_xor_b32_e32 v6, s38, v6
	v_and_b32_e32 v4, v4, v7
	v_and_b32_e32 v65, v65, v6
	v_lshlrev_b32_e32 v7, 28, v64
	v_mov_b32_e32 v6, v5
	v_cmp_gt_i64_e64 s[38:39], 0, v[6:7]
	v_not_b32_e32 v6, v7
	v_ashrrev_i32_e32 v6, 31, v6
	;; [unrolled: 9-line block ×5, first 2 shown]
	v_xor_b32_e32 v7, s39, v6
	v_xor_b32_e32 v6, s38, v6
	v_and_b32_e32 v4, v4, v7
	v_lshlrev_b32_e32 v7, 24, v64
	v_and_b32_e32 v65, v65, v6
	v_mov_b32_e32 v6, v5
	v_not_b32_e32 v5, v7
	v_cmp_gt_i64_e64 s[38:39], 0, v[6:7]
	v_ashrrev_i32_e32 v5, 31, v5
	; wave barrier
	s_nop 0
	v_xor_b32_e32 v6, s39, v5
	v_xor_b32_e32 v7, s38, v5
	ds_read_b32 v62, v63 offset:16
	v_and_b32_e32 v5, v4, v6
	v_and_b32_e32 v4, v65, v7
	v_mbcnt_lo_u32_b32 v6, v4, 0
	v_mbcnt_hi_u32_b32 v64, v5, v6
	v_cmp_eq_u32_e64 s[38:39], 0, v64
	v_cmp_ne_u64_e64 s[40:41], 0, v[4:5]
	s_and_b64 s[40:41], s[40:41], s[38:39]
	; wave barrier
	s_and_saveexec_b64 s[38:39], s[40:41]
	s_cbranch_execz .LBB63_61
; %bb.60:
	v_bcnt_u32_b32 v4, v4, 0
	v_bcnt_u32_b32 v4, v5, v4
	s_waitcnt lgkmcnt(0)
	v_add_u32_e32 v4, v62, v4
	ds_write_b32 v63, v4 offset:16
.LBB63_61:
	s_or_b64 exec, exec, s[38:39]
	v_lshrrev_b32_sdwa v4, s88, v23 dst_sel:DWORD dst_unused:UNUSED_PAD src0_sel:DWORD src1_sel:WORD_0
	v_and_b32_e32 v67, s96, v4
	v_and_b32_e32 v4, 1, v67
	v_mov_b32_e32 v5, 0
	v_lshl_add_u64 v[6:7], v[4:5], 0, -1
	v_cmp_ne_u32_e64 s[38:39], 0, v4
	v_mad_u32_u24 v66, v67, 20, v38
	s_nop 0
	v_xor_b32_e32 v6, s38, v6
	v_xor_b32_e32 v4, s39, v7
	v_and_b32_e32 v68, exec_lo, v6
	v_lshlrev_b32_e32 v7, 30, v67
	v_mov_b32_e32 v6, v5
	v_cmp_gt_i64_e64 s[38:39], 0, v[6:7]
	v_not_b32_e32 v6, v7
	v_ashrrev_i32_e32 v6, 31, v6
	v_and_b32_e32 v4, exec_hi, v4
	v_xor_b32_e32 v7, s39, v6
	v_xor_b32_e32 v6, s38, v6
	v_and_b32_e32 v4, v4, v7
	v_and_b32_e32 v68, v68, v6
	v_lshlrev_b32_e32 v7, 29, v67
	v_mov_b32_e32 v6, v5
	v_cmp_gt_i64_e64 s[38:39], 0, v[6:7]
	v_not_b32_e32 v6, v7
	v_ashrrev_i32_e32 v6, 31, v6
	v_xor_b32_e32 v7, s39, v6
	v_xor_b32_e32 v6, s38, v6
	v_and_b32_e32 v4, v4, v7
	v_and_b32_e32 v68, v68, v6
	v_lshlrev_b32_e32 v7, 28, v67
	v_mov_b32_e32 v6, v5
	v_cmp_gt_i64_e64 s[38:39], 0, v[6:7]
	v_not_b32_e32 v6, v7
	v_ashrrev_i32_e32 v6, 31, v6
	;; [unrolled: 9-line block ×6, first 2 shown]
	v_xor_b32_e32 v7, s39, v6
	v_xor_b32_e32 v6, s38, v6
	; wave barrier
	ds_read_b32 v65, v66 offset:16
	v_and_b32_e32 v6, v68, v6
	v_and_b32_e32 v7, v4, v7
	v_mbcnt_lo_u32_b32 v4, v6, 0
	v_mbcnt_hi_u32_b32 v67, v7, v4
	v_cmp_eq_u32_e64 s[38:39], 0, v67
	v_cmp_ne_u64_e64 s[40:41], 0, v[6:7]
	s_and_b64 s[40:41], s[40:41], s[38:39]
	; wave barrier
	s_and_saveexec_b64 s[38:39], s[40:41]
	s_cbranch_execz .LBB63_63
; %bb.62:
	v_bcnt_u32_b32 v4, v6, 0
	v_bcnt_u32_b32 v4, v7, v4
	s_waitcnt lgkmcnt(0)
	v_add_u32_e32 v4, v65, v4
	ds_write_b32 v66, v4 offset:16
.LBB63_63:
	s_or_b64 exec, exec, s[38:39]
	v_lshrrev_b32_sdwa v4, s88, v22 dst_sel:DWORD dst_unused:UNUSED_PAD src0_sel:DWORD src1_sel:WORD_0
	v_and_b32_e32 v70, s96, v4
	v_and_b32_e32 v4, 1, v70
	v_lshl_add_u64 v[6:7], v[4:5], 0, -1
	v_cmp_ne_u32_e64 s[38:39], 0, v4
	v_mad_u32_u24 v69, v70, 20, v38
	s_nop 0
	v_xor_b32_e32 v6, s38, v6
	v_xor_b32_e32 v4, s39, v7
	v_and_b32_e32 v71, exec_lo, v6
	v_lshlrev_b32_e32 v7, 30, v70
	v_mov_b32_e32 v6, v5
	v_cmp_gt_i64_e64 s[38:39], 0, v[6:7]
	v_not_b32_e32 v6, v7
	v_ashrrev_i32_e32 v6, 31, v6
	v_and_b32_e32 v4, exec_hi, v4
	v_xor_b32_e32 v7, s39, v6
	v_xor_b32_e32 v6, s38, v6
	v_and_b32_e32 v4, v4, v7
	v_and_b32_e32 v71, v71, v6
	v_lshlrev_b32_e32 v7, 29, v70
	v_mov_b32_e32 v6, v5
	v_cmp_gt_i64_e64 s[38:39], 0, v[6:7]
	v_not_b32_e32 v6, v7
	v_ashrrev_i32_e32 v6, 31, v6
	v_xor_b32_e32 v7, s39, v6
	v_xor_b32_e32 v6, s38, v6
	v_and_b32_e32 v4, v4, v7
	v_and_b32_e32 v71, v71, v6
	v_lshlrev_b32_e32 v7, 28, v70
	v_mov_b32_e32 v6, v5
	v_cmp_gt_i64_e64 s[38:39], 0, v[6:7]
	v_not_b32_e32 v6, v7
	v_ashrrev_i32_e32 v6, 31, v6
	;; [unrolled: 9-line block ×5, first 2 shown]
	v_xor_b32_e32 v7, s39, v6
	v_xor_b32_e32 v6, s38, v6
	v_and_b32_e32 v4, v4, v7
	v_lshlrev_b32_e32 v7, 24, v70
	v_and_b32_e32 v71, v71, v6
	v_mov_b32_e32 v6, v5
	v_not_b32_e32 v5, v7
	v_cmp_gt_i64_e64 s[38:39], 0, v[6:7]
	v_ashrrev_i32_e32 v5, 31, v5
	; wave barrier
	s_nop 0
	v_xor_b32_e32 v6, s39, v5
	v_xor_b32_e32 v7, s38, v5
	ds_read_b32 v68, v69 offset:16
	v_and_b32_e32 v5, v4, v6
	v_and_b32_e32 v4, v71, v7
	v_mbcnt_lo_u32_b32 v6, v4, 0
	v_mbcnt_hi_u32_b32 v70, v5, v6
	v_cmp_eq_u32_e64 s[38:39], 0, v70
	v_cmp_ne_u64_e64 s[40:41], 0, v[4:5]
	s_and_b64 s[40:41], s[40:41], s[38:39]
	; wave barrier
	s_and_saveexec_b64 s[38:39], s[40:41]
	s_cbranch_execz .LBB63_65
; %bb.64:
	v_bcnt_u32_b32 v4, v4, 0
	v_bcnt_u32_b32 v4, v5, v4
	s_waitcnt lgkmcnt(0)
	v_add_u32_e32 v4, v68, v4
	ds_write_b32 v69, v4 offset:16
.LBB63_65:
	s_or_b64 exec, exec, s[38:39]
	v_lshrrev_b32_sdwa v4, s88, v25 dst_sel:DWORD dst_unused:UNUSED_PAD src0_sel:DWORD src1_sel:WORD_0
	v_and_b32_e32 v73, s96, v4
	v_and_b32_e32 v4, 1, v73
	v_mov_b32_e32 v5, 0
	v_lshl_add_u64 v[6:7], v[4:5], 0, -1
	v_cmp_ne_u32_e64 s[38:39], 0, v4
	v_mad_u32_u24 v72, v73, 20, v38
	s_nop 0
	v_xor_b32_e32 v6, s38, v6
	v_xor_b32_e32 v4, s39, v7
	v_and_b32_e32 v74, exec_lo, v6
	v_lshlrev_b32_e32 v7, 30, v73
	v_mov_b32_e32 v6, v5
	v_cmp_gt_i64_e64 s[38:39], 0, v[6:7]
	v_not_b32_e32 v6, v7
	v_ashrrev_i32_e32 v6, 31, v6
	v_and_b32_e32 v4, exec_hi, v4
	v_xor_b32_e32 v7, s39, v6
	v_xor_b32_e32 v6, s38, v6
	v_and_b32_e32 v4, v4, v7
	v_and_b32_e32 v74, v74, v6
	v_lshlrev_b32_e32 v7, 29, v73
	v_mov_b32_e32 v6, v5
	v_cmp_gt_i64_e64 s[38:39], 0, v[6:7]
	v_not_b32_e32 v6, v7
	v_ashrrev_i32_e32 v6, 31, v6
	v_xor_b32_e32 v7, s39, v6
	v_xor_b32_e32 v6, s38, v6
	v_and_b32_e32 v4, v4, v7
	v_and_b32_e32 v74, v74, v6
	v_lshlrev_b32_e32 v7, 28, v73
	v_mov_b32_e32 v6, v5
	v_cmp_gt_i64_e64 s[38:39], 0, v[6:7]
	v_not_b32_e32 v6, v7
	v_ashrrev_i32_e32 v6, 31, v6
	;; [unrolled: 9-line block ×6, first 2 shown]
	v_xor_b32_e32 v7, s39, v6
	v_xor_b32_e32 v6, s38, v6
	; wave barrier
	ds_read_b32 v71, v72 offset:16
	v_and_b32_e32 v6, v74, v6
	v_and_b32_e32 v7, v4, v7
	v_mbcnt_lo_u32_b32 v4, v6, 0
	v_mbcnt_hi_u32_b32 v73, v7, v4
	v_cmp_eq_u32_e64 s[38:39], 0, v73
	v_cmp_ne_u64_e64 s[40:41], 0, v[6:7]
	s_and_b64 s[40:41], s[40:41], s[38:39]
	; wave barrier
	s_and_saveexec_b64 s[38:39], s[40:41]
	s_cbranch_execz .LBB63_67
; %bb.66:
	v_bcnt_u32_b32 v4, v6, 0
	v_bcnt_u32_b32 v4, v7, v4
	s_waitcnt lgkmcnt(0)
	v_add_u32_e32 v4, v71, v4
	ds_write_b32 v72, v4 offset:16
.LBB63_67:
	s_or_b64 exec, exec, s[38:39]
	v_lshrrev_b32_sdwa v4, s88, v24 dst_sel:DWORD dst_unused:UNUSED_PAD src0_sel:DWORD src1_sel:WORD_0
	v_and_b32_e32 v76, s96, v4
	v_and_b32_e32 v4, 1, v76
	v_lshl_add_u64 v[6:7], v[4:5], 0, -1
	v_cmp_ne_u32_e64 s[38:39], 0, v4
	v_mad_u32_u24 v75, v76, 20, v38
	s_nop 0
	v_xor_b32_e32 v6, s38, v6
	v_xor_b32_e32 v4, s39, v7
	v_and_b32_e32 v77, exec_lo, v6
	v_lshlrev_b32_e32 v7, 30, v76
	v_mov_b32_e32 v6, v5
	v_cmp_gt_i64_e64 s[38:39], 0, v[6:7]
	v_not_b32_e32 v6, v7
	v_ashrrev_i32_e32 v6, 31, v6
	v_and_b32_e32 v4, exec_hi, v4
	v_xor_b32_e32 v7, s39, v6
	v_xor_b32_e32 v6, s38, v6
	v_and_b32_e32 v4, v4, v7
	v_and_b32_e32 v77, v77, v6
	v_lshlrev_b32_e32 v7, 29, v76
	v_mov_b32_e32 v6, v5
	v_cmp_gt_i64_e64 s[38:39], 0, v[6:7]
	v_not_b32_e32 v6, v7
	v_ashrrev_i32_e32 v6, 31, v6
	v_xor_b32_e32 v7, s39, v6
	v_xor_b32_e32 v6, s38, v6
	v_and_b32_e32 v4, v4, v7
	v_and_b32_e32 v77, v77, v6
	v_lshlrev_b32_e32 v7, 28, v76
	v_mov_b32_e32 v6, v5
	v_cmp_gt_i64_e64 s[38:39], 0, v[6:7]
	v_not_b32_e32 v6, v7
	v_ashrrev_i32_e32 v6, 31, v6
	;; [unrolled: 9-line block ×5, first 2 shown]
	v_xor_b32_e32 v7, s39, v6
	v_xor_b32_e32 v6, s38, v6
	v_and_b32_e32 v4, v4, v7
	v_lshlrev_b32_e32 v7, 24, v76
	v_and_b32_e32 v77, v77, v6
	v_mov_b32_e32 v6, v5
	v_not_b32_e32 v5, v7
	v_cmp_gt_i64_e64 s[38:39], 0, v[6:7]
	v_ashrrev_i32_e32 v5, 31, v5
	; wave barrier
	s_nop 0
	v_xor_b32_e32 v6, s39, v5
	v_xor_b32_e32 v7, s38, v5
	ds_read_b32 v74, v75 offset:16
	v_and_b32_e32 v5, v4, v6
	v_and_b32_e32 v4, v77, v7
	v_mbcnt_lo_u32_b32 v6, v4, 0
	v_mbcnt_hi_u32_b32 v76, v5, v6
	v_cmp_eq_u32_e64 s[38:39], 0, v76
	v_cmp_ne_u64_e64 s[40:41], 0, v[4:5]
	s_and_b64 s[40:41], s[40:41], s[38:39]
	; wave barrier
	s_and_saveexec_b64 s[38:39], s[40:41]
	s_cbranch_execz .LBB63_69
; %bb.68:
	v_bcnt_u32_b32 v4, v4, 0
	v_bcnt_u32_b32 v4, v5, v4
	s_waitcnt lgkmcnt(0)
	v_add_u32_e32 v4, v74, v4
	ds_write_b32 v75, v4 offset:16
.LBB63_69:
	s_or_b64 exec, exec, s[38:39]
	v_lshrrev_b32_sdwa v4, s88, v27 dst_sel:DWORD dst_unused:UNUSED_PAD src0_sel:DWORD src1_sel:WORD_0
	v_and_b32_e32 v79, s96, v4
	v_and_b32_e32 v4, 1, v79
	v_mov_b32_e32 v5, 0
	v_lshl_add_u64 v[6:7], v[4:5], 0, -1
	v_cmp_ne_u32_e64 s[38:39], 0, v4
	v_mad_u32_u24 v78, v79, 20, v38
	s_nop 0
	v_xor_b32_e32 v6, s38, v6
	v_xor_b32_e32 v4, s39, v7
	v_and_b32_e32 v80, exec_lo, v6
	v_lshlrev_b32_e32 v7, 30, v79
	v_mov_b32_e32 v6, v5
	v_cmp_gt_i64_e64 s[38:39], 0, v[6:7]
	v_not_b32_e32 v6, v7
	v_ashrrev_i32_e32 v6, 31, v6
	v_and_b32_e32 v4, exec_hi, v4
	v_xor_b32_e32 v7, s39, v6
	v_xor_b32_e32 v6, s38, v6
	v_and_b32_e32 v4, v4, v7
	v_and_b32_e32 v80, v80, v6
	v_lshlrev_b32_e32 v7, 29, v79
	v_mov_b32_e32 v6, v5
	v_cmp_gt_i64_e64 s[38:39], 0, v[6:7]
	v_not_b32_e32 v6, v7
	v_ashrrev_i32_e32 v6, 31, v6
	v_xor_b32_e32 v7, s39, v6
	v_xor_b32_e32 v6, s38, v6
	v_and_b32_e32 v4, v4, v7
	v_and_b32_e32 v80, v80, v6
	v_lshlrev_b32_e32 v7, 28, v79
	v_mov_b32_e32 v6, v5
	v_cmp_gt_i64_e64 s[38:39], 0, v[6:7]
	v_not_b32_e32 v6, v7
	v_ashrrev_i32_e32 v6, 31, v6
	;; [unrolled: 9-line block ×6, first 2 shown]
	v_xor_b32_e32 v7, s39, v6
	v_xor_b32_e32 v6, s38, v6
	; wave barrier
	ds_read_b32 v77, v78 offset:16
	v_and_b32_e32 v6, v80, v6
	v_and_b32_e32 v7, v4, v7
	v_mbcnt_lo_u32_b32 v4, v6, 0
	v_mbcnt_hi_u32_b32 v79, v7, v4
	v_cmp_eq_u32_e64 s[38:39], 0, v79
	v_cmp_ne_u64_e64 s[40:41], 0, v[6:7]
	s_and_b64 s[40:41], s[40:41], s[38:39]
	; wave barrier
	s_and_saveexec_b64 s[38:39], s[40:41]
	s_cbranch_execz .LBB63_71
; %bb.70:
	v_bcnt_u32_b32 v4, v6, 0
	v_bcnt_u32_b32 v4, v7, v4
	s_waitcnt lgkmcnt(0)
	v_add_u32_e32 v4, v77, v4
	ds_write_b32 v78, v4 offset:16
.LBB63_71:
	s_or_b64 exec, exec, s[38:39]
	v_lshrrev_b32_sdwa v4, s88, v26 dst_sel:DWORD dst_unused:UNUSED_PAD src0_sel:DWORD src1_sel:WORD_0
	v_and_b32_e32 v81, s96, v4
	v_and_b32_e32 v4, 1, v81
	v_lshl_add_u64 v[6:7], v[4:5], 0, -1
	v_cmp_ne_u32_e64 s[38:39], 0, v4
	v_mad_u32_u24 v38, v81, 20, v38
	s_nop 0
	v_xor_b32_e32 v6, s38, v6
	v_xor_b32_e32 v4, s39, v7
	v_and_b32_e32 v82, exec_lo, v6
	v_lshlrev_b32_e32 v7, 30, v81
	v_mov_b32_e32 v6, v5
	v_cmp_gt_i64_e64 s[38:39], 0, v[6:7]
	v_not_b32_e32 v6, v7
	v_ashrrev_i32_e32 v6, 31, v6
	v_and_b32_e32 v4, exec_hi, v4
	v_xor_b32_e32 v7, s39, v6
	v_xor_b32_e32 v6, s38, v6
	v_and_b32_e32 v4, v4, v7
	v_and_b32_e32 v82, v82, v6
	v_lshlrev_b32_e32 v7, 29, v81
	v_mov_b32_e32 v6, v5
	v_cmp_gt_i64_e64 s[38:39], 0, v[6:7]
	v_not_b32_e32 v6, v7
	v_ashrrev_i32_e32 v6, 31, v6
	v_xor_b32_e32 v7, s39, v6
	v_xor_b32_e32 v6, s38, v6
	v_and_b32_e32 v4, v4, v7
	v_and_b32_e32 v82, v82, v6
	v_lshlrev_b32_e32 v7, 28, v81
	v_mov_b32_e32 v6, v5
	v_cmp_gt_i64_e64 s[38:39], 0, v[6:7]
	v_not_b32_e32 v6, v7
	v_ashrrev_i32_e32 v6, 31, v6
	;; [unrolled: 9-line block ×5, first 2 shown]
	v_xor_b32_e32 v7, s39, v6
	v_xor_b32_e32 v6, s38, v6
	v_and_b32_e32 v4, v4, v7
	v_lshlrev_b32_e32 v7, 24, v81
	v_and_b32_e32 v82, v82, v6
	v_mov_b32_e32 v6, v5
	v_not_b32_e32 v5, v7
	v_cmp_gt_i64_e64 s[38:39], 0, v[6:7]
	v_ashrrev_i32_e32 v5, 31, v5
	; wave barrier
	s_nop 0
	v_xor_b32_e32 v6, s39, v5
	v_xor_b32_e32 v7, s38, v5
	ds_read_b32 v80, v38 offset:16
	v_and_b32_e32 v5, v4, v6
	v_and_b32_e32 v4, v82, v7
	v_mbcnt_lo_u32_b32 v6, v4, 0
	v_mbcnt_hi_u32_b32 v81, v5, v6
	v_cmp_eq_u32_e64 s[38:39], 0, v81
	v_cmp_ne_u64_e64 s[40:41], 0, v[4:5]
	s_and_b64 s[40:41], s[40:41], s[38:39]
	; wave barrier
	s_and_saveexec_b64 s[38:39], s[40:41]
	s_cbranch_execz .LBB63_73
; %bb.72:
	v_bcnt_u32_b32 v4, v4, 0
	v_bcnt_u32_b32 v4, v5, v4
	s_waitcnt lgkmcnt(0)
	v_add_u32_e32 v4, v80, v4
	ds_write_b32 v38, v4 offset:16
.LBB63_73:
	s_or_b64 exec, exec, s[38:39]
	; wave barrier
	s_waitcnt lgkmcnt(0)
	s_barrier
	ds_read2_b32 v[6:7], v28 offset0:4 offset1:5
	ds_read2_b32 v[4:5], v28 offset0:6 offset1:7
	ds_read_b32 v82, v28 offset:32
	v_min_u32_e32 v19, 0xc0, v19
	v_or_b32_e32 v19, 63, v19
	s_waitcnt lgkmcnt(1)
	v_add3_u32 v83, v7, v6, v4
	s_waitcnt lgkmcnt(0)
	v_add3_u32 v82, v83, v5, v82
	v_and_b32_e32 v83, 15, v3
	v_cmp_ne_u32_e64 s[38:39], 0, v83
	v_mov_b32_dpp v84, v82 row_shr:1 row_mask:0xf bank_mask:0xf
	s_nop 0
	v_cndmask_b32_e64 v84, 0, v84, s[38:39]
	v_add_u32_e32 v82, v84, v82
	v_cmp_lt_u32_e64 s[38:39], 1, v83
	s_nop 0
	v_mov_b32_dpp v84, v82 row_shr:2 row_mask:0xf bank_mask:0xf
	v_cndmask_b32_e64 v84, 0, v84, s[38:39]
	v_add_u32_e32 v82, v82, v84
	v_cmp_lt_u32_e64 s[38:39], 3, v83
	s_nop 0
	v_mov_b32_dpp v84, v82 row_shr:4 row_mask:0xf bank_mask:0xf
	;; [unrolled: 5-line block ×3, first 2 shown]
	v_cndmask_b32_e64 v83, 0, v84, s[38:39]
	v_add_u32_e32 v82, v82, v83
	v_bfe_i32 v84, v3, 4, 1
	v_cmp_lt_u32_e64 s[38:39], 31, v3
	v_mov_b32_dpp v83, v82 row_bcast:15 row_mask:0xf bank_mask:0xf
	v_and_b32_e32 v83, v84, v83
	v_add_u32_e32 v82, v82, v83
	s_nop 1
	v_mov_b32_dpp v83, v82 row_bcast:31 row_mask:0xf bank_mask:0xf
	v_cndmask_b32_e64 v83, 0, v83, s[38:39]
	v_add_u32_e32 v82, v82, v83
	v_lshrrev_b32_e32 v83, 6, v2
	v_cmp_eq_u32_e64 s[38:39], v2, v19
	s_and_saveexec_b64 s[40:41], s[38:39]
; %bb.74:
	v_lshlrev_b32_e32 v19, 2, v83
	ds_write_b32 v19, v82
; %bb.75:
	s_or_b64 exec, exec, s[40:41]
	v_cmp_gt_u32_e64 s[38:39], 4, v2
	s_waitcnt lgkmcnt(0)
	s_barrier
	s_and_saveexec_b64 s[40:41], s[38:39]
	s_cbranch_execz .LBB63_77
; %bb.76:
	v_lshlrev_b32_e32 v19, 2, v2
	ds_read_b32 v84, v19
	v_and_b32_e32 v85, 3, v3
	v_cmp_ne_u32_e64 s[38:39], 0, v85
	s_waitcnt lgkmcnt(0)
	v_mov_b32_dpp v86, v84 row_shr:1 row_mask:0xf bank_mask:0xf
	v_cndmask_b32_e64 v86, 0, v86, s[38:39]
	v_add_u32_e32 v84, v86, v84
	v_cmp_lt_u32_e64 s[38:39], 1, v85
	s_nop 0
	v_mov_b32_dpp v86, v84 row_shr:2 row_mask:0xf bank_mask:0xf
	v_cndmask_b32_e64 v85, 0, v86, s[38:39]
	v_add_u32_e32 v84, v84, v85
	ds_write_b32 v19, v84
.LBB63_77:
	s_or_b64 exec, exec, s[40:41]
	v_cmp_lt_u32_e64 s[38:39], 63, v2
	v_mov_b32_e32 v19, 0
	s_waitcnt lgkmcnt(0)
	s_barrier
	s_and_saveexec_b64 s[40:41], s[38:39]
; %bb.78:
	v_lshl_add_u32 v19, v83, 2, -4
	ds_read_b32 v19, v19
; %bb.79:
	s_or_b64 exec, exec, s[40:41]
	v_add_u32_e32 v83, -1, v3
	v_and_b32_e32 v84, 64, v3
	v_cmp_lt_i32_e64 s[38:39], v83, v84
	s_waitcnt lgkmcnt(0)
	v_add_u32_e32 v82, v19, v82
	v_cndmask_b32_e64 v83, v83, v3, s[38:39]
	v_lshlrev_b32_e32 v83, 2, v83
	ds_bpermute_b32 v82, v83, v82
	v_cmp_eq_u32_e64 s[38:39], 0, v3
	s_waitcnt lgkmcnt(0)
	s_nop 0
	v_cndmask_b32_e64 v19, v82, v19, s[38:39]
	v_cmp_ne_u32_e64 s[38:39], 0, v2
	s_nop 1
	v_cndmask_b32_e64 v19, 0, v19, s[38:39]
	v_add_u32_e32 v6, v19, v6
	v_add_u32_e32 v7, v6, v7
	;; [unrolled: 1-line block ×4, first 2 shown]
	ds_write2_b32 v28, v19, v6 offset0:4 offset1:5
	ds_write2_b32 v28, v7, v4 offset0:6 offset1:7
	ds_write_b32 v28, v5 offset:32
	s_waitcnt lgkmcnt(0)
	s_barrier
	ds_read_b32 v6, v51 offset:16
	ds_read_b32 v7, v54 offset:16
	;; [unrolled: 1-line block ×19, first 2 shown]
	v_add_u32_e32 v28, 1, v2
	s_movk_i32 s38, 0x100
	v_cmp_ne_u32_e64 s[38:39], s38, v28
	v_mov_b32_e32 v5, 0x1200
	s_and_saveexec_b64 s[40:41], s[38:39]
; %bb.80:
	v_mul_u32_u24_e32 v5, 20, v28
	ds_read_b32 v5, v5 offset:16
; %bb.81:
	s_or_b64 exec, exec, s[40:41]
	s_waitcnt lgkmcnt(7)
	v_add_u32_e32 v48, v30, v29
	s_waitcnt lgkmcnt(6)
	v_add3_u32 v45, v33, v31, v32
	s_waitcnt lgkmcnt(5)
	v_add3_u32 v42, v36, v34, v35
	v_add3_u32 v36, v52, v50, v6
	v_lshlrev_b32_e32 v6, 1, v48
	s_waitcnt lgkmcnt(0)
	s_barrier
	ds_write_b16 v6, v9 offset:2048
	v_lshlrev_b32_e32 v6, 1, v45
	v_add3_u32 v40, v40, v37, v38
	ds_write_b16 v6, v8 offset:2048
	v_lshlrev_b32_e32 v6, 1, v42
	v_add3_u32 v39, v43, v41, v39
	;; [unrolled: 3-line block ×4, first 2 shown]
	ds_write_b16 v6, v13 offset:2048
	v_lshlrev_b32_e32 v6, 1, v38
	ds_write_b16 v6, v12 offset:2048
	v_lshlrev_b32_e32 v6, 1, v37
	v_add3_u32 v35, v55, v53, v7
	ds_write_b16 v6, v16 offset:2048
	v_lshlrev_b32_e32 v6, 1, v36
	v_add3_u32 v34, v58, v56, v19
	;; [unrolled: 3-line block ×10, first 2 shown]
	ds_write_b16 v6, v24 offset:2048
	v_lshlrev_b32_e32 v6, 1, v19
	ds_write_b16 v6, v27 offset:2048
	v_lshlrev_b32_e32 v6, 1, v7
	ds_write_b16 v6, v26 offset:2048
	v_sub_u32_e32 v6, v5, v4
	v_lshl_add_u32 v8, s2, 8, v2
	v_mov_b32_e32 v9, 0
	v_lshl_add_u64 v[10:11], v[8:9], 2, s[94:95]
	v_or_b32_e32 v5, 2.0, v6
	s_mov_b64 s[40:41], 0
	s_brev_b32 s46, -4
	s_mov_b32 s47, s3
	v_mov_b32_e32 v15, 0
	s_waitcnt lgkmcnt(0)
	s_barrier
	global_store_dword v[10:11], v5, off sc1
                                        ; implicit-def: $sgpr38_sgpr39
	s_branch .LBB63_84
.LBB63_82:                              ;   in Loop: Header=BB63_84 Depth=1
	s_or_b64 exec, exec, s[44:45]
.LBB63_83:                              ;   in Loop: Header=BB63_84 Depth=1
	s_or_b64 exec, exec, s[42:43]
	v_and_b32_e32 v8, 0x3fffffff, v5
	v_add_u32_e32 v15, v8, v15
	v_cmp_gt_i32_e64 s[38:39], -2.0, v5
	s_and_b64 s[42:43], exec, s[38:39]
	s_or_b64 s[40:41], s[42:43], s[40:41]
	s_andn2_b64 exec, exec, s[40:41]
	s_cbranch_execz .LBB63_89
.LBB63_84:                              ; =>This Loop Header: Depth=1
                                        ;     Child Loop BB63_87 Depth 2
	s_or_b64 s[38:39], s[38:39], exec
	s_cmp_eq_u32 s47, 0
	s_cbranch_scc1 .LBB63_88
; %bb.85:                               ;   in Loop: Header=BB63_84 Depth=1
	s_add_i32 s47, s47, -1
	v_lshl_add_u32 v8, s47, 8, v2
	v_lshl_add_u64 v[12:13], v[8:9], 2, s[94:95]
	global_load_dword v5, v[12:13], off sc1
	s_waitcnt vmcnt(0)
	v_cmp_gt_u32_e64 s[38:39], 2.0, v5
	s_and_saveexec_b64 s[42:43], s[38:39]
	s_cbranch_execz .LBB63_83
; %bb.86:                               ;   in Loop: Header=BB63_84 Depth=1
	s_mov_b64 s[44:45], 0
.LBB63_87:                              ;   Parent Loop BB63_84 Depth=1
                                        ; =>  This Inner Loop Header: Depth=2
	global_load_dword v5, v[12:13], off sc1
	s_waitcnt vmcnt(0)
	v_cmp_lt_u32_e64 s[38:39], s46, v5
	s_or_b64 s[44:45], s[38:39], s[44:45]
	s_andn2_b64 exec, exec, s[44:45]
	s_cbranch_execnz .LBB63_87
	s_branch .LBB63_82
.LBB63_88:                              ;   in Loop: Header=BB63_84 Depth=1
                                        ; implicit-def: $sgpr47
	s_and_b64 s[42:43], exec, s[38:39]
	s_or_b64 s[40:41], s[42:43], s[40:41]
	s_andn2_b64 exec, exec, s[40:41]
	s_cbranch_execnz .LBB63_84
.LBB63_89:
	s_or_b64 exec, exec, s[40:41]
	v_add_u32_e32 v5, v15, v6
	v_or_b32_e32 v5, 0x80000000, v5
	v_lshlrev_b32_e32 v8, 3, v2
	global_store_dword v[10:11], v5, off sc1
	global_load_dwordx2 v[10:11], v8, s[84:85]
	v_sub_co_u32_e64 v12, s[38:39], v15, v4
	v_mov_b32_e32 v5, 0
	s_nop 0
	v_subb_co_u32_e64 v13, s[38:39], 0, 0, s[38:39]
	v_cmp_gt_u32_e64 s[38:39], s90, v2
	s_waitcnt vmcnt(0)
	v_lshl_add_u64 v[10:11], v[12:13], 0, v[10:11]
	ds_write_b64 v8, v[10:11]
	s_waitcnt lgkmcnt(0)
	s_barrier
	s_and_saveexec_b64 s[40:41], s[38:39]
	s_cbranch_execz .LBB63_91
; %bb.90:
	v_mad_i32_i24 v9, v2, -6, v8
	ds_read_u16 v9, v9 offset:2048
	v_lshlrev_b32_e32 v12, 1, v2
	v_mov_b32_e32 v13, v5
	s_waitcnt lgkmcnt(0)
	v_lshrrev_b32_sdwa v10, s88, v9 dst_sel:DWORD dst_unused:UNUSED_PAD src0_sel:DWORD src1_sel:WORD_0
	v_and_b32_e32 v10, s96, v10
	v_lshlrev_b32_e32 v10, 3, v10
	ds_read_b64 v[10:11], v10
	v_xor_b32_e32 v9, 0x7fff, v9
	s_waitcnt lgkmcnt(0)
	v_lshl_add_u64 v[10:11], v[10:11], 1, s[78:79]
	v_lshl_add_u64 v[10:11], v[10:11], 0, v[12:13]
	global_store_short v[10:11], v9, off
.LBB63_91:
	s_or_b64 exec, exec, s[40:41]
	v_add_u32_e32 v9, 0x100, v2
	v_cmp_gt_u32_e64 s[40:41], s90, v9
	s_and_saveexec_b64 s[42:43], s[40:41]
	s_cbranch_execz .LBB63_93
; %bb.92:
	v_mad_i32_i24 v9, v2, -6, v8
	ds_read_u16 v9, v9 offset:2560
	v_lshlrev_b32_e32 v12, 1, v2
	v_mov_b32_e32 v13, 0
	s_waitcnt lgkmcnt(0)
	v_lshrrev_b32_sdwa v10, s88, v9 dst_sel:DWORD dst_unused:UNUSED_PAD src0_sel:DWORD src1_sel:WORD_0
	v_and_b32_e32 v10, s96, v10
	v_lshlrev_b32_e32 v10, 3, v10
	ds_read_b64 v[10:11], v10
	v_xor_b32_e32 v9, 0x7fff, v9
	s_waitcnt lgkmcnt(0)
	v_lshl_add_u64 v[10:11], v[10:11], 1, s[78:79]
	v_lshl_add_u64 v[10:11], v[10:11], 0, v[12:13]
	global_store_short v[10:11], v9, off offset:512
.LBB63_93:
	s_or_b64 exec, exec, s[42:43]
	v_add_u32_e32 v12, 0x200, v2
	v_cmp_gt_u32_e64 s[42:43], s90, v12
	s_and_saveexec_b64 s[44:45], s[42:43]
	s_cbranch_execz .LBB63_95
; %bb.94:
	v_mad_i32_i24 v9, v2, -6, v8
	ds_read_u16 v9, v9 offset:3072
	v_lshlrev_b32_e32 v16, 1, v2
	v_mov_b32_e32 v17, 0
	s_waitcnt lgkmcnt(0)
	v_lshrrev_b32_sdwa v10, s88, v9 dst_sel:DWORD dst_unused:UNUSED_PAD src0_sel:DWORD src1_sel:WORD_0
	v_and_b32_e32 v10, s96, v10
	v_lshlrev_b32_e32 v10, 3, v10
	ds_read_b64 v[10:11], v10
	v_xor_b32_e32 v9, 0x7fff, v9
	s_waitcnt lgkmcnt(0)
	v_lshl_add_u64 v[10:11], v[10:11], 1, s[78:79]
	v_lshl_add_u64 v[10:11], v[10:11], 0, v[16:17]
	global_store_short v[10:11], v9, off offset:1024
.LBB63_95:
	;; [unrolled: 21-line block ×3, first 2 shown]
	s_or_b64 exec, exec, s[46:47]
	v_or_b32_e32 v15, 0x400, v2
	v_cmp_gt_u32_e64 s[46:47], s90, v15
	s_and_saveexec_b64 s[48:49], s[46:47]
	s_cbranch_execz .LBB63_99
; %bb.98:
	v_mad_i32_i24 v9, v2, -6, v8
	ds_read_u16 v9, v9 offset:4096
	v_lshlrev_b32_e32 v16, 1, v2
	v_mov_b32_e32 v17, 0
	s_waitcnt lgkmcnt(0)
	v_lshrrev_b32_sdwa v10, s88, v9 dst_sel:DWORD dst_unused:UNUSED_PAD src0_sel:DWORD src1_sel:WORD_0
	v_and_b32_e32 v10, s96, v10
	v_lshlrev_b32_e32 v10, 3, v10
	ds_read_b64 v[10:11], v10
	v_xor_b32_e32 v9, 0x7fff, v9
	s_waitcnt lgkmcnt(0)
	v_lshl_add_u64 v[10:11], v[10:11], 1, s[78:79]
	v_lshl_add_u64 v[10:11], v[10:11], 0, v[16:17]
	global_store_short v[10:11], v9, off offset:2048
.LBB63_99:
	s_or_b64 exec, exec, s[48:49]
	v_add_u32_e32 v16, 0x500, v2
	v_cmp_gt_u32_e64 s[48:49], s90, v16
	s_and_saveexec_b64 s[50:51], s[48:49]
	s_cbranch_execz .LBB63_101
; %bb.100:
	v_mad_i32_i24 v9, v2, -6, v8
	ds_read_u16 v9, v9 offset:4608
	v_lshlrev_b32_e32 v20, 1, v2
	v_mov_b32_e32 v21, 0
	s_waitcnt lgkmcnt(0)
	v_lshrrev_b32_sdwa v10, s88, v9 dst_sel:DWORD dst_unused:UNUSED_PAD src0_sel:DWORD src1_sel:WORD_0
	v_and_b32_e32 v10, s96, v10
	v_lshlrev_b32_e32 v10, 3, v10
	ds_read_b64 v[10:11], v10
	v_xor_b32_e32 v9, 0x7fff, v9
	s_waitcnt lgkmcnt(0)
	v_lshl_add_u64 v[10:11], v[10:11], 1, s[78:79]
	v_lshl_add_u64 v[10:11], v[10:11], 0, v[20:21]
	global_store_short v[10:11], v9, off offset:2560
.LBB63_101:
	s_or_b64 exec, exec, s[50:51]
	v_add_u32_e32 v17, 0x600, v2
	v_cmp_gt_u32_e64 s[50:51], s90, v17
	s_and_saveexec_b64 s[52:53], s[50:51]
	s_cbranch_execz .LBB63_103
; %bb.102:
	v_mad_i32_i24 v9, v2, -6, v8
	ds_read_u16 v9, v9 offset:5120
	v_lshlrev_b32_e32 v20, 1, v2
	v_mov_b32_e32 v21, 0
	s_waitcnt lgkmcnt(0)
	v_lshrrev_b32_sdwa v10, s88, v9 dst_sel:DWORD dst_unused:UNUSED_PAD src0_sel:DWORD src1_sel:WORD_0
	v_and_b32_e32 v10, s96, v10
	v_lshlrev_b32_e32 v10, 3, v10
	ds_read_b64 v[10:11], v10
	v_xor_b32_e32 v9, 0x7fff, v9
	s_waitcnt lgkmcnt(0)
	v_lshl_add_u64 v[10:11], v[10:11], 1, s[78:79]
	v_lshl_add_u64 v[10:11], v[10:11], 0, v[20:21]
	global_store_short v[10:11], v9, off offset:3072
.LBB63_103:
	s_or_b64 exec, exec, s[52:53]
	v_add_u32_e32 v18, 0x700, v2
	v_cmp_gt_u32_e64 s[52:53], s90, v18
	s_and_saveexec_b64 s[54:55], s[52:53]
	s_cbranch_execz .LBB63_105
; %bb.104:
	v_lshlrev_b32_e32 v10, 1, v2
	ds_read_u16 v9, v10 offset:5632
	s_waitcnt lgkmcnt(0)
	v_lshrrev_b32_sdwa v11, s88, v9 dst_sel:DWORD dst_unused:UNUSED_PAD src0_sel:DWORD src1_sel:WORD_0
	v_and_b32_e32 v11, s96, v11
	v_lshlrev_b32_e32 v11, 3, v11
	ds_read_b64 v[20:21], v11
	v_mov_b32_e32 v11, 0
	v_xor_b32_e32 v9, 0x7fff, v9
	s_waitcnt lgkmcnt(0)
	v_lshl_add_u64 v[20:21], v[20:21], 1, s[78:79]
	v_lshl_add_u64 v[10:11], v[20:21], 0, v[10:11]
	global_store_short v[10:11], v9, off offset:3584
.LBB63_105:
	s_or_b64 exec, exec, s[54:55]
	v_or_b32_e32 v20, 0x800, v2
	v_cmp_gt_u32_e64 s[54:55], s90, v20
	s_and_saveexec_b64 s[56:57], s[54:55]
	s_cbranch_execz .LBB63_107
; %bb.106:
	v_lshlrev_b32_e32 v9, 1, v2
	ds_read_u16 v9, v9 offset:6144
	v_lshlrev_b32_e32 v22, 1, v20
	v_mov_b32_e32 v23, 0
	s_waitcnt lgkmcnt(0)
	v_lshrrev_b32_sdwa v10, s88, v9 dst_sel:DWORD dst_unused:UNUSED_PAD src0_sel:DWORD src1_sel:WORD_0
	v_and_b32_e32 v10, s96, v10
	v_lshlrev_b32_e32 v10, 3, v10
	ds_read_b64 v[10:11], v10
	v_xor_b32_e32 v9, 0x7fff, v9
	s_waitcnt lgkmcnt(0)
	v_lshl_add_u64 v[10:11], v[10:11], 1, s[78:79]
	v_lshl_add_u64 v[10:11], v[10:11], 0, v[22:23]
	global_store_short v[10:11], v9, off
.LBB63_107:
	s_or_b64 exec, exec, s[56:57]
	v_add_u32_e32 v21, 0x900, v2
	v_cmp_gt_u32_e64 s[56:57], s90, v21
	s_and_saveexec_b64 s[58:59], s[56:57]
	s_cbranch_execz .LBB63_109
; %bb.108:
	v_lshlrev_b32_e32 v9, 1, v2
	ds_read_u16 v9, v9 offset:6656
	v_lshlrev_b32_e32 v22, 1, v21
	v_mov_b32_e32 v23, 0
	s_waitcnt lgkmcnt(0)
	v_lshrrev_b32_sdwa v10, s88, v9 dst_sel:DWORD dst_unused:UNUSED_PAD src0_sel:DWORD src1_sel:WORD_0
	v_and_b32_e32 v10, s96, v10
	v_lshlrev_b32_e32 v10, 3, v10
	ds_read_b64 v[10:11], v10
	v_xor_b32_e32 v9, 0x7fff, v9
	s_waitcnt lgkmcnt(0)
	v_lshl_add_u64 v[10:11], v[10:11], 1, s[78:79]
	v_lshl_add_u64 v[10:11], v[10:11], 0, v[22:23]
	global_store_short v[10:11], v9, off
.LBB63_109:
	s_or_b64 exec, exec, s[58:59]
	v_add_u32_e32 v22, 0xa00, v2
	;; [unrolled: 21-line block ×3, first 2 shown]
	v_cmp_gt_u32_e64 s[60:61], s90, v23
	s_and_saveexec_b64 s[62:63], s[60:61]
	s_cbranch_execz .LBB63_113
; %bb.112:
	v_lshlrev_b32_e32 v9, 1, v2
	ds_read_u16 v9, v9 offset:7680
	v_lshlrev_b32_e32 v24, 1, v23
	v_mov_b32_e32 v25, 0
	s_waitcnt lgkmcnt(0)
	v_lshrrev_b32_sdwa v10, s88, v9 dst_sel:DWORD dst_unused:UNUSED_PAD src0_sel:DWORD src1_sel:WORD_0
	v_and_b32_e32 v10, s96, v10
	v_lshlrev_b32_e32 v10, 3, v10
	ds_read_b64 v[10:11], v10
	v_xor_b32_e32 v9, 0x7fff, v9
	s_waitcnt lgkmcnt(0)
	v_lshl_add_u64 v[10:11], v[10:11], 1, s[78:79]
	v_lshl_add_u64 v[10:11], v[10:11], 0, v[24:25]
	global_store_short v[10:11], v9, off
.LBB63_113:
	s_or_b64 exec, exec, s[62:63]
	v_or_b32_e32 v24, 0xc00, v2
	v_cmp_gt_u32_e64 s[62:63], s90, v24
	s_and_saveexec_b64 s[64:65], s[62:63]
	s_cbranch_execz .LBB63_115
; %bb.114:
	v_lshlrev_b32_e32 v9, 1, v2
	ds_read_u16 v9, v9 offset:8192
	v_lshlrev_b32_e32 v26, 1, v24
	v_mov_b32_e32 v27, 0
	s_waitcnt lgkmcnt(0)
	v_lshrrev_b32_sdwa v10, s88, v9 dst_sel:DWORD dst_unused:UNUSED_PAD src0_sel:DWORD src1_sel:WORD_0
	v_and_b32_e32 v10, s96, v10
	v_lshlrev_b32_e32 v10, 3, v10
	ds_read_b64 v[10:11], v10
	v_xor_b32_e32 v9, 0x7fff, v9
	s_waitcnt lgkmcnt(0)
	v_lshl_add_u64 v[10:11], v[10:11], 1, s[78:79]
	v_lshl_add_u64 v[10:11], v[10:11], 0, v[26:27]
	global_store_short v[10:11], v9, off
.LBB63_115:
	s_or_b64 exec, exec, s[64:65]
	v_add_u32_e32 v25, 0xd00, v2
	v_cmp_gt_u32_e64 s[64:65], s90, v25
	s_and_saveexec_b64 s[66:67], s[64:65]
	s_cbranch_execz .LBB63_117
; %bb.116:
	v_lshlrev_b32_e32 v9, 1, v2
	ds_read_u16 v9, v9 offset:8704
	v_lshlrev_b32_e32 v26, 1, v25
	v_mov_b32_e32 v27, 0
	s_waitcnt lgkmcnt(0)
	v_lshrrev_b32_sdwa v10, s88, v9 dst_sel:DWORD dst_unused:UNUSED_PAD src0_sel:DWORD src1_sel:WORD_0
	v_and_b32_e32 v10, s96, v10
	v_lshlrev_b32_e32 v10, 3, v10
	ds_read_b64 v[10:11], v10
	v_xor_b32_e32 v9, 0x7fff, v9
	s_waitcnt lgkmcnt(0)
	v_lshl_add_u64 v[10:11], v[10:11], 1, s[78:79]
	v_lshl_add_u64 v[10:11], v[10:11], 0, v[26:27]
	global_store_short v[10:11], v9, off
.LBB63_117:
	s_or_b64 exec, exec, s[66:67]
	v_add_u32_e32 v26, 0xe00, v2
	;; [unrolled: 21-line block ×3, first 2 shown]
	v_cmp_gt_u32_e64 s[68:69], s90, v27
	s_and_saveexec_b64 s[70:71], s[68:69]
	s_cbranch_execz .LBB63_121
; %bb.120:
	v_lshlrev_b32_e32 v9, 1, v2
	ds_read_u16 v9, v9 offset:9728
	v_lshlrev_b32_e32 v46, 1, v27
	v_mov_b32_e32 v47, 0
	s_waitcnt lgkmcnt(0)
	v_lshrrev_b32_sdwa v10, s88, v9 dst_sel:DWORD dst_unused:UNUSED_PAD src0_sel:DWORD src1_sel:WORD_0
	v_and_b32_e32 v10, s96, v10
	v_lshlrev_b32_e32 v10, 3, v10
	ds_read_b64 v[10:11], v10
	v_xor_b32_e32 v9, 0x7fff, v9
	s_waitcnt lgkmcnt(0)
	v_lshl_add_u64 v[10:11], v[10:11], 1, s[78:79]
	v_lshl_add_u64 v[10:11], v[10:11], 0, v[46:47]
	global_store_short v[10:11], v9, off
.LBB63_121:
	s_or_b64 exec, exec, s[70:71]
	v_or_b32_e32 v41, 0x1000, v2
	v_cmp_gt_u32_e64 s[70:71], s90, v41
	s_and_saveexec_b64 s[72:73], s[70:71]
	s_cbranch_execz .LBB63_123
; %bb.122:
	v_lshlrev_b32_e32 v9, 1, v2
	ds_read_u16 v9, v9 offset:10240
	v_lshlrev_b32_e32 v46, 1, v41
	v_mov_b32_e32 v47, 0
	s_waitcnt lgkmcnt(0)
	v_lshrrev_b32_sdwa v10, s88, v9 dst_sel:DWORD dst_unused:UNUSED_PAD src0_sel:DWORD src1_sel:WORD_0
	v_and_b32_e32 v10, s96, v10
	v_lshlrev_b32_e32 v10, 3, v10
	ds_read_b64 v[10:11], v10
	v_xor_b32_e32 v9, 0x7fff, v9
	s_waitcnt lgkmcnt(0)
	v_lshl_add_u64 v[10:11], v[10:11], 1, s[78:79]
	v_lshl_add_u64 v[10:11], v[10:11], 0, v[46:47]
	global_store_short v[10:11], v9, off
.LBB63_123:
	s_or_b64 exec, exec, s[72:73]
	v_add_u32_e32 v43, 0x1100, v2
	v_cmp_gt_u32_e64 s[72:73], s90, v43
	s_and_saveexec_b64 s[90:91], s[72:73]
	s_cbranch_execz .LBB63_125
; %bb.124:
	v_lshlrev_b32_e32 v9, 1, v2
	ds_read_u16 v9, v9 offset:10752
	v_lshlrev_b32_e32 v46, 1, v43
	v_mov_b32_e32 v47, 0
	s_waitcnt lgkmcnt(0)
	v_lshrrev_b32_sdwa v10, s88, v9 dst_sel:DWORD dst_unused:UNUSED_PAD src0_sel:DWORD src1_sel:WORD_0
	v_and_b32_e32 v10, s96, v10
	v_lshlrev_b32_e32 v10, 3, v10
	ds_read_b64 v[10:11], v10
	v_xor_b32_e32 v9, 0x7fff, v9
	s_waitcnt lgkmcnt(0)
	v_lshl_add_u64 v[10:11], v[10:11], 1, s[78:79]
	v_lshl_add_u64 v[10:11], v[10:11], 0, v[46:47]
	global_store_short v[10:11], v9, off
.LBB63_125:
	s_or_b64 exec, exec, s[90:91]
	s_lshl_b64 s[90:91], s[92:93], 3
	s_add_u32 s90, s80, s90
	s_addc_u32 s91, s81, s91
	v_lshlrev_b32_e32 v10, 3, v3
	v_mov_b32_e32 v11, 0
	v_lshl_add_u64 v[46:47], s[90:91], 0, v[10:11]
	v_lshlrev_b32_e32 v10, 3, v14
	v_lshl_add_u64 v[10:11], v[46:47], 0, v[10:11]
                                        ; implicit-def: $vgpr60_vgpr61
	s_and_saveexec_b64 s[90:91], vcc
	s_xor_b64 s[90:91], exec, s[90:91]
	s_cbranch_execz .LBB63_143
; %bb.126:
	global_load_dwordx2 v[60:61], v[10:11], off
	s_or_b64 exec, exec, s[90:91]
                                        ; implicit-def: $vgpr62_vgpr63
	s_and_saveexec_b64 s[90:91], s[74:75]
	s_cbranch_execnz .LBB63_144
.LBB63_127:
	s_or_b64 exec, exec, s[90:91]
                                        ; implicit-def: $vgpr64_vgpr65
	s_and_saveexec_b64 s[74:75], s[4:5]
	s_cbranch_execz .LBB63_145
.LBB63_128:
	global_load_dwordx2 v[64:65], v[10:11], off offset:1024
	s_or_b64 exec, exec, s[74:75]
                                        ; implicit-def: $vgpr66_vgpr67
	s_and_saveexec_b64 s[4:5], s[10:11]
	s_cbranch_execnz .LBB63_146
.LBB63_129:
	s_or_b64 exec, exec, s[4:5]
                                        ; implicit-def: $vgpr68_vgpr69
	s_and_saveexec_b64 s[4:5], s[16:17]
	s_cbranch_execz .LBB63_147
.LBB63_130:
	global_load_dwordx2 v[68:69], v[10:11], off offset:2048
	s_or_b64 exec, exec, s[4:5]
                                        ; implicit-def: $vgpr70_vgpr71
	s_and_saveexec_b64 s[4:5], s[20:21]
	s_cbranch_execnz .LBB63_148
.LBB63_131:
	s_or_b64 exec, exec, s[4:5]
                                        ; implicit-def: $vgpr72_vgpr73
	s_and_saveexec_b64 s[4:5], s[24:25]
	s_cbranch_execz .LBB63_149
.LBB63_132:
	global_load_dwordx2 v[72:73], v[10:11], off offset:3072
	s_or_b64 exec, exec, s[4:5]
                                        ; implicit-def: $vgpr74_vgpr75
	s_and_saveexec_b64 s[4:5], s[30:31]
	s_cbranch_execnz .LBB63_150
.LBB63_133:
	s_or_b64 exec, exec, s[4:5]
                                        ; implicit-def: $vgpr76_vgpr77
	s_and_saveexec_b64 s[4:5], s[36:37]
	s_cbranch_execz .LBB63_151
.LBB63_134:
	v_add_co_u32_e32 v46, vcc, 0x1000, v10
	s_nop 1
	v_addc_co_u32_e32 v47, vcc, 0, v11, vcc
	global_load_dwordx2 v[76:77], v[46:47], off
	s_or_b64 exec, exec, s[4:5]
                                        ; implicit-def: $vgpr78_vgpr79
	s_and_saveexec_b64 s[4:5], s[34:35]
	s_cbranch_execnz .LBB63_152
.LBB63_135:
	s_or_b64 exec, exec, s[4:5]
                                        ; implicit-def: $vgpr80_vgpr81
	s_and_saveexec_b64 s[4:5], s[28:29]
	s_cbranch_execz .LBB63_153
.LBB63_136:
	v_add_co_u32_e32 v46, vcc, 0x1000, v10
	s_nop 1
	v_addc_co_u32_e32 v47, vcc, 0, v11, vcc
	global_load_dwordx2 v[80:81], v[46:47], off offset:1024
	s_or_b64 exec, exec, s[4:5]
                                        ; implicit-def: $vgpr82_vgpr83
	s_and_saveexec_b64 s[4:5], s[26:27]
	s_cbranch_execnz .LBB63_154
.LBB63_137:
	s_or_b64 exec, exec, s[4:5]
                                        ; implicit-def: $vgpr84_vgpr85
	s_and_saveexec_b64 s[4:5], s[22:23]
	s_cbranch_execz .LBB63_155
.LBB63_138:
	v_add_co_u32_e32 v46, vcc, 0x1000, v10
	s_nop 1
	v_addc_co_u32_e32 v47, vcc, 0, v11, vcc
	global_load_dwordx2 v[84:85], v[46:47], off offset:2048
	s_or_b64 exec, exec, s[4:5]
                                        ; implicit-def: $vgpr86_vgpr87
	s_and_saveexec_b64 s[4:5], s[18:19]
	s_cbranch_execnz .LBB63_156
.LBB63_139:
	s_or_b64 exec, exec, s[4:5]
                                        ; implicit-def: $vgpr88_vgpr89
	s_and_saveexec_b64 s[4:5], s[14:15]
	s_cbranch_execz .LBB63_157
.LBB63_140:
	v_add_co_u32_e32 v46, vcc, 0x1000, v10
	s_nop 1
	v_addc_co_u32_e32 v47, vcc, 0, v11, vcc
	global_load_dwordx2 v[88:89], v[46:47], off offset:3072
	s_or_b64 exec, exec, s[4:5]
                                        ; implicit-def: $vgpr90_vgpr91
	s_and_saveexec_b64 s[4:5], s[12:13]
	s_cbranch_execnz .LBB63_158
.LBB63_141:
	s_or_b64 exec, exec, s[4:5]
                                        ; implicit-def: $vgpr92_vgpr93
	s_and_saveexec_b64 s[4:5], s[8:9]
	s_cbranch_execz .LBB63_159
.LBB63_142:
	v_add_co_u32_e32 v46, vcc, 0x2000, v10
	s_nop 1
	v_addc_co_u32_e32 v47, vcc, 0, v11, vcc
	global_load_dwordx2 v[92:93], v[46:47], off
	s_or_b64 exec, exec, s[4:5]
                                        ; implicit-def: $vgpr94_vgpr95
	s_and_saveexec_b64 s[4:5], s[6:7]
	s_cbranch_execnz .LBB63_160
	s_branch .LBB63_161
.LBB63_143:
	s_or_b64 exec, exec, s[90:91]
                                        ; implicit-def: $vgpr62_vgpr63
	s_and_saveexec_b64 s[90:91], s[74:75]
	s_cbranch_execz .LBB63_127
.LBB63_144:
	global_load_dwordx2 v[62:63], v[10:11], off offset:512
	s_or_b64 exec, exec, s[90:91]
                                        ; implicit-def: $vgpr64_vgpr65
	s_and_saveexec_b64 s[74:75], s[4:5]
	s_cbranch_execnz .LBB63_128
.LBB63_145:
	s_or_b64 exec, exec, s[74:75]
                                        ; implicit-def: $vgpr66_vgpr67
	s_and_saveexec_b64 s[4:5], s[10:11]
	s_cbranch_execz .LBB63_129
.LBB63_146:
	global_load_dwordx2 v[66:67], v[10:11], off offset:1536
	s_or_b64 exec, exec, s[4:5]
                                        ; implicit-def: $vgpr68_vgpr69
	s_and_saveexec_b64 s[4:5], s[16:17]
	s_cbranch_execnz .LBB63_130
.LBB63_147:
	s_or_b64 exec, exec, s[4:5]
                                        ; implicit-def: $vgpr70_vgpr71
	s_and_saveexec_b64 s[4:5], s[20:21]
	s_cbranch_execz .LBB63_131
.LBB63_148:
	global_load_dwordx2 v[70:71], v[10:11], off offset:2560
	s_or_b64 exec, exec, s[4:5]
                                        ; implicit-def: $vgpr72_vgpr73
	s_and_saveexec_b64 s[4:5], s[24:25]
	s_cbranch_execnz .LBB63_132
.LBB63_149:
	s_or_b64 exec, exec, s[4:5]
                                        ; implicit-def: $vgpr74_vgpr75
	s_and_saveexec_b64 s[4:5], s[30:31]
	s_cbranch_execz .LBB63_133
.LBB63_150:
	global_load_dwordx2 v[74:75], v[10:11], off offset:3584
	s_or_b64 exec, exec, s[4:5]
                                        ; implicit-def: $vgpr76_vgpr77
	s_and_saveexec_b64 s[4:5], s[36:37]
	s_cbranch_execnz .LBB63_134
.LBB63_151:
	s_or_b64 exec, exec, s[4:5]
                                        ; implicit-def: $vgpr78_vgpr79
	s_and_saveexec_b64 s[4:5], s[34:35]
	s_cbranch_execz .LBB63_135
.LBB63_152:
	v_add_co_u32_e32 v46, vcc, 0x1000, v10
	s_nop 1
	v_addc_co_u32_e32 v47, vcc, 0, v11, vcc
	global_load_dwordx2 v[78:79], v[46:47], off offset:512
	s_or_b64 exec, exec, s[4:5]
                                        ; implicit-def: $vgpr80_vgpr81
	s_and_saveexec_b64 s[4:5], s[28:29]
	s_cbranch_execnz .LBB63_136
.LBB63_153:
	s_or_b64 exec, exec, s[4:5]
                                        ; implicit-def: $vgpr82_vgpr83
	s_and_saveexec_b64 s[4:5], s[26:27]
	s_cbranch_execz .LBB63_137
.LBB63_154:
	v_add_co_u32_e32 v46, vcc, 0x1000, v10
	s_nop 1
	v_addc_co_u32_e32 v47, vcc, 0, v11, vcc
	global_load_dwordx2 v[82:83], v[46:47], off offset:1536
	s_or_b64 exec, exec, s[4:5]
                                        ; implicit-def: $vgpr84_vgpr85
	s_and_saveexec_b64 s[4:5], s[22:23]
	s_cbranch_execnz .LBB63_138
.LBB63_155:
	s_or_b64 exec, exec, s[4:5]
                                        ; implicit-def: $vgpr86_vgpr87
	s_and_saveexec_b64 s[4:5], s[18:19]
	s_cbranch_execz .LBB63_139
.LBB63_156:
	v_add_co_u32_e32 v46, vcc, 0x1000, v10
	s_nop 1
	v_addc_co_u32_e32 v47, vcc, 0, v11, vcc
	global_load_dwordx2 v[86:87], v[46:47], off offset:2560
	s_or_b64 exec, exec, s[4:5]
                                        ; implicit-def: $vgpr88_vgpr89
	s_and_saveexec_b64 s[4:5], s[14:15]
	s_cbranch_execnz .LBB63_140
.LBB63_157:
	s_or_b64 exec, exec, s[4:5]
                                        ; implicit-def: $vgpr90_vgpr91
	s_and_saveexec_b64 s[4:5], s[12:13]
	s_cbranch_execz .LBB63_141
.LBB63_158:
	v_add_co_u32_e32 v46, vcc, 0x1000, v10
	s_nop 1
	v_addc_co_u32_e32 v47, vcc, 0, v11, vcc
	global_load_dwordx2 v[90:91], v[46:47], off offset:3584
	s_or_b64 exec, exec, s[4:5]
                                        ; implicit-def: $vgpr92_vgpr93
	s_and_saveexec_b64 s[4:5], s[8:9]
	s_cbranch_execnz .LBB63_142
.LBB63_159:
	s_or_b64 exec, exec, s[4:5]
                                        ; implicit-def: $vgpr94_vgpr95
	s_and_saveexec_b64 s[4:5], s[6:7]
	s_cbranch_execz .LBB63_161
.LBB63_160:
	v_add_co_u32_e32 v10, vcc, 0x2000, v10
	s_nop 1
	v_addc_co_u32_e32 v11, vcc, 0, v11, vcc
	global_load_dwordx2 v[94:95], v[10:11], off offset:512
.LBB63_161:
	s_or_b64 exec, exec, s[4:5]
	v_mov_b32_e32 v56, 0
	v_mov_b32_e32 v9, 0
	s_and_saveexec_b64 s[4:5], s[38:39]
	s_cbranch_execz .LBB63_163
; %bb.162:
	v_lshlrev_b32_e32 v3, 1, v2
	ds_read_u16 v3, v3 offset:2048
	s_waitcnt lgkmcnt(0)
	v_lshrrev_b32_e32 v3, s88, v3
	v_and_b32_e32 v9, s96, v3
.LBB63_163:
	s_or_b64 exec, exec, s[4:5]
	s_and_saveexec_b64 s[4:5], s[40:41]
	s_cbranch_execz .LBB63_165
; %bb.164:
	v_lshlrev_b32_e32 v3, 1, v2
	ds_read_u16 v3, v3 offset:2560
	s_waitcnt lgkmcnt(0)
	v_lshrrev_b32_e32 v3, s88, v3
	v_and_b32_e32 v56, s96, v3
.LBB63_165:
	s_or_b64 exec, exec, s[4:5]
	v_mov_b32_e32 v54, 0
	v_mov_b32_e32 v58, 0
	s_and_saveexec_b64 s[4:5], s[42:43]
	s_cbranch_execz .LBB63_167
; %bb.166:
	v_lshlrev_b32_e32 v3, 1, v2
	ds_read_u16 v3, v3 offset:3072
	s_waitcnt lgkmcnt(0)
	v_lshrrev_b32_e32 v3, s88, v3
	v_and_b32_e32 v58, s96, v3
.LBB63_167:
	s_or_b64 exec, exec, s[4:5]
	s_and_saveexec_b64 s[4:5], s[44:45]
	s_cbranch_execz .LBB63_169
; %bb.168:
	v_lshlrev_b32_e32 v3, 1, v2
	ds_read_u16 v3, v3 offset:3584
	s_waitcnt lgkmcnt(0)
	v_lshrrev_b32_e32 v3, s88, v3
	v_and_b32_e32 v54, s96, v3
.LBB63_169:
	;; [unrolled: 22-line block ×9, first 2 shown]
	s_or_b64 exec, exec, s[4:5]
	v_lshlrev_b32_e32 v2, 3, v48
	s_barrier
	s_waitcnt vmcnt(0)
	ds_write_b64 v2, v[60:61] offset:2048
	v_lshlrev_b32_e32 v2, 3, v45
	ds_write_b64 v2, v[62:63] offset:2048
	v_lshlrev_b32_e32 v2, 3, v42
	;; [unrolled: 2-line block ×17, first 2 shown]
	ds_write_b64 v2, v[94:95] offset:2048
	s_waitcnt lgkmcnt(0)
	s_barrier
	s_and_saveexec_b64 s[4:5], s[38:39]
	s_cbranch_execz .LBB63_274
; %bb.198:
	v_lshlrev_b32_e32 v2, 3, v9
	ds_read_b64 v[28:29], v2
	ds_read_b64 v[30:31], v8 offset:2048
	v_mov_b32_e32 v9, 0
	s_waitcnt lgkmcnt(1)
	v_lshl_add_u64 v[28:29], v[28:29], 3, s[82:83]
	v_lshl_add_u64 v[28:29], v[28:29], 0, v[8:9]
	s_waitcnt lgkmcnt(0)
	global_store_dwordx2 v[28:29], v[30:31], off
	s_or_b64 exec, exec, s[4:5]
	s_and_saveexec_b64 s[4:5], s[40:41]
	s_cbranch_execnz .LBB63_275
.LBB63_199:
	s_or_b64 exec, exec, s[4:5]
	s_and_saveexec_b64 s[4:5], s[42:43]
	s_cbranch_execz .LBB63_276
.LBB63_200:
	v_lshlrev_b32_e32 v2, 3, v58
	ds_read_b64 v[28:29], v2
	ds_read_b64 v[30:31], v8 offset:6144
	v_lshlrev_b32_e32 v32, 3, v12
	v_mov_b32_e32 v33, 0
	s_waitcnt lgkmcnt(1)
	v_lshl_add_u64 v[28:29], v[28:29], 3, s[82:83]
	v_lshl_add_u64 v[28:29], v[28:29], 0, v[32:33]
	s_waitcnt lgkmcnt(0)
	global_store_dwordx2 v[28:29], v[30:31], off
	s_or_b64 exec, exec, s[4:5]
	s_and_saveexec_b64 s[4:5], s[44:45]
	s_cbranch_execnz .LBB63_277
.LBB63_201:
	s_or_b64 exec, exec, s[4:5]
	s_and_saveexec_b64 s[4:5], s[46:47]
	s_cbranch_execz .LBB63_278
.LBB63_202:
	v_lshlrev_b32_e32 v2, 3, v57
	ds_read_b64 v[12:13], v2
	ds_read_b64 v[28:29], v8 offset:10240
	v_lshlrev_b32_e32 v30, 3, v15
	v_mov_b32_e32 v31, 0
	s_waitcnt lgkmcnt(1)
	v_lshl_add_u64 v[12:13], v[12:13], 3, s[82:83]
	v_lshl_add_u64 v[12:13], v[12:13], 0, v[30:31]
	s_waitcnt lgkmcnt(0)
	global_store_dwordx2 v[12:13], v[28:29], off
	s_or_b64 exec, exec, s[4:5]
	s_and_saveexec_b64 s[4:5], s[48:49]
	s_cbranch_execnz .LBB63_279
.LBB63_203:
	s_or_b64 exec, exec, s[4:5]
	s_and_saveexec_b64 s[4:5], s[50:51]
	s_cbranch_execz .LBB63_280
.LBB63_204:
	v_lshlrev_b32_e32 v2, 3, v55
	ds_read_b64 v[12:13], v2
	ds_read_b64 v[28:29], v8 offset:14336
	v_lshlrev_b32_e32 v16, 3, v17
	v_mov_b32_e32 v17, 0
	s_waitcnt lgkmcnt(1)
	v_lshl_add_u64 v[12:13], v[12:13], 3, s[82:83]
	v_lshl_add_u64 v[12:13], v[12:13], 0, v[16:17]
	s_waitcnt lgkmcnt(0)
	global_store_dwordx2 v[12:13], v[28:29], off
	s_or_b64 exec, exec, s[4:5]
	s_and_saveexec_b64 s[4:5], s[52:53]
	s_cbranch_execnz .LBB63_281
.LBB63_205:
	s_or_b64 exec, exec, s[4:5]
	s_and_saveexec_b64 s[4:5], s[54:55]
	s_cbranch_execz .LBB63_282
.LBB63_206:
	v_lshlrev_b32_e32 v2, 3, v53
	ds_read_b64 v[12:13], v2
	ds_read_b64 v[16:17], v8 offset:18432
	v_lshlrev_b32_e32 v18, 3, v20
	v_mov_b32_e32 v19, 0
	s_waitcnt lgkmcnt(1)
	v_lshl_add_u64 v[12:13], v[12:13], 3, s[82:83]
	v_lshl_add_u64 v[12:13], v[12:13], 0, v[18:19]
	s_waitcnt lgkmcnt(0)
	global_store_dwordx2 v[12:13], v[16:17], off
	s_or_b64 exec, exec, s[4:5]
	s_and_saveexec_b64 s[4:5], s[56:57]
	s_cbranch_execnz .LBB63_283
.LBB63_207:
	s_or_b64 exec, exec, s[4:5]
	s_and_saveexec_b64 s[4:5], s[58:59]
	s_cbranch_execz .LBB63_284
.LBB63_208:
	v_lshlrev_b32_e32 v2, 3, v51
	ds_read_b64 v[12:13], v2
	ds_read_b64 v[16:17], v8 offset:22528
	v_lshlrev_b32_e32 v18, 3, v22
	v_mov_b32_e32 v19, 0
	s_waitcnt lgkmcnt(1)
	v_lshl_add_u64 v[12:13], v[12:13], 3, s[82:83]
	v_lshl_add_u64 v[12:13], v[12:13], 0, v[18:19]
	s_waitcnt lgkmcnt(0)
	global_store_dwordx2 v[12:13], v[16:17], off
	s_or_b64 exec, exec, s[4:5]
	s_and_saveexec_b64 s[4:5], s[60:61]
	s_cbranch_execnz .LBB63_285
.LBB63_209:
	s_or_b64 exec, exec, s[4:5]
	s_and_saveexec_b64 s[4:5], s[62:63]
	s_cbranch_execz .LBB63_286
.LBB63_210:
	v_lshlrev_b32_e32 v2, 3, v49
	ds_read_b64 v[12:13], v2
	ds_read_b64 v[16:17], v8 offset:26624
	v_lshlrev_b32_e32 v18, 3, v24
	v_mov_b32_e32 v19, 0
	s_waitcnt lgkmcnt(1)
	v_lshl_add_u64 v[12:13], v[12:13], 3, s[82:83]
	v_lshl_add_u64 v[12:13], v[12:13], 0, v[18:19]
	s_waitcnt lgkmcnt(0)
	global_store_dwordx2 v[12:13], v[16:17], off
	s_or_b64 exec, exec, s[4:5]
	s_and_saveexec_b64 s[4:5], s[64:65]
	s_cbranch_execnz .LBB63_287
.LBB63_211:
	s_or_b64 exec, exec, s[4:5]
	s_and_saveexec_b64 s[4:5], s[66:67]
	s_cbranch_execz .LBB63_288
.LBB63_212:
	v_lshlrev_b32_e32 v2, 3, v46
	ds_read_b64 v[12:13], v2
	ds_read_b64 v[16:17], v8 offset:30720
	v_lshlrev_b32_e32 v18, 3, v26
	v_mov_b32_e32 v19, 0
	s_waitcnt lgkmcnt(1)
	v_lshl_add_u64 v[12:13], v[12:13], 3, s[82:83]
	v_lshl_add_u64 v[12:13], v[12:13], 0, v[18:19]
	s_waitcnt lgkmcnt(0)
	global_store_dwordx2 v[12:13], v[16:17], off
	s_or_b64 exec, exec, s[4:5]
	s_and_saveexec_b64 s[4:5], s[68:69]
	s_cbranch_execnz .LBB63_289
.LBB63_213:
	s_or_b64 exec, exec, s[4:5]
	s_and_saveexec_b64 s[4:5], s[70:71]
	s_cbranch_execz .LBB63_290
.LBB63_214:
	v_lshlrev_b32_e32 v2, 3, v14
	ds_read_b64 v[10:11], v2
	ds_read_b64 v[12:13], v8 offset:34816
	v_lshlrev_b32_e32 v14, 3, v41
	v_mov_b32_e32 v15, 0
	s_waitcnt lgkmcnt(1)
	v_lshl_add_u64 v[10:11], v[10:11], 3, s[82:83]
	v_lshl_add_u64 v[10:11], v[10:11], 0, v[14:15]
	s_waitcnt lgkmcnt(0)
	global_store_dwordx2 v[10:11], v[12:13], off
	s_or_b64 exec, exec, s[4:5]
	s_and_saveexec_b64 s[4:5], s[72:73]
	s_cbranch_execnz .LBB63_291
.LBB63_215:
	s_or_b64 exec, exec, s[4:5]
	s_add_i32 s33, s33, -1
	s_cmp_eq_u32 s2, s33
	s_cbranch_scc0 .LBB63_217
.LBB63_216:
	ds_read_b64 v[2:3], v8
	v_mov_b32_e32 v7, 0
	v_lshl_add_u64 v[4:5], v[6:7], 0, v[4:5]
	s_waitcnt lgkmcnt(0)
	v_lshl_add_u64 v[2:3], v[4:5], 0, v[2:3]
	global_store_dwordx2 v8, v[2:3], s[86:87]
.LBB63_217:
	s_mov_b64 s[4:5], 0
.LBB63_218:
	s_and_b64 vcc, exec, s[4:5]
	s_cbranch_vccz .LBB63_273
; %bb.219:
	s_mov_b32 s93, 0
	s_lshl_b64 s[4:5], s[92:93], 1
	s_add_u32 s4, s76, s4
	v_mbcnt_hi_u32_b32 v12, -1, v1
	s_addc_u32 s5, s77, s5
	v_mov_b32_e32 v5, 0
	v_lshlrev_b32_e32 v4, 1, v12
	v_lshl_add_u64 v[6:7], s[4:5], 0, v[4:5]
	s_load_dword s8, s[0:1], 0x50
	s_load_dword s4, s[0:1], 0x5c
	v_and_b32_e32 v8, 0xc0, v0
	v_mul_u32_u24_e32 v3, 18, v8
	s_add_u32 s0, s0, 0x50
	v_lshlrev_b32_e32 v4, 1, v3
	s_addc_u32 s1, s1, 0
	s_waitcnt lgkmcnt(0)
	s_lshr_b32 s4, s4, 16
	v_lshl_add_u64 v[16:17], v[6:7], 0, v[4:5]
	s_cmp_lt_u32 s2, s8
	global_load_ushort v1, v[16:17], off
	s_cselect_b32 s5, 12, 18
	s_add_u32 s0, s0, s5
	s_addc_u32 s1, s1, 0
	global_load_ushort v9, v5, s[0:1]
	v_and_b32_e32 v2, 0x3ff, v0
	v_mul_u32_u24_e32 v6, 20, v2
	ds_write2_b32 v6, v5, v5 offset0:4 offset1:5
	ds_write2_b32 v6, v5, v5 offset0:6 offset1:7
	ds_write_b32 v6, v5 offset:32
	global_load_ushort v10, v[16:17], off offset:128
	global_load_ushort v15, v[16:17], off offset:256
	;; [unrolled: 1-line block ×17, first 2 shown]
	v_bfe_u32 v4, v0, 10, 10
	v_bfe_u32 v7, v0, 20, 10
	v_mad_u32_u24 v11, v7, s4, v4
	s_lshl_b32 s0, -1, s89
	v_mov_b32_e32 v0, v5
	s_not_b32 s9, s0
	v_mov_b32_e32 v22, v5
	v_mov_b32_e32 v28, v5
	s_waitcnt lgkmcnt(0)
	s_barrier
	s_waitcnt vmcnt(18)
	; wave barrier
	v_xor_b32_e32 v7, 0x7fff, v1
	v_lshrrev_b32_sdwa v1, s88, v7 dst_sel:DWORD dst_unused:UNUSED_PAD src0_sel:DWORD src1_sel:WORD_0
	v_bitop3_b32 v13, v1, s0, v1 bitop3:0x30
	v_and_b32_e32 v4, 1, v13
	v_lshlrev_b32_e32 v1, 30, v13
	s_waitcnt vmcnt(17)
	v_mad_u64_u32 v[32:33], s[0:1], v11, v9, v[2:3]
	v_lshlrev_b32_e32 v23, 29, v13
	v_lshl_add_u64 v[38:39], v[4:5], 0, -1
	v_cmp_ne_u32_e32 vcc, 0, v4
	v_cmp_gt_i64_e64 s[0:1], 0, v[0:1]
	v_not_b32_e32 v0, v1
	v_lshlrev_b32_e32 v29, 28, v13
	v_not_b32_e32 v1, v23
	v_xor_b32_e32 v14, vcc_lo, v38
	v_ashrrev_i32_e32 v0, 31, v0
	v_cmp_gt_i64_e64 s[4:5], 0, v[22:23]
	v_not_b32_e32 v4, v29
	v_ashrrev_i32_e32 v1, 31, v1
	v_and_b32_e32 v14, exec_lo, v14
	v_xor_b32_e32 v16, s1, v0
	v_xor_b32_e32 v0, s0, v0
	v_cmp_gt_i64_e64 s[6:7], 0, v[28:29]
	v_xor_b32_e32 v11, vcc_hi, v39
	v_ashrrev_i32_e32 v4, 31, v4
	v_xor_b32_e32 v18, s5, v1
	v_xor_b32_e32 v1, s4, v1
	v_and_b32_e32 v0, v14, v0
	v_lshlrev_b32_e32 v17, 27, v13
	v_and_b32_e32 v11, exec_hi, v11
	v_xor_b32_e32 v22, s7, v4
	v_xor_b32_e32 v4, s6, v4
	v_and_b32_e32 v0, v0, v1
	v_and_b32_e32 v11, v11, v16
	;; [unrolled: 1-line block ×3, first 2 shown]
	v_mov_b32_e32 v16, v5
	v_not_b32_e32 v4, v17
	v_and_b32_e32 v11, v11, v18
	v_cmp_gt_i64_e32 vcc, 0, v[16:17]
	v_ashrrev_i32_e32 v4, 31, v4
	v_and_b32_e32 v1, v11, v22
	v_xor_b32_e32 v11, vcc_hi, v4
	v_xor_b32_e32 v4, vcc_lo, v4
	v_and_b32_e32 v11, v1, v11
	v_and_b32_e32 v4, v0, v4
	v_lshlrev_b32_e32 v1, 26, v13
	v_mov_b32_e32 v0, v5
	v_cmp_gt_i64_e32 vcc, 0, v[0:1]
	v_not_b32_e32 v0, v1
	v_ashrrev_i32_e32 v0, 31, v0
	v_xor_b32_e32 v1, vcc_hi, v0
	v_xor_b32_e32 v0, vcc_lo, v0
	v_and_b32_e32 v11, v11, v1
	v_and_b32_e32 v4, v4, v0
	v_lshlrev_b32_e32 v1, 25, v13
	v_mov_b32_e32 v0, v5
	v_cmp_gt_i64_e32 vcc, 0, v[0:1]
	v_not_b32_e32 v0, v1
	v_ashrrev_i32_e32 v0, 31, v0
	;; [unrolled: 9-line block ×3, first 2 shown]
	v_xor_b32_e32 v1, vcc_hi, v0
	v_xor_b32_e32 v0, vcc_lo, v0
	v_and_b32_e32 v0, v4, v0
	v_and_b32_e32 v1, v11, v1
	v_mbcnt_lo_u32_b32 v4, v0, 0
	v_lshrrev_b32_e32 v9, 6, v32
	v_mbcnt_hi_u32_b32 v11, v1, v4
	v_lshlrev_b32_e32 v20, 2, v9
	v_cmp_eq_u32_e32 vcc, 0, v11
	v_cmp_ne_u64_e64 s[0:1], 0, v[0:1]
	v_mad_u32_u24 v9, v13, 20, v20
	s_and_b64 s[4:5], s[0:1], vcc
	s_and_saveexec_b64 s[0:1], s[4:5]
; %bb.220:
	v_bcnt_u32_b32 v0, v0, 0
	v_bcnt_u32_b32 v0, v1, v0
	ds_write_b32 v9, v0 offset:16
; %bb.221:
	s_or_b64 exec, exec, s[0:1]
	s_waitcnt vmcnt(16)
	v_xor_b32_e32 v10, 0x7fff, v10
	v_lshrrev_b32_sdwa v0, s88, v10 dst_sel:DWORD dst_unused:UNUSED_PAD src0_sel:DWORD src1_sel:WORD_0
	v_and_b32_e32 v16, s9, v0
	v_and_b32_e32 v4, 1, v16
	v_lshl_add_u64 v[0:1], v[4:5], 0, -1
	v_cmp_ne_u32_e32 vcc, 0, v4
	v_mad_u32_u24 v14, v16, 20, v20
	s_nop 0
	v_xor_b32_e32 v1, vcc_hi, v1
	v_xor_b32_e32 v0, vcc_lo, v0
	v_and_b32_e32 v4, exec_hi, v1
	v_and_b32_e32 v17, exec_lo, v0
	v_lshlrev_b32_e32 v1, 30, v16
	v_mov_b32_e32 v0, v5
	v_cmp_gt_i64_e32 vcc, 0, v[0:1]
	v_not_b32_e32 v0, v1
	v_ashrrev_i32_e32 v0, 31, v0
	v_xor_b32_e32 v1, vcc_hi, v0
	v_xor_b32_e32 v0, vcc_lo, v0
	v_and_b32_e32 v4, v4, v1
	v_and_b32_e32 v17, v17, v0
	v_lshlrev_b32_e32 v1, 29, v16
	v_mov_b32_e32 v0, v5
	v_cmp_gt_i64_e32 vcc, 0, v[0:1]
	v_not_b32_e32 v0, v1
	v_ashrrev_i32_e32 v0, 31, v0
	v_xor_b32_e32 v1, vcc_hi, v0
	v_xor_b32_e32 v0, vcc_lo, v0
	v_and_b32_e32 v4, v4, v1
	v_and_b32_e32 v17, v17, v0
	;; [unrolled: 9-line block ×6, first 2 shown]
	v_lshlrev_b32_e32 v1, 24, v16
	v_mov_b32_e32 v0, v5
	v_cmp_gt_i64_e32 vcc, 0, v[0:1]
	v_not_b32_e32 v0, v1
	v_ashrrev_i32_e32 v0, 31, v0
	v_xor_b32_e32 v1, vcc_hi, v0
	v_xor_b32_e32 v0, vcc_lo, v0
	; wave barrier
	ds_read_b32 v13, v14 offset:16
	v_and_b32_e32 v0, v17, v0
	v_and_b32_e32 v1, v4, v1
	v_mbcnt_lo_u32_b32 v4, v0, 0
	v_mbcnt_hi_u32_b32 v16, v1, v4
	v_cmp_eq_u32_e32 vcc, 0, v16
	v_cmp_ne_u64_e64 s[0:1], 0, v[0:1]
	s_and_b64 s[4:5], s[0:1], vcc
	; wave barrier
	s_and_saveexec_b64 s[0:1], s[4:5]
	s_cbranch_execz .LBB63_223
; %bb.222:
	v_bcnt_u32_b32 v0, v0, 0
	v_bcnt_u32_b32 v0, v1, v0
	s_waitcnt lgkmcnt(0)
	v_add_u32_e32 v0, v13, v0
	ds_write_b32 v14, v0 offset:16
.LBB63_223:
	s_or_b64 exec, exec, s[0:1]
	s_waitcnt vmcnt(15)
	v_xor_b32_e32 v15, 0x7fff, v15
	v_lshrrev_b32_sdwa v0, s88, v15 dst_sel:DWORD dst_unused:UNUSED_PAD src0_sel:DWORD src1_sel:WORD_0
	v_and_b32_e32 v22, s9, v0
	v_and_b32_e32 v0, 1, v22
	v_mov_b32_e32 v1, 0
	v_lshl_add_u64 v[4:5], v[0:1], 0, -1
	v_cmp_ne_u32_e32 vcc, 0, v0
	v_mad_u32_u24 v18, v22, 20, v20
	s_nop 0
	v_xor_b32_e32 v4, vcc_lo, v4
	v_xor_b32_e32 v0, vcc_hi, v5
	v_and_b32_e32 v23, exec_lo, v4
	v_lshlrev_b32_e32 v5, 30, v22
	v_mov_b32_e32 v4, v1
	v_cmp_gt_i64_e32 vcc, 0, v[4:5]
	v_not_b32_e32 v4, v5
	v_ashrrev_i32_e32 v4, 31, v4
	v_and_b32_e32 v0, exec_hi, v0
	v_xor_b32_e32 v5, vcc_hi, v4
	v_xor_b32_e32 v4, vcc_lo, v4
	v_and_b32_e32 v0, v0, v5
	v_and_b32_e32 v23, v23, v4
	v_lshlrev_b32_e32 v5, 29, v22
	v_mov_b32_e32 v4, v1
	v_cmp_gt_i64_e32 vcc, 0, v[4:5]
	v_not_b32_e32 v4, v5
	v_ashrrev_i32_e32 v4, 31, v4
	v_xor_b32_e32 v5, vcc_hi, v4
	v_xor_b32_e32 v4, vcc_lo, v4
	v_and_b32_e32 v0, v0, v5
	v_and_b32_e32 v23, v23, v4
	v_lshlrev_b32_e32 v5, 28, v22
	v_mov_b32_e32 v4, v1
	v_cmp_gt_i64_e32 vcc, 0, v[4:5]
	v_not_b32_e32 v4, v5
	v_ashrrev_i32_e32 v4, 31, v4
	;; [unrolled: 9-line block ×6, first 2 shown]
	v_xor_b32_e32 v5, vcc_hi, v4
	v_xor_b32_e32 v4, vcc_lo, v4
	; wave barrier
	ds_read_b32 v17, v18 offset:16
	v_and_b32_e32 v4, v23, v4
	v_and_b32_e32 v5, v0, v5
	v_mbcnt_lo_u32_b32 v0, v4, 0
	v_mbcnt_hi_u32_b32 v22, v5, v0
	v_cmp_eq_u32_e32 vcc, 0, v22
	v_cmp_ne_u64_e64 s[0:1], 0, v[4:5]
	s_and_b64 s[4:5], s[0:1], vcc
	; wave barrier
	s_and_saveexec_b64 s[0:1], s[4:5]
	s_cbranch_execz .LBB63_225
; %bb.224:
	v_bcnt_u32_b32 v0, v4, 0
	v_bcnt_u32_b32 v0, v5, v0
	s_waitcnt lgkmcnt(0)
	v_add_u32_e32 v0, v17, v0
	ds_write_b32 v18, v0 offset:16
.LBB63_225:
	s_or_b64 exec, exec, s[0:1]
	s_waitcnt vmcnt(14)
	v_xor_b32_e32 v21, 0x7fff, v21
	v_lshrrev_b32_sdwa v0, s88, v21 dst_sel:DWORD dst_unused:UNUSED_PAD src0_sel:DWORD src1_sel:WORD_0
	v_and_b32_e32 v27, s9, v0
	v_and_b32_e32 v0, 1, v27
	v_lshl_add_u64 v[4:5], v[0:1], 0, -1
	v_cmp_ne_u32_e32 vcc, 0, v0
	v_mad_u32_u24 v24, v27, 20, v20
	s_nop 0
	v_xor_b32_e32 v4, vcc_lo, v4
	v_xor_b32_e32 v0, vcc_hi, v5
	v_and_b32_e32 v28, exec_lo, v4
	v_lshlrev_b32_e32 v5, 30, v27
	v_mov_b32_e32 v4, v1
	v_cmp_gt_i64_e32 vcc, 0, v[4:5]
	v_not_b32_e32 v4, v5
	v_ashrrev_i32_e32 v4, 31, v4
	v_and_b32_e32 v0, exec_hi, v0
	v_xor_b32_e32 v5, vcc_hi, v4
	v_xor_b32_e32 v4, vcc_lo, v4
	v_and_b32_e32 v0, v0, v5
	v_and_b32_e32 v28, v28, v4
	v_lshlrev_b32_e32 v5, 29, v27
	v_mov_b32_e32 v4, v1
	v_cmp_gt_i64_e32 vcc, 0, v[4:5]
	v_not_b32_e32 v4, v5
	v_ashrrev_i32_e32 v4, 31, v4
	v_xor_b32_e32 v5, vcc_hi, v4
	v_xor_b32_e32 v4, vcc_lo, v4
	v_and_b32_e32 v0, v0, v5
	v_and_b32_e32 v28, v28, v4
	v_lshlrev_b32_e32 v5, 28, v27
	v_mov_b32_e32 v4, v1
	v_cmp_gt_i64_e32 vcc, 0, v[4:5]
	v_not_b32_e32 v4, v5
	v_ashrrev_i32_e32 v4, 31, v4
	;; [unrolled: 9-line block ×5, first 2 shown]
	v_xor_b32_e32 v5, vcc_hi, v4
	v_xor_b32_e32 v4, vcc_lo, v4
	v_and_b32_e32 v0, v0, v5
	v_lshlrev_b32_e32 v5, 24, v27
	v_and_b32_e32 v28, v28, v4
	v_mov_b32_e32 v4, v1
	v_not_b32_e32 v1, v5
	v_cmp_gt_i64_e32 vcc, 0, v[4:5]
	v_ashrrev_i32_e32 v1, 31, v1
	; wave barrier
	s_nop 0
	v_xor_b32_e32 v4, vcc_hi, v1
	v_xor_b32_e32 v5, vcc_lo, v1
	ds_read_b32 v23, v24 offset:16
	v_and_b32_e32 v1, v0, v4
	v_and_b32_e32 v0, v28, v5
	v_mbcnt_lo_u32_b32 v4, v0, 0
	v_mbcnt_hi_u32_b32 v27, v1, v4
	v_cmp_eq_u32_e32 vcc, 0, v27
	v_cmp_ne_u64_e64 s[0:1], 0, v[0:1]
	s_and_b64 s[4:5], s[0:1], vcc
	; wave barrier
	s_and_saveexec_b64 s[0:1], s[4:5]
	s_cbranch_execz .LBB63_227
; %bb.226:
	v_bcnt_u32_b32 v0, v0, 0
	v_bcnt_u32_b32 v0, v1, v0
	s_waitcnt lgkmcnt(0)
	v_add_u32_e32 v0, v23, v0
	ds_write_b32 v24, v0 offset:16
.LBB63_227:
	s_or_b64 exec, exec, s[0:1]
	s_waitcnt vmcnt(13)
	v_xor_b32_e32 v26, 0x7fff, v26
	v_lshrrev_b32_sdwa v0, s88, v26 dst_sel:DWORD dst_unused:UNUSED_PAD src0_sel:DWORD src1_sel:WORD_0
	v_and_b32_e32 v32, s9, v0
	v_and_b32_e32 v0, 1, v32
	v_mov_b32_e32 v1, 0
	v_lshl_add_u64 v[4:5], v[0:1], 0, -1
	v_cmp_ne_u32_e32 vcc, 0, v0
	v_mad_u32_u24 v29, v32, 20, v20
	s_nop 0
	v_xor_b32_e32 v4, vcc_lo, v4
	v_xor_b32_e32 v0, vcc_hi, v5
	v_and_b32_e32 v33, exec_lo, v4
	v_lshlrev_b32_e32 v5, 30, v32
	v_mov_b32_e32 v4, v1
	v_cmp_gt_i64_e32 vcc, 0, v[4:5]
	v_not_b32_e32 v4, v5
	v_ashrrev_i32_e32 v4, 31, v4
	v_and_b32_e32 v0, exec_hi, v0
	v_xor_b32_e32 v5, vcc_hi, v4
	v_xor_b32_e32 v4, vcc_lo, v4
	v_and_b32_e32 v0, v0, v5
	v_and_b32_e32 v33, v33, v4
	v_lshlrev_b32_e32 v5, 29, v32
	v_mov_b32_e32 v4, v1
	v_cmp_gt_i64_e32 vcc, 0, v[4:5]
	v_not_b32_e32 v4, v5
	v_ashrrev_i32_e32 v4, 31, v4
	v_xor_b32_e32 v5, vcc_hi, v4
	v_xor_b32_e32 v4, vcc_lo, v4
	v_and_b32_e32 v0, v0, v5
	v_and_b32_e32 v33, v33, v4
	v_lshlrev_b32_e32 v5, 28, v32
	v_mov_b32_e32 v4, v1
	v_cmp_gt_i64_e32 vcc, 0, v[4:5]
	v_not_b32_e32 v4, v5
	v_ashrrev_i32_e32 v4, 31, v4
	;; [unrolled: 9-line block ×6, first 2 shown]
	v_xor_b32_e32 v5, vcc_hi, v4
	v_xor_b32_e32 v4, vcc_lo, v4
	; wave barrier
	ds_read_b32 v28, v29 offset:16
	v_and_b32_e32 v4, v33, v4
	v_and_b32_e32 v5, v0, v5
	v_mbcnt_lo_u32_b32 v0, v4, 0
	v_mbcnt_hi_u32_b32 v32, v5, v0
	v_cmp_eq_u32_e32 vcc, 0, v32
	v_cmp_ne_u64_e64 s[0:1], 0, v[4:5]
	s_and_b64 s[4:5], s[0:1], vcc
	; wave barrier
	s_and_saveexec_b64 s[0:1], s[4:5]
	s_cbranch_execz .LBB63_229
; %bb.228:
	v_bcnt_u32_b32 v0, v4, 0
	v_bcnt_u32_b32 v0, v5, v0
	s_waitcnt lgkmcnt(0)
	v_add_u32_e32 v0, v28, v0
	ds_write_b32 v29, v0 offset:16
.LBB63_229:
	s_or_b64 exec, exec, s[0:1]
	s_waitcnt vmcnt(12)
	v_xor_b32_e32 v31, 0x7fff, v31
	v_lshrrev_b32_sdwa v0, s88, v31 dst_sel:DWORD dst_unused:UNUSED_PAD src0_sel:DWORD src1_sel:WORD_0
	v_and_b32_e32 v37, s9, v0
	v_and_b32_e32 v0, 1, v37
	v_lshl_add_u64 v[4:5], v[0:1], 0, -1
	v_cmp_ne_u32_e32 vcc, 0, v0
	v_mad_u32_u24 v34, v37, 20, v20
	s_nop 0
	v_xor_b32_e32 v4, vcc_lo, v4
	v_xor_b32_e32 v0, vcc_hi, v5
	v_and_b32_e32 v38, exec_lo, v4
	v_lshlrev_b32_e32 v5, 30, v37
	v_mov_b32_e32 v4, v1
	v_cmp_gt_i64_e32 vcc, 0, v[4:5]
	v_not_b32_e32 v4, v5
	v_ashrrev_i32_e32 v4, 31, v4
	v_and_b32_e32 v0, exec_hi, v0
	v_xor_b32_e32 v5, vcc_hi, v4
	v_xor_b32_e32 v4, vcc_lo, v4
	v_and_b32_e32 v0, v0, v5
	v_and_b32_e32 v38, v38, v4
	v_lshlrev_b32_e32 v5, 29, v37
	v_mov_b32_e32 v4, v1
	v_cmp_gt_i64_e32 vcc, 0, v[4:5]
	v_not_b32_e32 v4, v5
	v_ashrrev_i32_e32 v4, 31, v4
	v_xor_b32_e32 v5, vcc_hi, v4
	v_xor_b32_e32 v4, vcc_lo, v4
	v_and_b32_e32 v0, v0, v5
	v_and_b32_e32 v38, v38, v4
	v_lshlrev_b32_e32 v5, 28, v37
	v_mov_b32_e32 v4, v1
	v_cmp_gt_i64_e32 vcc, 0, v[4:5]
	v_not_b32_e32 v4, v5
	v_ashrrev_i32_e32 v4, 31, v4
	;; [unrolled: 9-line block ×5, first 2 shown]
	v_xor_b32_e32 v5, vcc_hi, v4
	v_xor_b32_e32 v4, vcc_lo, v4
	v_and_b32_e32 v0, v0, v5
	v_lshlrev_b32_e32 v5, 24, v37
	v_and_b32_e32 v38, v38, v4
	v_mov_b32_e32 v4, v1
	v_not_b32_e32 v1, v5
	v_cmp_gt_i64_e32 vcc, 0, v[4:5]
	v_ashrrev_i32_e32 v1, 31, v1
	; wave barrier
	s_nop 0
	v_xor_b32_e32 v4, vcc_hi, v1
	v_xor_b32_e32 v5, vcc_lo, v1
	ds_read_b32 v33, v34 offset:16
	v_and_b32_e32 v1, v0, v4
	v_and_b32_e32 v0, v38, v5
	v_mbcnt_lo_u32_b32 v4, v0, 0
	v_mbcnt_hi_u32_b32 v37, v1, v4
	v_cmp_eq_u32_e32 vcc, 0, v37
	v_cmp_ne_u64_e64 s[0:1], 0, v[0:1]
	s_and_b64 s[4:5], s[0:1], vcc
	; wave barrier
	s_and_saveexec_b64 s[0:1], s[4:5]
	s_cbranch_execz .LBB63_231
; %bb.230:
	v_bcnt_u32_b32 v0, v0, 0
	v_bcnt_u32_b32 v0, v1, v0
	s_waitcnt lgkmcnt(0)
	v_add_u32_e32 v0, v33, v0
	ds_write_b32 v34, v0 offset:16
.LBB63_231:
	s_or_b64 exec, exec, s[0:1]
	s_waitcnt vmcnt(11)
	v_xor_b32_e32 v36, 0x7fff, v36
	v_lshrrev_b32_sdwa v0, s88, v36 dst_sel:DWORD dst_unused:UNUSED_PAD src0_sel:DWORD src1_sel:WORD_0
	v_and_b32_e32 v42, s9, v0
	v_and_b32_e32 v0, 1, v42
	v_mov_b32_e32 v1, 0
	v_lshl_add_u64 v[4:5], v[0:1], 0, -1
	v_cmp_ne_u32_e32 vcc, 0, v0
	v_mad_u32_u24 v39, v42, 20, v20
	s_nop 0
	v_xor_b32_e32 v4, vcc_lo, v4
	v_xor_b32_e32 v0, vcc_hi, v5
	v_and_b32_e32 v43, exec_lo, v4
	v_lshlrev_b32_e32 v5, 30, v42
	v_mov_b32_e32 v4, v1
	v_cmp_gt_i64_e32 vcc, 0, v[4:5]
	v_not_b32_e32 v4, v5
	v_ashrrev_i32_e32 v4, 31, v4
	v_and_b32_e32 v0, exec_hi, v0
	v_xor_b32_e32 v5, vcc_hi, v4
	v_xor_b32_e32 v4, vcc_lo, v4
	v_and_b32_e32 v0, v0, v5
	v_and_b32_e32 v43, v43, v4
	v_lshlrev_b32_e32 v5, 29, v42
	v_mov_b32_e32 v4, v1
	v_cmp_gt_i64_e32 vcc, 0, v[4:5]
	v_not_b32_e32 v4, v5
	v_ashrrev_i32_e32 v4, 31, v4
	v_xor_b32_e32 v5, vcc_hi, v4
	v_xor_b32_e32 v4, vcc_lo, v4
	v_and_b32_e32 v0, v0, v5
	v_and_b32_e32 v43, v43, v4
	v_lshlrev_b32_e32 v5, 28, v42
	v_mov_b32_e32 v4, v1
	v_cmp_gt_i64_e32 vcc, 0, v[4:5]
	v_not_b32_e32 v4, v5
	v_ashrrev_i32_e32 v4, 31, v4
	;; [unrolled: 9-line block ×6, first 2 shown]
	v_xor_b32_e32 v5, vcc_hi, v4
	v_xor_b32_e32 v4, vcc_lo, v4
	; wave barrier
	ds_read_b32 v38, v39 offset:16
	v_and_b32_e32 v4, v43, v4
	v_and_b32_e32 v5, v0, v5
	v_mbcnt_lo_u32_b32 v0, v4, 0
	v_mbcnt_hi_u32_b32 v42, v5, v0
	v_cmp_eq_u32_e32 vcc, 0, v42
	v_cmp_ne_u64_e64 s[0:1], 0, v[4:5]
	s_and_b64 s[4:5], s[0:1], vcc
	; wave barrier
	s_and_saveexec_b64 s[0:1], s[4:5]
	s_cbranch_execz .LBB63_233
; %bb.232:
	v_bcnt_u32_b32 v0, v4, 0
	v_bcnt_u32_b32 v0, v5, v0
	s_waitcnt lgkmcnt(0)
	v_add_u32_e32 v0, v38, v0
	ds_write_b32 v39, v0 offset:16
.LBB63_233:
	s_or_b64 exec, exec, s[0:1]
	s_waitcnt vmcnt(10)
	v_xor_b32_e32 v41, 0x7fff, v41
	v_lshrrev_b32_sdwa v0, s88, v41 dst_sel:DWORD dst_unused:UNUSED_PAD src0_sel:DWORD src1_sel:WORD_0
	v_and_b32_e32 v47, s9, v0
	v_and_b32_e32 v0, 1, v47
	v_lshl_add_u64 v[4:5], v[0:1], 0, -1
	v_cmp_ne_u32_e32 vcc, 0, v0
	v_mad_u32_u24 v45, v47, 20, v20
	s_nop 0
	v_xor_b32_e32 v4, vcc_lo, v4
	v_xor_b32_e32 v0, vcc_hi, v5
	v_and_b32_e32 v48, exec_lo, v4
	v_lshlrev_b32_e32 v5, 30, v47
	v_mov_b32_e32 v4, v1
	v_cmp_gt_i64_e32 vcc, 0, v[4:5]
	v_not_b32_e32 v4, v5
	v_ashrrev_i32_e32 v4, 31, v4
	v_and_b32_e32 v0, exec_hi, v0
	v_xor_b32_e32 v5, vcc_hi, v4
	v_xor_b32_e32 v4, vcc_lo, v4
	v_and_b32_e32 v0, v0, v5
	v_and_b32_e32 v48, v48, v4
	v_lshlrev_b32_e32 v5, 29, v47
	v_mov_b32_e32 v4, v1
	v_cmp_gt_i64_e32 vcc, 0, v[4:5]
	v_not_b32_e32 v4, v5
	v_ashrrev_i32_e32 v4, 31, v4
	v_xor_b32_e32 v5, vcc_hi, v4
	v_xor_b32_e32 v4, vcc_lo, v4
	v_and_b32_e32 v0, v0, v5
	v_and_b32_e32 v48, v48, v4
	v_lshlrev_b32_e32 v5, 28, v47
	v_mov_b32_e32 v4, v1
	v_cmp_gt_i64_e32 vcc, 0, v[4:5]
	v_not_b32_e32 v4, v5
	v_ashrrev_i32_e32 v4, 31, v4
	v_xor_b32_e32 v5, vcc_hi, v4
	v_xor_b32_e32 v4, vcc_lo, v4
	v_and_b32_e32 v0, v0, v5
	v_and_b32_e32 v48, v48, v4
	v_lshlrev_b32_e32 v5, 27, v47
	v_mov_b32_e32 v4, v1
	v_cmp_gt_i64_e32 vcc, 0, v[4:5]
	v_not_b32_e32 v4, v5
	v_ashrrev_i32_e32 v4, 31, v4
	v_xor_b32_e32 v5, vcc_hi, v4
	v_xor_b32_e32 v4, vcc_lo, v4
	v_and_b32_e32 v0, v0, v5
	v_and_b32_e32 v48, v48, v4
	v_lshlrev_b32_e32 v5, 26, v47
	v_mov_b32_e32 v4, v1
	v_cmp_gt_i64_e32 vcc, 0, v[4:5]
	v_not_b32_e32 v4, v5
	v_ashrrev_i32_e32 v4, 31, v4
	v_xor_b32_e32 v5, vcc_hi, v4
	v_xor_b32_e32 v4, vcc_lo, v4
	v_and_b32_e32 v0, v0, v5
	v_and_b32_e32 v48, v48, v4
	v_lshlrev_b32_e32 v5, 25, v47
	v_mov_b32_e32 v4, v1
	v_cmp_gt_i64_e32 vcc, 0, v[4:5]
	v_not_b32_e32 v4, v5
	v_ashrrev_i32_e32 v4, 31, v4
	v_xor_b32_e32 v5, vcc_hi, v4
	v_xor_b32_e32 v4, vcc_lo, v4
	v_and_b32_e32 v0, v0, v5
	v_lshlrev_b32_e32 v5, 24, v47
	v_and_b32_e32 v48, v48, v4
	v_mov_b32_e32 v4, v1
	v_not_b32_e32 v1, v5
	v_cmp_gt_i64_e32 vcc, 0, v[4:5]
	v_ashrrev_i32_e32 v1, 31, v1
	; wave barrier
	s_nop 0
	v_xor_b32_e32 v4, vcc_hi, v1
	v_xor_b32_e32 v5, vcc_lo, v1
	ds_read_b32 v43, v45 offset:16
	v_and_b32_e32 v1, v0, v4
	v_and_b32_e32 v0, v48, v5
	v_mbcnt_lo_u32_b32 v4, v0, 0
	v_mbcnt_hi_u32_b32 v47, v1, v4
	v_cmp_eq_u32_e32 vcc, 0, v47
	v_cmp_ne_u64_e64 s[0:1], 0, v[0:1]
	s_and_b64 s[4:5], s[0:1], vcc
	; wave barrier
	s_and_saveexec_b64 s[0:1], s[4:5]
	s_cbranch_execz .LBB63_235
; %bb.234:
	v_bcnt_u32_b32 v0, v0, 0
	v_bcnt_u32_b32 v0, v1, v0
	s_waitcnt lgkmcnt(0)
	v_add_u32_e32 v0, v43, v0
	ds_write_b32 v45, v0 offset:16
.LBB63_235:
	s_or_b64 exec, exec, s[0:1]
	s_waitcnt vmcnt(9)
	v_xor_b32_e32 v46, 0x7fff, v46
	v_lshrrev_b32_sdwa v0, s88, v46 dst_sel:DWORD dst_unused:UNUSED_PAD src0_sel:DWORD src1_sel:WORD_0
	v_and_b32_e32 v52, s9, v0
	v_and_b32_e32 v0, 1, v52
	v_mov_b32_e32 v1, 0
	v_lshl_add_u64 v[4:5], v[0:1], 0, -1
	v_cmp_ne_u32_e32 vcc, 0, v0
	v_mad_u32_u24 v50, v52, 20, v20
	s_nop 0
	v_xor_b32_e32 v4, vcc_lo, v4
	v_xor_b32_e32 v0, vcc_hi, v5
	v_and_b32_e32 v53, exec_lo, v4
	v_lshlrev_b32_e32 v5, 30, v52
	v_mov_b32_e32 v4, v1
	v_cmp_gt_i64_e32 vcc, 0, v[4:5]
	v_not_b32_e32 v4, v5
	v_ashrrev_i32_e32 v4, 31, v4
	v_and_b32_e32 v0, exec_hi, v0
	v_xor_b32_e32 v5, vcc_hi, v4
	v_xor_b32_e32 v4, vcc_lo, v4
	v_and_b32_e32 v0, v0, v5
	v_and_b32_e32 v53, v53, v4
	v_lshlrev_b32_e32 v5, 29, v52
	v_mov_b32_e32 v4, v1
	v_cmp_gt_i64_e32 vcc, 0, v[4:5]
	v_not_b32_e32 v4, v5
	v_ashrrev_i32_e32 v4, 31, v4
	v_xor_b32_e32 v5, vcc_hi, v4
	v_xor_b32_e32 v4, vcc_lo, v4
	v_and_b32_e32 v0, v0, v5
	v_and_b32_e32 v53, v53, v4
	v_lshlrev_b32_e32 v5, 28, v52
	v_mov_b32_e32 v4, v1
	v_cmp_gt_i64_e32 vcc, 0, v[4:5]
	v_not_b32_e32 v4, v5
	v_ashrrev_i32_e32 v4, 31, v4
	;; [unrolled: 9-line block ×6, first 2 shown]
	v_xor_b32_e32 v5, vcc_hi, v4
	v_xor_b32_e32 v4, vcc_lo, v4
	; wave barrier
	ds_read_b32 v48, v50 offset:16
	v_and_b32_e32 v4, v53, v4
	v_and_b32_e32 v5, v0, v5
	v_mbcnt_lo_u32_b32 v0, v4, 0
	v_mbcnt_hi_u32_b32 v52, v5, v0
	v_cmp_eq_u32_e32 vcc, 0, v52
	v_cmp_ne_u64_e64 s[0:1], 0, v[4:5]
	s_and_b64 s[4:5], s[0:1], vcc
	; wave barrier
	s_and_saveexec_b64 s[0:1], s[4:5]
	s_cbranch_execz .LBB63_237
; %bb.236:
	v_bcnt_u32_b32 v0, v4, 0
	v_bcnt_u32_b32 v0, v5, v0
	s_waitcnt lgkmcnt(0)
	v_add_u32_e32 v0, v48, v0
	ds_write_b32 v50, v0 offset:16
.LBB63_237:
	s_or_b64 exec, exec, s[0:1]
	s_waitcnt vmcnt(8)
	v_xor_b32_e32 v51, 0x7fff, v51
	v_lshrrev_b32_sdwa v0, s88, v51 dst_sel:DWORD dst_unused:UNUSED_PAD src0_sel:DWORD src1_sel:WORD_0
	v_and_b32_e32 v56, s9, v0
	v_and_b32_e32 v0, 1, v56
	v_lshl_add_u64 v[4:5], v[0:1], 0, -1
	v_cmp_ne_u32_e32 vcc, 0, v0
	v_mad_u32_u24 v55, v56, 20, v20
	s_nop 0
	v_xor_b32_e32 v4, vcc_lo, v4
	v_xor_b32_e32 v0, vcc_hi, v5
	v_and_b32_e32 v57, exec_lo, v4
	v_lshlrev_b32_e32 v5, 30, v56
	v_mov_b32_e32 v4, v1
	v_cmp_gt_i64_e32 vcc, 0, v[4:5]
	v_not_b32_e32 v4, v5
	v_ashrrev_i32_e32 v4, 31, v4
	v_and_b32_e32 v0, exec_hi, v0
	v_xor_b32_e32 v5, vcc_hi, v4
	v_xor_b32_e32 v4, vcc_lo, v4
	v_and_b32_e32 v0, v0, v5
	v_and_b32_e32 v57, v57, v4
	v_lshlrev_b32_e32 v5, 29, v56
	v_mov_b32_e32 v4, v1
	v_cmp_gt_i64_e32 vcc, 0, v[4:5]
	v_not_b32_e32 v4, v5
	v_ashrrev_i32_e32 v4, 31, v4
	v_xor_b32_e32 v5, vcc_hi, v4
	v_xor_b32_e32 v4, vcc_lo, v4
	v_and_b32_e32 v0, v0, v5
	v_and_b32_e32 v57, v57, v4
	v_lshlrev_b32_e32 v5, 28, v56
	v_mov_b32_e32 v4, v1
	v_cmp_gt_i64_e32 vcc, 0, v[4:5]
	v_not_b32_e32 v4, v5
	v_ashrrev_i32_e32 v4, 31, v4
	;; [unrolled: 9-line block ×5, first 2 shown]
	v_xor_b32_e32 v5, vcc_hi, v4
	v_xor_b32_e32 v4, vcc_lo, v4
	v_and_b32_e32 v0, v0, v5
	v_lshlrev_b32_e32 v5, 24, v56
	v_and_b32_e32 v57, v57, v4
	v_mov_b32_e32 v4, v1
	v_not_b32_e32 v1, v5
	v_cmp_gt_i64_e32 vcc, 0, v[4:5]
	v_ashrrev_i32_e32 v1, 31, v1
	; wave barrier
	s_nop 0
	v_xor_b32_e32 v4, vcc_hi, v1
	v_xor_b32_e32 v5, vcc_lo, v1
	ds_read_b32 v53, v55 offset:16
	v_and_b32_e32 v1, v0, v4
	v_and_b32_e32 v0, v57, v5
	v_mbcnt_lo_u32_b32 v4, v0, 0
	v_mbcnt_hi_u32_b32 v56, v1, v4
	v_cmp_eq_u32_e32 vcc, 0, v56
	v_cmp_ne_u64_e64 s[0:1], 0, v[0:1]
	s_and_b64 s[4:5], s[0:1], vcc
	; wave barrier
	s_and_saveexec_b64 s[0:1], s[4:5]
	s_cbranch_execz .LBB63_239
; %bb.238:
	v_bcnt_u32_b32 v0, v0, 0
	v_bcnt_u32_b32 v0, v1, v0
	s_waitcnt lgkmcnt(0)
	v_add_u32_e32 v0, v53, v0
	ds_write_b32 v55, v0 offset:16
.LBB63_239:
	s_or_b64 exec, exec, s[0:1]
	s_waitcnt vmcnt(7)
	v_xor_b32_e32 v54, 0x7fff, v54
	v_lshrrev_b32_sdwa v0, s88, v54 dst_sel:DWORD dst_unused:UNUSED_PAD src0_sel:DWORD src1_sel:WORD_0
	v_and_b32_e32 v59, s9, v0
	v_and_b32_e32 v0, 1, v59
	v_mov_b32_e32 v1, 0
	v_lshl_add_u64 v[4:5], v[0:1], 0, -1
	v_cmp_ne_u32_e32 vcc, 0, v0
	v_mad_u32_u24 v58, v59, 20, v20
	s_nop 0
	v_xor_b32_e32 v4, vcc_lo, v4
	v_xor_b32_e32 v0, vcc_hi, v5
	v_and_b32_e32 v60, exec_lo, v4
	v_lshlrev_b32_e32 v5, 30, v59
	v_mov_b32_e32 v4, v1
	v_cmp_gt_i64_e32 vcc, 0, v[4:5]
	v_not_b32_e32 v4, v5
	v_ashrrev_i32_e32 v4, 31, v4
	v_and_b32_e32 v0, exec_hi, v0
	v_xor_b32_e32 v5, vcc_hi, v4
	v_xor_b32_e32 v4, vcc_lo, v4
	v_and_b32_e32 v0, v0, v5
	v_and_b32_e32 v60, v60, v4
	v_lshlrev_b32_e32 v5, 29, v59
	v_mov_b32_e32 v4, v1
	v_cmp_gt_i64_e32 vcc, 0, v[4:5]
	v_not_b32_e32 v4, v5
	v_ashrrev_i32_e32 v4, 31, v4
	v_xor_b32_e32 v5, vcc_hi, v4
	v_xor_b32_e32 v4, vcc_lo, v4
	v_and_b32_e32 v0, v0, v5
	v_and_b32_e32 v60, v60, v4
	v_lshlrev_b32_e32 v5, 28, v59
	v_mov_b32_e32 v4, v1
	v_cmp_gt_i64_e32 vcc, 0, v[4:5]
	v_not_b32_e32 v4, v5
	v_ashrrev_i32_e32 v4, 31, v4
	v_xor_b32_e32 v5, vcc_hi, v4
	v_xor_b32_e32 v4, vcc_lo, v4
	v_and_b32_e32 v0, v0, v5
	v_and_b32_e32 v60, v60, v4
	v_lshlrev_b32_e32 v5, 27, v59
	v_mov_b32_e32 v4, v1
	v_cmp_gt_i64_e32 vcc, 0, v[4:5]
	v_not_b32_e32 v4, v5
	v_ashrrev_i32_e32 v4, 31, v4
	v_xor_b32_e32 v5, vcc_hi, v4
	v_xor_b32_e32 v4, vcc_lo, v4
	v_and_b32_e32 v0, v0, v5
	v_and_b32_e32 v60, v60, v4
	v_lshlrev_b32_e32 v5, 26, v59
	v_mov_b32_e32 v4, v1
	v_cmp_gt_i64_e32 vcc, 0, v[4:5]
	v_not_b32_e32 v4, v5
	v_ashrrev_i32_e32 v4, 31, v4
	v_xor_b32_e32 v5, vcc_hi, v4
	v_xor_b32_e32 v4, vcc_lo, v4
	v_and_b32_e32 v0, v0, v5
	v_and_b32_e32 v60, v60, v4
	v_lshlrev_b32_e32 v5, 25, v59
	v_mov_b32_e32 v4, v1
	v_cmp_gt_i64_e32 vcc, 0, v[4:5]
	v_not_b32_e32 v4, v5
	v_ashrrev_i32_e32 v4, 31, v4
	v_xor_b32_e32 v5, vcc_hi, v4
	v_xor_b32_e32 v4, vcc_lo, v4
	v_and_b32_e32 v0, v0, v5
	v_and_b32_e32 v60, v60, v4
	v_lshlrev_b32_e32 v5, 24, v59
	v_mov_b32_e32 v4, v1
	v_cmp_gt_i64_e32 vcc, 0, v[4:5]
	v_not_b32_e32 v4, v5
	v_ashrrev_i32_e32 v4, 31, v4
	v_xor_b32_e32 v5, vcc_hi, v4
	v_xor_b32_e32 v4, vcc_lo, v4
	; wave barrier
	ds_read_b32 v57, v58 offset:16
	v_and_b32_e32 v4, v60, v4
	v_and_b32_e32 v5, v0, v5
	v_mbcnt_lo_u32_b32 v0, v4, 0
	v_mbcnt_hi_u32_b32 v59, v5, v0
	v_cmp_eq_u32_e32 vcc, 0, v59
	v_cmp_ne_u64_e64 s[0:1], 0, v[4:5]
	s_and_b64 s[4:5], s[0:1], vcc
	; wave barrier
	s_and_saveexec_b64 s[0:1], s[4:5]
	s_cbranch_execz .LBB63_241
; %bb.240:
	v_bcnt_u32_b32 v0, v4, 0
	v_bcnt_u32_b32 v0, v5, v0
	s_waitcnt lgkmcnt(0)
	v_add_u32_e32 v0, v57, v0
	ds_write_b32 v58, v0 offset:16
.LBB63_241:
	s_or_b64 exec, exec, s[0:1]
	s_waitcnt vmcnt(6)
	v_xor_b32_e32 v49, 0x7fff, v49
	v_lshrrev_b32_sdwa v0, s88, v49 dst_sel:DWORD dst_unused:UNUSED_PAD src0_sel:DWORD src1_sel:WORD_0
	v_and_b32_e32 v62, s9, v0
	v_and_b32_e32 v0, 1, v62
	v_lshl_add_u64 v[4:5], v[0:1], 0, -1
	v_cmp_ne_u32_e32 vcc, 0, v0
	v_mad_u32_u24 v61, v62, 20, v20
	s_nop 0
	v_xor_b32_e32 v4, vcc_lo, v4
	v_xor_b32_e32 v0, vcc_hi, v5
	v_and_b32_e32 v63, exec_lo, v4
	v_lshlrev_b32_e32 v5, 30, v62
	v_mov_b32_e32 v4, v1
	v_cmp_gt_i64_e32 vcc, 0, v[4:5]
	v_not_b32_e32 v4, v5
	v_ashrrev_i32_e32 v4, 31, v4
	v_and_b32_e32 v0, exec_hi, v0
	v_xor_b32_e32 v5, vcc_hi, v4
	v_xor_b32_e32 v4, vcc_lo, v4
	v_and_b32_e32 v0, v0, v5
	v_and_b32_e32 v63, v63, v4
	v_lshlrev_b32_e32 v5, 29, v62
	v_mov_b32_e32 v4, v1
	v_cmp_gt_i64_e32 vcc, 0, v[4:5]
	v_not_b32_e32 v4, v5
	v_ashrrev_i32_e32 v4, 31, v4
	v_xor_b32_e32 v5, vcc_hi, v4
	v_xor_b32_e32 v4, vcc_lo, v4
	v_and_b32_e32 v0, v0, v5
	v_and_b32_e32 v63, v63, v4
	v_lshlrev_b32_e32 v5, 28, v62
	v_mov_b32_e32 v4, v1
	v_cmp_gt_i64_e32 vcc, 0, v[4:5]
	v_not_b32_e32 v4, v5
	v_ashrrev_i32_e32 v4, 31, v4
	;; [unrolled: 9-line block ×5, first 2 shown]
	v_xor_b32_e32 v5, vcc_hi, v4
	v_xor_b32_e32 v4, vcc_lo, v4
	v_and_b32_e32 v0, v0, v5
	v_lshlrev_b32_e32 v5, 24, v62
	v_and_b32_e32 v63, v63, v4
	v_mov_b32_e32 v4, v1
	v_not_b32_e32 v1, v5
	v_cmp_gt_i64_e32 vcc, 0, v[4:5]
	v_ashrrev_i32_e32 v1, 31, v1
	; wave barrier
	s_nop 0
	v_xor_b32_e32 v4, vcc_hi, v1
	v_xor_b32_e32 v5, vcc_lo, v1
	ds_read_b32 v60, v61 offset:16
	v_and_b32_e32 v1, v0, v4
	v_and_b32_e32 v0, v63, v5
	v_mbcnt_lo_u32_b32 v4, v0, 0
	v_mbcnt_hi_u32_b32 v62, v1, v4
	v_cmp_eq_u32_e32 vcc, 0, v62
	v_cmp_ne_u64_e64 s[0:1], 0, v[0:1]
	s_and_b64 s[4:5], s[0:1], vcc
	; wave barrier
	s_and_saveexec_b64 s[0:1], s[4:5]
	s_cbranch_execz .LBB63_243
; %bb.242:
	v_bcnt_u32_b32 v0, v0, 0
	v_bcnt_u32_b32 v0, v1, v0
	s_waitcnt lgkmcnt(0)
	v_add_u32_e32 v0, v60, v0
	ds_write_b32 v61, v0 offset:16
.LBB63_243:
	s_or_b64 exec, exec, s[0:1]
	s_waitcnt vmcnt(5)
	v_xor_b32_e32 v44, 0x7fff, v44
	v_lshrrev_b32_sdwa v0, s88, v44 dst_sel:DWORD dst_unused:UNUSED_PAD src0_sel:DWORD src1_sel:WORD_0
	v_and_b32_e32 v65, s9, v0
	v_and_b32_e32 v0, 1, v65
	v_mov_b32_e32 v1, 0
	v_lshl_add_u64 v[4:5], v[0:1], 0, -1
	v_cmp_ne_u32_e32 vcc, 0, v0
	v_mad_u32_u24 v64, v65, 20, v20
	s_nop 0
	v_xor_b32_e32 v4, vcc_lo, v4
	v_xor_b32_e32 v0, vcc_hi, v5
	v_and_b32_e32 v66, exec_lo, v4
	v_lshlrev_b32_e32 v5, 30, v65
	v_mov_b32_e32 v4, v1
	v_cmp_gt_i64_e32 vcc, 0, v[4:5]
	v_not_b32_e32 v4, v5
	v_ashrrev_i32_e32 v4, 31, v4
	v_and_b32_e32 v0, exec_hi, v0
	v_xor_b32_e32 v5, vcc_hi, v4
	v_xor_b32_e32 v4, vcc_lo, v4
	v_and_b32_e32 v0, v0, v5
	v_and_b32_e32 v66, v66, v4
	v_lshlrev_b32_e32 v5, 29, v65
	v_mov_b32_e32 v4, v1
	v_cmp_gt_i64_e32 vcc, 0, v[4:5]
	v_not_b32_e32 v4, v5
	v_ashrrev_i32_e32 v4, 31, v4
	v_xor_b32_e32 v5, vcc_hi, v4
	v_xor_b32_e32 v4, vcc_lo, v4
	v_and_b32_e32 v0, v0, v5
	v_and_b32_e32 v66, v66, v4
	v_lshlrev_b32_e32 v5, 28, v65
	v_mov_b32_e32 v4, v1
	v_cmp_gt_i64_e32 vcc, 0, v[4:5]
	v_not_b32_e32 v4, v5
	v_ashrrev_i32_e32 v4, 31, v4
	;; [unrolled: 9-line block ×6, first 2 shown]
	v_xor_b32_e32 v5, vcc_hi, v4
	v_xor_b32_e32 v4, vcc_lo, v4
	; wave barrier
	ds_read_b32 v63, v64 offset:16
	v_and_b32_e32 v4, v66, v4
	v_and_b32_e32 v5, v0, v5
	v_mbcnt_lo_u32_b32 v0, v4, 0
	v_mbcnt_hi_u32_b32 v65, v5, v0
	v_cmp_eq_u32_e32 vcc, 0, v65
	v_cmp_ne_u64_e64 s[0:1], 0, v[4:5]
	s_and_b64 s[4:5], s[0:1], vcc
	; wave barrier
	s_and_saveexec_b64 s[0:1], s[4:5]
	s_cbranch_execz .LBB63_245
; %bb.244:
	v_bcnt_u32_b32 v0, v4, 0
	v_bcnt_u32_b32 v0, v5, v0
	s_waitcnt lgkmcnt(0)
	v_add_u32_e32 v0, v63, v0
	ds_write_b32 v64, v0 offset:16
.LBB63_245:
	s_or_b64 exec, exec, s[0:1]
	s_waitcnt vmcnt(4)
	v_xor_b32_e32 v40, 0x7fff, v40
	v_lshrrev_b32_sdwa v0, s88, v40 dst_sel:DWORD dst_unused:UNUSED_PAD src0_sel:DWORD src1_sel:WORD_0
	v_and_b32_e32 v68, s9, v0
	v_and_b32_e32 v0, 1, v68
	v_lshl_add_u64 v[4:5], v[0:1], 0, -1
	v_cmp_ne_u32_e32 vcc, 0, v0
	v_mad_u32_u24 v67, v68, 20, v20
	s_nop 0
	v_xor_b32_e32 v4, vcc_lo, v4
	v_xor_b32_e32 v0, vcc_hi, v5
	v_and_b32_e32 v69, exec_lo, v4
	v_lshlrev_b32_e32 v5, 30, v68
	v_mov_b32_e32 v4, v1
	v_cmp_gt_i64_e32 vcc, 0, v[4:5]
	v_not_b32_e32 v4, v5
	v_ashrrev_i32_e32 v4, 31, v4
	v_and_b32_e32 v0, exec_hi, v0
	v_xor_b32_e32 v5, vcc_hi, v4
	v_xor_b32_e32 v4, vcc_lo, v4
	v_and_b32_e32 v0, v0, v5
	v_and_b32_e32 v69, v69, v4
	v_lshlrev_b32_e32 v5, 29, v68
	v_mov_b32_e32 v4, v1
	v_cmp_gt_i64_e32 vcc, 0, v[4:5]
	v_not_b32_e32 v4, v5
	v_ashrrev_i32_e32 v4, 31, v4
	v_xor_b32_e32 v5, vcc_hi, v4
	v_xor_b32_e32 v4, vcc_lo, v4
	v_and_b32_e32 v0, v0, v5
	v_and_b32_e32 v69, v69, v4
	v_lshlrev_b32_e32 v5, 28, v68
	v_mov_b32_e32 v4, v1
	v_cmp_gt_i64_e32 vcc, 0, v[4:5]
	v_not_b32_e32 v4, v5
	v_ashrrev_i32_e32 v4, 31, v4
	;; [unrolled: 9-line block ×5, first 2 shown]
	v_xor_b32_e32 v5, vcc_hi, v4
	v_xor_b32_e32 v4, vcc_lo, v4
	v_and_b32_e32 v0, v0, v5
	v_lshlrev_b32_e32 v5, 24, v68
	v_and_b32_e32 v69, v69, v4
	v_mov_b32_e32 v4, v1
	v_not_b32_e32 v1, v5
	v_cmp_gt_i64_e32 vcc, 0, v[4:5]
	v_ashrrev_i32_e32 v1, 31, v1
	; wave barrier
	s_nop 0
	v_xor_b32_e32 v4, vcc_hi, v1
	v_xor_b32_e32 v5, vcc_lo, v1
	ds_read_b32 v66, v67 offset:16
	v_and_b32_e32 v1, v0, v4
	v_and_b32_e32 v0, v69, v5
	v_mbcnt_lo_u32_b32 v4, v0, 0
	v_mbcnt_hi_u32_b32 v68, v1, v4
	v_cmp_eq_u32_e32 vcc, 0, v68
	v_cmp_ne_u64_e64 s[0:1], 0, v[0:1]
	s_and_b64 s[4:5], s[0:1], vcc
	; wave barrier
	s_and_saveexec_b64 s[0:1], s[4:5]
	s_cbranch_execz .LBB63_247
; %bb.246:
	v_bcnt_u32_b32 v0, v0, 0
	v_bcnt_u32_b32 v0, v1, v0
	s_waitcnt lgkmcnt(0)
	v_add_u32_e32 v0, v66, v0
	ds_write_b32 v67, v0 offset:16
.LBB63_247:
	s_or_b64 exec, exec, s[0:1]
	s_waitcnt vmcnt(3)
	v_xor_b32_e32 v35, 0x7fff, v35
	v_lshrrev_b32_sdwa v0, s88, v35 dst_sel:DWORD dst_unused:UNUSED_PAD src0_sel:DWORD src1_sel:WORD_0
	v_and_b32_e32 v71, s9, v0
	v_and_b32_e32 v0, 1, v71
	v_mov_b32_e32 v1, 0
	v_lshl_add_u64 v[4:5], v[0:1], 0, -1
	v_cmp_ne_u32_e32 vcc, 0, v0
	v_mad_u32_u24 v70, v71, 20, v20
	s_nop 0
	v_xor_b32_e32 v4, vcc_lo, v4
	v_xor_b32_e32 v0, vcc_hi, v5
	v_and_b32_e32 v72, exec_lo, v4
	v_lshlrev_b32_e32 v5, 30, v71
	v_mov_b32_e32 v4, v1
	v_cmp_gt_i64_e32 vcc, 0, v[4:5]
	v_not_b32_e32 v4, v5
	v_ashrrev_i32_e32 v4, 31, v4
	v_and_b32_e32 v0, exec_hi, v0
	v_xor_b32_e32 v5, vcc_hi, v4
	v_xor_b32_e32 v4, vcc_lo, v4
	v_and_b32_e32 v0, v0, v5
	v_and_b32_e32 v72, v72, v4
	v_lshlrev_b32_e32 v5, 29, v71
	v_mov_b32_e32 v4, v1
	v_cmp_gt_i64_e32 vcc, 0, v[4:5]
	v_not_b32_e32 v4, v5
	v_ashrrev_i32_e32 v4, 31, v4
	v_xor_b32_e32 v5, vcc_hi, v4
	v_xor_b32_e32 v4, vcc_lo, v4
	v_and_b32_e32 v0, v0, v5
	v_and_b32_e32 v72, v72, v4
	v_lshlrev_b32_e32 v5, 28, v71
	v_mov_b32_e32 v4, v1
	v_cmp_gt_i64_e32 vcc, 0, v[4:5]
	v_not_b32_e32 v4, v5
	v_ashrrev_i32_e32 v4, 31, v4
	;; [unrolled: 9-line block ×6, first 2 shown]
	v_xor_b32_e32 v5, vcc_hi, v4
	v_xor_b32_e32 v4, vcc_lo, v4
	; wave barrier
	ds_read_b32 v69, v70 offset:16
	v_and_b32_e32 v4, v72, v4
	v_and_b32_e32 v5, v0, v5
	v_mbcnt_lo_u32_b32 v0, v4, 0
	v_mbcnt_hi_u32_b32 v72, v5, v0
	v_cmp_eq_u32_e32 vcc, 0, v72
	v_cmp_ne_u64_e64 s[0:1], 0, v[4:5]
	s_and_b64 s[4:5], s[0:1], vcc
	; wave barrier
	s_and_saveexec_b64 s[0:1], s[4:5]
	s_cbranch_execz .LBB63_249
; %bb.248:
	v_bcnt_u32_b32 v0, v4, 0
	v_bcnt_u32_b32 v0, v5, v0
	s_waitcnt lgkmcnt(0)
	v_add_u32_e32 v0, v69, v0
	ds_write_b32 v70, v0 offset:16
.LBB63_249:
	s_or_b64 exec, exec, s[0:1]
	s_waitcnt vmcnt(2)
	v_xor_b32_e32 v71, 0x7fff, v30
	v_lshrrev_b32_sdwa v0, s88, v71 dst_sel:DWORD dst_unused:UNUSED_PAD src0_sel:DWORD src1_sel:WORD_0
	v_and_b32_e32 v74, s9, v0
	v_and_b32_e32 v0, 1, v74
	v_lshl_add_u64 v[4:5], v[0:1], 0, -1
	v_cmp_ne_u32_e32 vcc, 0, v0
	v_mad_u32_u24 v30, v74, 20, v20
	s_nop 0
	v_xor_b32_e32 v4, vcc_lo, v4
	v_xor_b32_e32 v0, vcc_hi, v5
	v_and_b32_e32 v75, exec_lo, v4
	v_lshlrev_b32_e32 v5, 30, v74
	v_mov_b32_e32 v4, v1
	v_cmp_gt_i64_e32 vcc, 0, v[4:5]
	v_not_b32_e32 v4, v5
	v_ashrrev_i32_e32 v4, 31, v4
	v_and_b32_e32 v0, exec_hi, v0
	v_xor_b32_e32 v5, vcc_hi, v4
	v_xor_b32_e32 v4, vcc_lo, v4
	v_and_b32_e32 v0, v0, v5
	v_and_b32_e32 v75, v75, v4
	v_lshlrev_b32_e32 v5, 29, v74
	v_mov_b32_e32 v4, v1
	v_cmp_gt_i64_e32 vcc, 0, v[4:5]
	v_not_b32_e32 v4, v5
	v_ashrrev_i32_e32 v4, 31, v4
	v_xor_b32_e32 v5, vcc_hi, v4
	v_xor_b32_e32 v4, vcc_lo, v4
	v_and_b32_e32 v0, v0, v5
	v_and_b32_e32 v75, v75, v4
	v_lshlrev_b32_e32 v5, 28, v74
	v_mov_b32_e32 v4, v1
	v_cmp_gt_i64_e32 vcc, 0, v[4:5]
	v_not_b32_e32 v4, v5
	v_ashrrev_i32_e32 v4, 31, v4
	;; [unrolled: 9-line block ×5, first 2 shown]
	v_xor_b32_e32 v5, vcc_hi, v4
	v_xor_b32_e32 v4, vcc_lo, v4
	v_and_b32_e32 v0, v0, v5
	v_lshlrev_b32_e32 v5, 24, v74
	v_and_b32_e32 v75, v75, v4
	v_mov_b32_e32 v4, v1
	v_not_b32_e32 v1, v5
	v_cmp_gt_i64_e32 vcc, 0, v[4:5]
	v_ashrrev_i32_e32 v1, 31, v1
	; wave barrier
	s_nop 0
	v_xor_b32_e32 v4, vcc_hi, v1
	v_xor_b32_e32 v5, vcc_lo, v1
	ds_read_b32 v73, v30 offset:16
	v_and_b32_e32 v1, v0, v4
	v_and_b32_e32 v0, v75, v5
	v_mbcnt_lo_u32_b32 v4, v0, 0
	v_mbcnt_hi_u32_b32 v75, v1, v4
	v_cmp_eq_u32_e32 vcc, 0, v75
	v_cmp_ne_u64_e64 s[0:1], 0, v[0:1]
	s_and_b64 s[4:5], s[0:1], vcc
	; wave barrier
	s_and_saveexec_b64 s[0:1], s[4:5]
	s_cbranch_execz .LBB63_251
; %bb.250:
	v_bcnt_u32_b32 v0, v0, 0
	v_bcnt_u32_b32 v0, v1, v0
	s_waitcnt lgkmcnt(0)
	v_add_u32_e32 v0, v73, v0
	ds_write_b32 v30, v0 offset:16
.LBB63_251:
	s_or_b64 exec, exec, s[0:1]
	s_waitcnt vmcnt(1)
	v_xor_b32_e32 v74, 0x7fff, v25
	v_lshrrev_b32_sdwa v0, s88, v74 dst_sel:DWORD dst_unused:UNUSED_PAD src0_sel:DWORD src1_sel:WORD_0
	v_and_b32_e32 v77, s9, v0
	v_and_b32_e32 v0, 1, v77
	v_mov_b32_e32 v1, 0
	v_lshl_add_u64 v[4:5], v[0:1], 0, -1
	v_cmp_ne_u32_e32 vcc, 0, v0
	v_mad_u32_u24 v25, v77, 20, v20
	s_nop 0
	v_xor_b32_e32 v4, vcc_lo, v4
	v_xor_b32_e32 v0, vcc_hi, v5
	v_and_b32_e32 v78, exec_lo, v4
	v_lshlrev_b32_e32 v5, 30, v77
	v_mov_b32_e32 v4, v1
	v_cmp_gt_i64_e32 vcc, 0, v[4:5]
	v_not_b32_e32 v4, v5
	v_ashrrev_i32_e32 v4, 31, v4
	v_and_b32_e32 v0, exec_hi, v0
	v_xor_b32_e32 v5, vcc_hi, v4
	v_xor_b32_e32 v4, vcc_lo, v4
	v_and_b32_e32 v0, v0, v5
	v_and_b32_e32 v78, v78, v4
	v_lshlrev_b32_e32 v5, 29, v77
	v_mov_b32_e32 v4, v1
	v_cmp_gt_i64_e32 vcc, 0, v[4:5]
	v_not_b32_e32 v4, v5
	v_ashrrev_i32_e32 v4, 31, v4
	v_xor_b32_e32 v5, vcc_hi, v4
	v_xor_b32_e32 v4, vcc_lo, v4
	v_and_b32_e32 v0, v0, v5
	v_and_b32_e32 v78, v78, v4
	v_lshlrev_b32_e32 v5, 28, v77
	v_mov_b32_e32 v4, v1
	v_cmp_gt_i64_e32 vcc, 0, v[4:5]
	v_not_b32_e32 v4, v5
	v_ashrrev_i32_e32 v4, 31, v4
	;; [unrolled: 9-line block ×6, first 2 shown]
	v_xor_b32_e32 v5, vcc_hi, v4
	v_xor_b32_e32 v4, vcc_lo, v4
	; wave barrier
	ds_read_b32 v76, v25 offset:16
	v_and_b32_e32 v4, v78, v4
	v_and_b32_e32 v5, v0, v5
	v_mbcnt_lo_u32_b32 v0, v4, 0
	v_mbcnt_hi_u32_b32 v78, v5, v0
	v_cmp_eq_u32_e32 vcc, 0, v78
	v_cmp_ne_u64_e64 s[0:1], 0, v[4:5]
	s_and_b64 s[4:5], s[0:1], vcc
	; wave barrier
	s_and_saveexec_b64 s[0:1], s[4:5]
	s_cbranch_execz .LBB63_253
; %bb.252:
	v_bcnt_u32_b32 v0, v4, 0
	v_bcnt_u32_b32 v0, v5, v0
	s_waitcnt lgkmcnt(0)
	v_add_u32_e32 v0, v76, v0
	ds_write_b32 v25, v0 offset:16
.LBB63_253:
	s_or_b64 exec, exec, s[0:1]
	s_waitcnt vmcnt(0)
	v_xor_b32_e32 v77, 0x7fff, v19
	v_lshrrev_b32_sdwa v0, s88, v77 dst_sel:DWORD dst_unused:UNUSED_PAD src0_sel:DWORD src1_sel:WORD_0
	v_and_b32_e32 v80, s9, v0
	v_and_b32_e32 v0, 1, v80
	v_lshl_add_u64 v[4:5], v[0:1], 0, -1
	v_cmp_ne_u32_e32 vcc, 0, v0
	v_mad_u32_u24 v19, v80, 20, v20
	s_nop 0
	v_xor_b32_e32 v4, vcc_lo, v4
	v_xor_b32_e32 v0, vcc_hi, v5
	v_and_b32_e32 v20, exec_lo, v4
	v_lshlrev_b32_e32 v5, 30, v80
	v_mov_b32_e32 v4, v1
	v_cmp_gt_i64_e32 vcc, 0, v[4:5]
	v_not_b32_e32 v4, v5
	v_ashrrev_i32_e32 v4, 31, v4
	v_and_b32_e32 v0, exec_hi, v0
	v_xor_b32_e32 v5, vcc_hi, v4
	v_xor_b32_e32 v4, vcc_lo, v4
	v_and_b32_e32 v0, v0, v5
	v_and_b32_e32 v20, v20, v4
	v_lshlrev_b32_e32 v5, 29, v80
	v_mov_b32_e32 v4, v1
	v_cmp_gt_i64_e32 vcc, 0, v[4:5]
	v_not_b32_e32 v4, v5
	v_ashrrev_i32_e32 v4, 31, v4
	v_xor_b32_e32 v5, vcc_hi, v4
	v_xor_b32_e32 v4, vcc_lo, v4
	v_and_b32_e32 v0, v0, v5
	v_and_b32_e32 v20, v20, v4
	v_lshlrev_b32_e32 v5, 28, v80
	v_mov_b32_e32 v4, v1
	v_cmp_gt_i64_e32 vcc, 0, v[4:5]
	v_not_b32_e32 v4, v5
	v_ashrrev_i32_e32 v4, 31, v4
	;; [unrolled: 9-line block ×5, first 2 shown]
	v_xor_b32_e32 v5, vcc_hi, v4
	v_xor_b32_e32 v4, vcc_lo, v4
	v_and_b32_e32 v0, v0, v5
	v_lshlrev_b32_e32 v5, 24, v80
	v_and_b32_e32 v20, v20, v4
	v_mov_b32_e32 v4, v1
	v_not_b32_e32 v1, v5
	v_cmp_gt_i64_e32 vcc, 0, v[4:5]
	v_ashrrev_i32_e32 v1, 31, v1
	; wave barrier
	s_nop 0
	v_xor_b32_e32 v4, vcc_hi, v1
	v_xor_b32_e32 v5, vcc_lo, v1
	ds_read_b32 v79, v19 offset:16
	v_and_b32_e32 v1, v0, v4
	v_and_b32_e32 v0, v20, v5
	v_mbcnt_lo_u32_b32 v4, v0, 0
	v_mbcnt_hi_u32_b32 v80, v1, v4
	v_cmp_eq_u32_e32 vcc, 0, v80
	v_cmp_ne_u64_e64 s[0:1], 0, v[0:1]
	s_and_b64 s[4:5], s[0:1], vcc
	; wave barrier
	s_and_saveexec_b64 s[0:1], s[4:5]
	s_cbranch_execz .LBB63_255
; %bb.254:
	v_bcnt_u32_b32 v0, v0, 0
	v_bcnt_u32_b32 v0, v1, v0
	s_waitcnt lgkmcnt(0)
	v_add_u32_e32 v0, v79, v0
	ds_write_b32 v19, v0 offset:16
.LBB63_255:
	s_or_b64 exec, exec, s[0:1]
	; wave barrier
	s_waitcnt lgkmcnt(0)
	s_barrier
	ds_read2_b32 v[4:5], v6 offset0:4 offset1:5
	ds_read2_b32 v[0:1], v6 offset0:6 offset1:7
	ds_read_b32 v20, v6 offset:32
	v_min_u32_e32 v8, 0xc0, v8
	v_or_b32_e32 v8, 63, v8
	s_waitcnt lgkmcnt(1)
	v_add3_u32 v81, v5, v4, v0
	s_waitcnt lgkmcnt(0)
	v_add3_u32 v20, v81, v1, v20
	v_and_b32_e32 v81, 15, v12
	v_cmp_ne_u32_e32 vcc, 0, v81
	v_mov_b32_dpp v82, v20 row_shr:1 row_mask:0xf bank_mask:0xf
	s_nop 0
	v_cndmask_b32_e32 v82, 0, v82, vcc
	v_add_u32_e32 v20, v82, v20
	v_cmp_lt_u32_e32 vcc, 1, v81
	s_nop 0
	v_mov_b32_dpp v82, v20 row_shr:2 row_mask:0xf bank_mask:0xf
	v_cndmask_b32_e32 v82, 0, v82, vcc
	v_add_u32_e32 v20, v20, v82
	v_cmp_lt_u32_e32 vcc, 3, v81
	s_nop 0
	v_mov_b32_dpp v82, v20 row_shr:4 row_mask:0xf bank_mask:0xf
	;; [unrolled: 5-line block ×3, first 2 shown]
	v_cndmask_b32_e32 v81, 0, v82, vcc
	v_add_u32_e32 v20, v20, v81
	v_bfe_i32 v82, v12, 4, 1
	v_cmp_lt_u32_e32 vcc, 31, v12
	v_mov_b32_dpp v81, v20 row_bcast:15 row_mask:0xf bank_mask:0xf
	v_and_b32_e32 v81, v82, v81
	v_add_u32_e32 v20, v20, v81
	s_nop 1
	v_mov_b32_dpp v81, v20 row_bcast:31 row_mask:0xf bank_mask:0xf
	v_cndmask_b32_e32 v81, 0, v81, vcc
	v_add_u32_e32 v20, v20, v81
	v_lshrrev_b32_e32 v81, 6, v2
	v_cmp_eq_u32_e32 vcc, v2, v8
	s_and_saveexec_b64 s[0:1], vcc
; %bb.256:
	v_lshlrev_b32_e32 v8, 2, v81
	ds_write_b32 v8, v20
; %bb.257:
	s_or_b64 exec, exec, s[0:1]
	v_cmp_gt_u32_e32 vcc, 4, v2
	s_waitcnt lgkmcnt(0)
	s_barrier
	s_and_saveexec_b64 s[0:1], vcc
	s_cbranch_execz .LBB63_259
; %bb.258:
	v_lshlrev_b32_e32 v8, 2, v2
	ds_read_b32 v82, v8
	v_and_b32_e32 v83, 3, v12
	v_cmp_ne_u32_e32 vcc, 0, v83
	s_waitcnt lgkmcnt(0)
	v_mov_b32_dpp v84, v82 row_shr:1 row_mask:0xf bank_mask:0xf
	v_cndmask_b32_e32 v84, 0, v84, vcc
	v_add_u32_e32 v82, v84, v82
	v_cmp_lt_u32_e32 vcc, 1, v83
	s_nop 0
	v_mov_b32_dpp v84, v82 row_shr:2 row_mask:0xf bank_mask:0xf
	v_cndmask_b32_e32 v83, 0, v84, vcc
	v_add_u32_e32 v82, v82, v83
	ds_write_b32 v8, v82
.LBB63_259:
	s_or_b64 exec, exec, s[0:1]
	v_cmp_lt_u32_e32 vcc, 63, v2
	v_mov_b32_e32 v8, 0
	s_waitcnt lgkmcnt(0)
	s_barrier
	s_and_saveexec_b64 s[0:1], vcc
; %bb.260:
	v_lshl_add_u32 v8, v81, 2, -4
	ds_read_b32 v8, v8
; %bb.261:
	s_or_b64 exec, exec, s[0:1]
	v_add_u32_e32 v81, -1, v12
	v_and_b32_e32 v82, 64, v12
	v_cmp_lt_i32_e32 vcc, v81, v82
	s_waitcnt lgkmcnt(0)
	v_add_u32_e32 v20, v8, v20
	s_movk_i32 s0, 0x100
	v_cndmask_b32_e32 v81, v81, v12, vcc
	v_lshlrev_b32_e32 v81, 2, v81
	ds_bpermute_b32 v20, v81, v20
	v_cmp_eq_u32_e32 vcc, 0, v12
	s_waitcnt lgkmcnt(0)
	s_nop 0
	v_cndmask_b32_e32 v8, v20, v8, vcc
	v_cmp_ne_u32_e32 vcc, 0, v2
	s_nop 1
	v_cndmask_b32_e32 v8, 0, v8, vcc
	v_add_u32_e32 v4, v8, v4
	v_add_u32_e32 v5, v4, v5
	v_add_u32_e32 v0, v5, v0
	v_add_u32_e32 v1, v0, v1
	ds_write2_b32 v6, v8, v4 offset0:4 offset1:5
	ds_write2_b32 v6, v5, v0 offset0:6 offset1:7
	ds_write_b32 v6, v1 offset:32
	s_waitcnt lgkmcnt(0)
	s_barrier
	ds_read_b32 v4, v45 offset:16
	ds_read_b32 v5, v50 offset:16
	;; [unrolled: 1-line block ×19, first 2 shown]
	v_add_u32_e32 v6, 1, v2
	v_cmp_ne_u32_e32 vcc, s0, v6
	v_mov_b32_e32 v1, 0x1200
	s_and_saveexec_b64 s[0:1], vcc
; %bb.262:
	v_mul_u32_u24_e32 v1, 20, v6
	ds_read_b32 v1, v1 offset:16
; %bb.263:
	s_or_b64 exec, exec, s[0:1]
	s_waitcnt lgkmcnt(7)
	v_add_u32_e32 v39, v9, v11
	s_waitcnt lgkmcnt(6)
	v_add3_u32 v34, v16, v13, v14
	s_waitcnt lgkmcnt(3)
	v_add3_u32 v28, v32, v28, v24
	v_add3_u32 v24, v47, v43, v4
	v_lshlrev_b32_e32 v4, 1, v39
	v_add3_u32 v30, v22, v17, v18
	s_waitcnt lgkmcnt(0)
	s_barrier
	ds_write_b16 v4, v7 offset:2048
	v_lshlrev_b32_e32 v4, 1, v34
	v_add3_u32 v29, v27, v23, v19
	ds_write_b16 v4, v10 offset:2048
	v_lshlrev_b32_e32 v4, 1, v30
	ds_write_b16 v4, v15 offset:2048
	v_lshlrev_b32_e32 v4, 1, v29
	v_add3_u32 v27, v37, v33, v25
	ds_write_b16 v4, v21 offset:2048
	v_lshlrev_b32_e32 v4, 1, v28
	v_add3_u32 v25, v42, v38, v70
	ds_write_b16 v4, v26 offset:2048
	v_lshlrev_b32_e32 v4, 1, v27
	ds_write_b16 v4, v31 offset:2048
	v_lshlrev_b32_e32 v4, 1, v25
	v_add3_u32 v23, v52, v48, v5
	ds_write_b16 v4, v36 offset:2048
	v_lshlrev_b32_e32 v4, 1, v24
	v_add3_u32 v22, v56, v53, v8
	;; [unrolled: 3-line block ×10, first 2 shown]
	ds_write_b16 v4, v71 offset:2048
	v_lshlrev_b32_e32 v4, 1, v13
	ds_write_b16 v4, v74 offset:2048
	v_lshlrev_b32_e32 v4, 1, v5
	ds_write_b16 v4, v77 offset:2048
	v_sub_u32_e32 v4, v1, v0
	v_lshl_add_u32 v6, s2, 8, v2
	v_mov_b32_e32 v7, 0
	v_lshl_add_u64 v[8:9], v[6:7], 2, s[94:95]
	v_or_b32_e32 v1, 2.0, v4
	s_mov_b64 s[0:1], 0
	s_brev_b32 s10, -4
	v_mov_b32_e32 v15, 0
	s_waitcnt lgkmcnt(0)
	s_barrier
	global_store_dword v[8:9], v1, off sc1
                                        ; implicit-def: $sgpr4_sgpr5
	s_branch .LBB63_266
.LBB63_264:                             ;   in Loop: Header=BB63_266 Depth=1
	s_or_b64 exec, exec, s[6:7]
.LBB63_265:                             ;   in Loop: Header=BB63_266 Depth=1
	s_or_b64 exec, exec, s[4:5]
	v_and_b32_e32 v6, 0x3fffffff, v1
	v_add_u32_e32 v15, v6, v15
	v_cmp_gt_i32_e64 s[4:5], -2.0, v1
	s_and_b64 s[6:7], exec, s[4:5]
	s_or_b64 s[0:1], s[6:7], s[0:1]
	s_andn2_b64 exec, exec, s[0:1]
	s_cbranch_execz .LBB63_271
.LBB63_266:                             ; =>This Loop Header: Depth=1
                                        ;     Child Loop BB63_269 Depth 2
	s_or_b64 s[4:5], s[4:5], exec
	s_cmp_eq_u32 s3, 0
	s_cbranch_scc1 .LBB63_270
; %bb.267:                              ;   in Loop: Header=BB63_266 Depth=1
	s_add_i32 s3, s3, -1
	v_lshl_add_u32 v6, s3, 8, v2
	v_lshl_add_u64 v[10:11], v[6:7], 2, s[94:95]
	global_load_dword v1, v[10:11], off sc1
	s_waitcnt vmcnt(0)
	v_cmp_gt_u32_e32 vcc, 2.0, v1
	s_and_saveexec_b64 s[4:5], vcc
	s_cbranch_execz .LBB63_265
; %bb.268:                              ;   in Loop: Header=BB63_266 Depth=1
	s_mov_b64 s[6:7], 0
.LBB63_269:                             ;   Parent Loop BB63_266 Depth=1
                                        ; =>  This Inner Loop Header: Depth=2
	global_load_dword v1, v[10:11], off sc1
	s_waitcnt vmcnt(0)
	v_cmp_lt_u32_e32 vcc, s10, v1
	s_or_b64 s[6:7], vcc, s[6:7]
	s_andn2_b64 exec, exec, s[6:7]
	s_cbranch_execnz .LBB63_269
	s_branch .LBB63_264
.LBB63_270:                             ;   in Loop: Header=BB63_266 Depth=1
                                        ; implicit-def: $sgpr3
	s_and_b64 s[6:7], exec, s[4:5]
	s_or_b64 s[0:1], s[6:7], s[0:1]
	s_andn2_b64 exec, exec, s[0:1]
	s_cbranch_execnz .LBB63_266
.LBB63_271:
	s_or_b64 exec, exec, s[0:1]
	v_add_u32_e32 v1, v15, v4
	v_or_b32_e32 v1, 0x80000000, v1
	v_lshlrev_b32_e32 v6, 3, v2
	global_store_dword v[8:9], v1, off sc1
	global_load_dwordx2 v[10:11], v6, s[84:85]
	v_sub_co_u32_e32 v32, vcc, v15, v0
	v_mad_i32_i24 v15, v2, -6, v6
	s_nop 0
	v_subb_co_u32_e64 v33, s[0:1], 0, 0, vcc
	v_mov_b32_e32 v1, 0
	v_lshlrev_b32_e32 v8, 1, v2
	v_mov_b32_e32 v9, v1
	v_or_b32_e32 v93, 0xc00, v2
	s_lshl_b64 s[0:1], s[92:93], 3
	s_add_u32 s0, s80, s0
	s_addc_u32 s1, s81, s1
	s_movk_i32 s3, 0x1000
	v_add_u32_e32 v94, 0xd00, v2
	v_lshlrev_b32_e32 v60, 1, v94
	v_mov_b32_e32 v61, v1
	v_add_u32_e32 v95, 0xe00, v2
	v_lshlrev_b32_e32 v76, 1, v95
	v_mov_b32_e32 v77, v1
	v_mov_b32_e32 v7, v1
	s_add_i32 s8, s8, -1
	s_cmp_lg_u32 s2, s8
	s_waitcnt vmcnt(0)
	v_lshl_add_u64 v[10:11], v[32:33], 0, v[10:11]
	ds_write_b64 v6, v[10:11]
	s_waitcnt lgkmcnt(0)
	s_barrier
	ds_read_u16 v10, v15 offset:2048
	ds_read_u16 v11, v15 offset:2560
	;; [unrolled: 1-line block ×16, first 2 shown]
	s_waitcnt lgkmcnt(14)
	v_lshrrev_b32_sdwa v36, s88, v10 dst_sel:DWORD dst_unused:UNUSED_PAD src0_sel:DWORD src1_sel:WORD_0
	v_xor_b32_e32 v53, 0x7fff, v10
	v_lshrrev_b32_sdwa v10, s88, v11 dst_sel:DWORD dst_unused:UNUSED_PAD src0_sel:DWORD src1_sel:WORD_0
	v_xor_b32_e32 v54, 0x7fff, v11
	s_waitcnt lgkmcnt(13)
	v_lshrrev_b32_sdwa v11, s88, v21 dst_sel:DWORD dst_unused:UNUSED_PAD src0_sel:DWORD src1_sel:WORD_0
	s_waitcnt lgkmcnt(12)
	v_lshrrev_b32_sdwa v37, s88, v26 dst_sel:DWORD dst_unused:UNUSED_PAD src0_sel:DWORD src1_sel:WORD_0
	;; [unrolled: 2-line block ×4, first 2 shown]
	v_xor_b32_e32 v55, 0x7fff, v32
	s_waitcnt lgkmcnt(9)
	v_lshrrev_b32_sdwa v32, s88, v33 dst_sel:DWORD dst_unused:UNUSED_PAD src0_sel:DWORD src1_sel:WORD_0
	v_xor_b32_e32 v56, 0x7fff, v33
	s_waitcnt lgkmcnt(8)
	v_lshrrev_b32_sdwa v33, s88, v35 dst_sel:DWORD dst_unused:UNUSED_PAD src0_sel:DWORD src1_sel:WORD_0
	s_waitcnt lgkmcnt(7)
	v_lshrrev_b32_sdwa v42, s88, v38 dst_sel:DWORD dst_unused:UNUSED_PAD src0_sel:DWORD src1_sel:WORD_0
	s_waitcnt lgkmcnt(6)
	v_lshrrev_b32_sdwa v43, s88, v48 dst_sel:DWORD dst_unused:UNUSED_PAD src0_sel:DWORD src1_sel:WORD_0
	v_and_b32_e32 v36, s9, v36
	v_and_b32_e32 v10, s9, v10
	;; [unrolled: 1-line block ×10, first 2 shown]
	v_lshlrev_b32_e32 v79, 3, v36
	v_lshlrev_b32_e32 v80, 3, v10
	;; [unrolled: 1-line block ×10, first 2 shown]
	ds_read_b64 v[10:11], v79
	ds_read_b64 v[32:33], v80
	;; [unrolled: 1-line block ×7, first 2 shown]
	ds_read_u16 v89, v15 offset:10240
	ds_read_u16 v15, v15 offset:10752
	s_waitcnt lgkmcnt(8)
	v_lshl_add_u64 v[10:11], v[10:11], 1, s[78:79]
	s_waitcnt lgkmcnt(7)
	v_lshl_add_u64 v[32:33], v[32:33], 1, s[78:79]
	;; [unrolled: 2-line block ×6, first 2 shown]
	v_lshl_add_u64 v[10:11], v[10:11], 0, v[8:9]
	v_xor_b32_e32 v21, 0x7fff, v21
	v_xor_b32_e32 v26, 0x7fff, v26
	;; [unrolled: 1-line block ×3, first 2 shown]
	v_lshl_add_u64 v[32:33], v[32:33], 0, v[8:9]
	v_lshl_add_u64 v[36:37], v[36:37], 0, v[8:9]
	;; [unrolled: 1-line block ×5, first 2 shown]
	global_store_short v[10:11], v53, off
	global_store_short v[32:33], v54, off offset:512
	global_store_short v[36:37], v21, off offset:1024
	;; [unrolled: 1-line block ×5, first 2 shown]
	ds_read_b64 v[10:11], v86
	ds_read_b64 v[32:33], v87
	;; [unrolled: 1-line block ×3, first 2 shown]
	s_waitcnt lgkmcnt(5)
	v_lshl_add_u64 v[40:41], v[46:47], 1, s[78:79]
	v_lshl_add_u64 v[40:41], v[40:41], 0, v[8:9]
	s_waitcnt lgkmcnt(2)
	v_lshl_add_u64 v[10:11], v[10:11], 1, s[78:79]
	v_xor_b32_e32 v21, 0x7fff, v35
	v_lshl_add_u64 v[8:9], v[10:11], 0, v[8:9]
	global_store_short v[40:41], v56, off offset:3072
	global_store_short v[8:9], v21, off offset:3584
	v_or_b32_e32 v21, 0x800, v2
	s_waitcnt lgkmcnt(1)
	v_lshl_add_u64 v[8:9], v[32:33], 1, s[78:79]
	v_lshlrev_b32_e32 v10, 1, v21
	v_mov_b32_e32 v11, v1
	v_xor_b32_e32 v26, 0x7fff, v38
	v_lshl_add_u64 v[8:9], v[8:9], 0, v[10:11]
	global_store_short v[8:9], v26, off
	v_add_u32_e32 v26, 0x900, v2
	s_waitcnt lgkmcnt(0)
	v_lshl_add_u64 v[8:9], v[36:37], 1, s[78:79]
	v_lshlrev_b32_e32 v10, 1, v26
	v_xor_b32_e32 v31, 0x7fff, v48
	v_lshl_add_u64 v[8:9], v[8:9], 0, v[10:11]
	global_store_short v[8:9], v31, off
	v_lshrrev_b32_sdwa v8, s88, v49 dst_sel:DWORD dst_unused:UNUSED_PAD src0_sel:DWORD src1_sel:WORD_0
	v_and_b32_e32 v8, s9, v8
	v_lshlrev_b32_e32 v38, 3, v8
	v_lshrrev_b32_sdwa v10, s88, v50 dst_sel:DWORD dst_unused:UNUSED_PAD src0_sel:DWORD src1_sel:WORD_0
	ds_read_b64 v[8:9], v38
	v_and_b32_e32 v10, s9, v10
	v_lshlrev_b32_e32 v90, 3, v10
	v_lshrrev_b32_sdwa v10, s88, v51 dst_sel:DWORD dst_unused:UNUSED_PAD src0_sel:DWORD src1_sel:WORD_0
	v_and_b32_e32 v10, s9, v10
	v_lshlrev_b32_e32 v91, 3, v10
	v_lshrrev_b32_sdwa v10, s88, v52 dst_sel:DWORD dst_unused:UNUSED_PAD src0_sel:DWORD src1_sel:WORD_0
	v_add_u32_e32 v31, 0xa00, v2
	v_and_b32_e32 v10, s9, v10
	v_lshlrev_b32_e32 v92, 3, v10
	ds_read_b64 v[10:11], v90
	ds_read_b64 v[32:33], v91
	;; [unrolled: 1-line block ×3, first 2 shown]
	s_waitcnt lgkmcnt(3)
	v_lshl_add_u64 v[8:9], v[8:9], 1, s[78:79]
	v_lshlrev_b32_e32 v40, 1, v31
	v_mov_b32_e32 v41, v1
	v_xor_b32_e32 v35, 0x7fff, v49
	v_lshl_add_u64 v[8:9], v[8:9], 0, v[40:41]
	global_store_short v[8:9], v35, off
	v_add_u32_e32 v35, 0xb00, v2
	s_waitcnt lgkmcnt(2)
	v_lshl_add_u64 v[8:9], v[10:11], 1, s[78:79]
	v_lshlrev_b32_e32 v10, 1, v35
	v_mov_b32_e32 v11, v1
	v_xor_b32_e32 v40, 0x7fff, v50
	v_lshl_add_u64 v[8:9], v[8:9], 0, v[10:11]
	global_store_short v[8:9], v40, off
	s_waitcnt lgkmcnt(1)
	v_lshl_add_u64 v[8:9], v[32:33], 1, s[78:79]
	v_lshlrev_b32_e32 v10, 1, v93
	v_xor_b32_e32 v40, 0x7fff, v51
	v_lshl_add_u64 v[8:9], v[8:9], 0, v[10:11]
	global_store_short v[8:9], v40, off
	v_lshlrev_b32_e32 v8, 3, v12
	v_mov_b32_e32 v9, v1
	v_lshl_add_u64 v[8:9], s[0:1], 0, v[8:9]
	v_lshlrev_b32_e32 v10, 3, v3
	v_lshl_add_u64 v[8:9], v[8:9], 0, v[10:11]
	s_movk_i32 s0, 0x2000
	v_xor_b32_e32 v66, 0x7fff, v52
	v_add_co_u32_e32 v52, vcc, s0, v8
	global_load_dwordx2 v[10:11], v[8:9], off
	global_load_dwordx2 v[32:33], v[8:9], off offset:512
	global_load_dwordx2 v[40:41], v[8:9], off offset:1024
	;; [unrolled: 1-line block ×7, first 2 shown]
	v_addc_co_u32_e32 v53, vcc, 0, v9, vcc
	v_add_co_u32_e32 v8, vcc, s3, v8
	global_load_dwordx2 v[54:55], v[52:53], off offset:-4096
	s_nop 0
	v_addc_co_u32_e32 v9, vcc, 0, v9, vcc
	global_load_dwordx2 v[56:57], v[8:9], off offset:512
	global_load_dwordx2 v[58:59], v[8:9], off offset:1024
	;; [unrolled: 1-line block ×4, first 2 shown]
	s_waitcnt lgkmcnt(0)
	v_lshl_add_u64 v[36:37], v[36:37], 1, s[78:79]
	v_lshl_add_u64 v[36:37], v[36:37], 0, v[60:61]
	global_load_dwordx2 v[60:61], v[8:9], off offset:2560
	v_lshrrev_b32_sdwa v3, s88, v68 dst_sel:DWORD dst_unused:UNUSED_PAD src0_sel:DWORD src1_sel:WORD_0
	global_store_short v[36:37], v66, off
	global_load_dwordx2 v[36:37], v[8:9], off offset:3072
	v_and_b32_e32 v3, s9, v3
	global_load_dwordx2 v[8:9], v[8:9], off offset:3584
	v_lshlrev_b32_e32 v96, 3, v3
	global_load_dwordx2 v[66:67], v[52:53], off
	v_lshrrev_b32_sdwa v3, s88, v78 dst_sel:DWORD dst_unused:UNUSED_PAD src0_sel:DWORD src1_sel:WORD_0
	global_load_dwordx2 v[52:53], v[52:53], off offset:512
	v_and_b32_e32 v3, s9, v3
	v_xor_b32_e32 v12, 0x7fff, v68
	ds_read_b64 v[68:69], v96
	v_lshlrev_b32_e32 v97, 3, v3
	v_lshrrev_b32_sdwa v3, s88, v89 dst_sel:DWORD dst_unused:UNUSED_PAD src0_sel:DWORD src1_sel:WORD_0
	v_and_b32_e32 v3, s9, v3
	v_lshlrev_b32_e32 v98, 3, v3
	v_lshrrev_b32_sdwa v3, s88, v15 dst_sel:DWORD dst_unused:UNUSED_PAD src0_sel:DWORD src1_sel:WORD_0
	v_and_b32_e32 v3, s9, v3
	v_lshlrev_b32_e32 v99, 3, v3
	ds_read_b64 v[70:71], v97
	ds_read_b64 v[72:73], v98
	;; [unrolled: 1-line block ×3, first 2 shown]
	s_waitcnt lgkmcnt(3)
	v_lshl_add_u64 v[68:69], v[68:69], 1, s[78:79]
	v_lshl_add_u64 v[68:69], v[68:69], 0, v[76:77]
	v_add_u32_e32 v76, 0xf00, v2
	global_store_short v[68:69], v12, off
	s_waitcnt lgkmcnt(2)
	v_lshl_add_u64 v[68:69], v[70:71], 1, s[78:79]
	v_lshlrev_b32_e32 v70, 1, v76
	v_mov_b32_e32 v71, v1
	v_xor_b32_e32 v3, 0x7fff, v78
	v_lshl_add_u64 v[68:69], v[68:69], 0, v[70:71]
	v_or_b32_e32 v77, 0x1000, v2
	global_store_short v[68:69], v3, off
	s_waitcnt lgkmcnt(1)
	v_lshl_add_u64 v[68:69], v[72:73], 1, s[78:79]
	v_lshlrev_b32_e32 v70, 1, v77
	v_xor_b32_e32 v3, 0x7fff, v89
	v_lshl_add_u64 v[68:69], v[68:69], 0, v[70:71]
	v_add_u32_e32 v70, 0x1100, v2
	global_store_short v[68:69], v3, off
	s_waitcnt lgkmcnt(0)
	v_lshl_add_u64 v[2:3], v[74:75], 1, s[78:79]
	v_lshlrev_b32_e32 v68, 1, v70
	v_mov_b32_e32 v69, v1
	v_xor_b32_e32 v12, 0x7fff, v15
	v_lshl_add_u64 v[2:3], v[2:3], 0, v[68:69]
	global_store_short v[2:3], v12, off
	v_lshlrev_b32_e32 v2, 3, v39
	s_barrier
	s_waitcnt vmcnt(22)
	ds_write_b64 v2, v[10:11] offset:2048
	v_lshlrev_b32_e32 v2, 3, v34
	s_waitcnt vmcnt(21)
	ds_write_b64 v2, v[32:33] offset:2048
	v_lshlrev_b32_e32 v2, 3, v30
	;; [unrolled: 3-line block ×17, first 2 shown]
	s_waitcnt vmcnt(4)
	ds_write_b64 v2, v[52:53] offset:2048
	s_waitcnt lgkmcnt(0)
	s_barrier
	ds_read_b64 v[2:3], v79
	ds_read2st64_b64 v[8:11], v6 offset0:4 offset1:8
	ds_read_b64 v[12:13], v80
	ds_read_b64 v[14:15], v81
	;; [unrolled: 1-line block ×3, first 2 shown]
	s_waitcnt lgkmcnt(4)
	v_lshl_add_u64 v[2:3], v[2:3], 3, s[82:83]
	v_lshl_add_u64 v[2:3], v[2:3], 0, v[6:7]
	s_waitcnt lgkmcnt(3)
	global_store_dwordx2 v[2:3], v[8:9], off
	s_waitcnt lgkmcnt(2)
	v_lshl_add_u64 v[2:3], v[12:13], 3, s[82:83]
	v_lshl_add_u64 v[2:3], v[2:3], 0, v[6:7]
	global_store_dwordx2 v[2:3], v[10:11], off offset:2048
	ds_read2st64_b64 v[8:11], v6 offset0:12 offset1:16
	s_waitcnt lgkmcnt(2)
	v_lshl_add_u64 v[2:3], v[14:15], 3, s[82:83]
	v_add_u32_e32 v12, 0x1000, v6
	v_mov_b32_e32 v13, v1
	v_lshl_add_u64 v[2:3], v[2:3], 0, v[12:13]
	s_waitcnt lgkmcnt(0)
	global_store_dwordx2 v[2:3], v[8:9], off
	v_lshl_add_u64 v[2:3], v[16:17], 3, s[82:83]
	v_add_u32_e32 v8, 0x1800, v6
	v_mov_b32_e32 v9, v1
	v_lshl_add_u64 v[2:3], v[2:3], 0, v[8:9]
	global_store_dwordx2 v[2:3], v[10:11], off
	ds_read_b64 v[2:3], v83
	ds_read2st64_b64 v[8:11], v6 offset0:20 offset1:24
	ds_read_b64 v[12:13], v84
	ds_read_b64 v[14:15], v85
	;; [unrolled: 1-line block ×3, first 2 shown]
	s_waitcnt lgkmcnt(4)
	v_lshl_add_u64 v[2:3], v[2:3], 3, s[82:83]
	v_or_b32_e32 v18, 0x2000, v6
	v_mov_b32_e32 v19, v1
	v_lshl_add_u64 v[2:3], v[2:3], 0, v[18:19]
	s_waitcnt lgkmcnt(3)
	global_store_dwordx2 v[2:3], v[8:9], off
	s_waitcnt lgkmcnt(2)
	v_lshl_add_u64 v[2:3], v[12:13], 3, s[82:83]
	v_add_u32_e32 v8, 0x2800, v6
	v_mov_b32_e32 v9, v1
	v_lshl_add_u64 v[2:3], v[2:3], 0, v[8:9]
	global_store_dwordx2 v[2:3], v[10:11], off
	ds_read2st64_b64 v[8:11], v6 offset0:28 offset1:32
	s_waitcnt lgkmcnt(2)
	v_lshl_add_u64 v[2:3], v[14:15], 3, s[82:83]
	v_add_u32_e32 v12, 0x3000, v6
	v_mov_b32_e32 v13, v1
	v_lshl_add_u64 v[2:3], v[2:3], 0, v[12:13]
	s_waitcnt lgkmcnt(0)
	global_store_dwordx2 v[2:3], v[8:9], off
	v_lshl_add_u64 v[2:3], v[16:17], 3, s[82:83]
	v_add_u32_e32 v8, 0x3800, v6
	v_mov_b32_e32 v9, v1
	v_lshl_add_u64 v[2:3], v[2:3], 0, v[8:9]
	global_store_dwordx2 v[2:3], v[10:11], off
	ds_read_b64 v[2:3], v87
	ds_read2st64_b64 v[8:11], v6 offset0:36 offset1:40
	ds_read_b64 v[12:13], v88
	ds_read_b64 v[14:15], v38
	ds_read_b64 v[16:17], v90
	s_waitcnt lgkmcnt(4)
	v_lshl_add_u64 v[2:3], v[2:3], 3, s[82:83]
	v_lshlrev_b32_e32 v18, 3, v21
	v_lshl_add_u64 v[2:3], v[2:3], 0, v[18:19]
	s_waitcnt lgkmcnt(3)
	global_store_dwordx2 v[2:3], v[8:9], off
	s_waitcnt lgkmcnt(2)
	v_lshl_add_u64 v[2:3], v[12:13], 3, s[82:83]
	v_lshlrev_b32_e32 v8, 3, v26
	v_mov_b32_e32 v9, v1
	v_lshl_add_u64 v[2:3], v[2:3], 0, v[8:9]
	global_store_dwordx2 v[2:3], v[10:11], off
	ds_read2st64_b64 v[8:11], v6 offset0:44 offset1:48
	s_waitcnt lgkmcnt(2)
	v_lshl_add_u64 v[2:3], v[14:15], 3, s[82:83]
	v_lshlrev_b32_e32 v12, 3, v31
	v_mov_b32_e32 v13, v1
	v_lshl_add_u64 v[2:3], v[2:3], 0, v[12:13]
	s_waitcnt lgkmcnt(0)
	global_store_dwordx2 v[2:3], v[8:9], off
	v_lshl_add_u64 v[2:3], v[16:17], 3, s[82:83]
	v_lshlrev_b32_e32 v8, 3, v35
	v_mov_b32_e32 v9, v1
	v_lshl_add_u64 v[2:3], v[2:3], 0, v[8:9]
	global_store_dwordx2 v[2:3], v[10:11], off
	ds_read_b64 v[2:3], v91
	ds_read2st64_b64 v[8:11], v6 offset0:52 offset1:56
	ds_read_b64 v[12:13], v92
	ds_read_b64 v[14:15], v96
	;; [unrolled: 1-line block ×3, first 2 shown]
	s_waitcnt lgkmcnt(4)
	v_lshl_add_u64 v[2:3], v[2:3], 3, s[82:83]
	v_lshlrev_b32_e32 v18, 3, v93
	v_lshl_add_u64 v[2:3], v[2:3], 0, v[18:19]
	s_waitcnt lgkmcnt(3)
	global_store_dwordx2 v[2:3], v[8:9], off
	s_waitcnt lgkmcnt(2)
	v_lshl_add_u64 v[2:3], v[12:13], 3, s[82:83]
	v_lshlrev_b32_e32 v8, 3, v94
	v_mov_b32_e32 v9, v1
	v_lshl_add_u64 v[2:3], v[2:3], 0, v[8:9]
	global_store_dwordx2 v[2:3], v[10:11], off
	ds_read2st64_b64 v[8:11], v6 offset0:60 offset1:64
	s_waitcnt lgkmcnt(2)
	v_lshl_add_u64 v[2:3], v[14:15], 3, s[82:83]
	v_lshlrev_b32_e32 v12, 3, v95
	v_mov_b32_e32 v13, v1
	v_lshl_add_u64 v[2:3], v[2:3], 0, v[12:13]
	s_waitcnt lgkmcnt(0)
	global_store_dwordx2 v[2:3], v[8:9], off
	v_lshl_add_u64 v[2:3], v[16:17], 3, s[82:83]
	v_lshlrev_b32_e32 v8, 3, v76
	v_mov_b32_e32 v9, v1
	ds_read_b64 v[12:13], v98
	v_lshl_add_u64 v[2:3], v[2:3], 0, v[8:9]
	global_store_dwordx2 v[2:3], v[10:11], off
	ds_read2st64_b64 v[8:11], v6 offset0:68 offset1:72
	ds_read_b64 v[2:3], v99
	v_lshlrev_b32_e32 v14, 3, v77
	s_waitcnt lgkmcnt(2)
	v_lshl_add_u64 v[12:13], v[12:13], 3, s[82:83]
	v_mov_b32_e32 v15, v1
	v_lshl_add_u64 v[12:13], v[12:13], 0, v[14:15]
	s_waitcnt lgkmcnt(1)
	global_store_dwordx2 v[12:13], v[8:9], off
	s_waitcnt lgkmcnt(0)
	v_lshl_add_u64 v[2:3], v[2:3], 3, s[82:83]
	v_lshlrev_b32_e32 v8, 3, v70
	v_mov_b32_e32 v9, v1
	v_lshl_add_u64 v[2:3], v[2:3], 0, v[8:9]
	global_store_dwordx2 v[2:3], v[10:11], off
	s_cbranch_scc1 .LBB63_273
; %bb.272:
	ds_read_b64 v[2:3], v6
	v_mov_b32_e32 v5, v1
	v_lshl_add_u64 v[0:1], v[4:5], 0, v[0:1]
	s_waitcnt lgkmcnt(0)
	v_lshl_add_u64 v[0:1], v[0:1], 0, v[2:3]
	global_store_dwordx2 v6, v[0:1], s[86:87]
.LBB63_273:
	s_endpgm
.LBB63_274:
	s_or_b64 exec, exec, s[4:5]
	s_and_saveexec_b64 s[4:5], s[40:41]
	s_cbranch_execz .LBB63_199
.LBB63_275:
	v_lshlrev_b32_e32 v2, 3, v56
	ds_read_b64 v[28:29], v2
	ds_read_b64 v[30:31], v8 offset:4096
	v_mov_b32_e32 v9, 0
	s_waitcnt lgkmcnt(1)
	v_lshl_add_u64 v[28:29], v[28:29], 3, s[82:83]
	v_lshl_add_u64 v[28:29], v[28:29], 0, v[8:9]
	s_waitcnt lgkmcnt(0)
	global_store_dwordx2 v[28:29], v[30:31], off offset:2048
	s_or_b64 exec, exec, s[4:5]
	s_and_saveexec_b64 s[4:5], s[42:43]
	s_cbranch_execnz .LBB63_200
.LBB63_276:
	s_or_b64 exec, exec, s[4:5]
	s_and_saveexec_b64 s[4:5], s[44:45]
	s_cbranch_execz .LBB63_201
.LBB63_277:
	v_lshlrev_b32_e32 v2, 3, v54
	ds_read_b64 v[28:29], v2
	ds_read_b64 v[30:31], v8 offset:8192
	v_lshlrev_b32_e32 v12, 3, v13
	v_mov_b32_e32 v13, 0
	s_waitcnt lgkmcnt(1)
	v_lshl_add_u64 v[28:29], v[28:29], 3, s[82:83]
	v_lshl_add_u64 v[12:13], v[28:29], 0, v[12:13]
	s_waitcnt lgkmcnt(0)
	global_store_dwordx2 v[12:13], v[30:31], off
	s_or_b64 exec, exec, s[4:5]
	s_and_saveexec_b64 s[4:5], s[46:47]
	s_cbranch_execnz .LBB63_202
.LBB63_278:
	s_or_b64 exec, exec, s[4:5]
	s_and_saveexec_b64 s[4:5], s[48:49]
	s_cbranch_execz .LBB63_203
.LBB63_279:
	v_lshlrev_b32_e32 v2, 3, v52
	ds_read_b64 v[12:13], v2
	ds_read_b64 v[28:29], v8 offset:12288
	v_lshlrev_b32_e32 v30, 3, v16
	v_mov_b32_e32 v31, 0
	s_waitcnt lgkmcnt(1)
	v_lshl_add_u64 v[12:13], v[12:13], 3, s[82:83]
	v_lshl_add_u64 v[12:13], v[12:13], 0, v[30:31]
	s_waitcnt lgkmcnt(0)
	global_store_dwordx2 v[12:13], v[28:29], off
	s_or_b64 exec, exec, s[4:5]
	s_and_saveexec_b64 s[4:5], s[50:51]
	s_cbranch_execnz .LBB63_204
.LBB63_280:
	s_or_b64 exec, exec, s[4:5]
	s_and_saveexec_b64 s[4:5], s[52:53]
	s_cbranch_execz .LBB63_205
.LBB63_281:
	v_lshlrev_b32_e32 v2, 3, v50
	ds_read_b64 v[12:13], v2
	ds_read_b64 v[16:17], v8 offset:16384
	v_lshlrev_b32_e32 v18, 3, v18
	v_mov_b32_e32 v19, 0
	s_waitcnt lgkmcnt(1)
	v_lshl_add_u64 v[12:13], v[12:13], 3, s[82:83]
	v_lshl_add_u64 v[12:13], v[12:13], 0, v[18:19]
	s_waitcnt lgkmcnt(0)
	global_store_dwordx2 v[12:13], v[16:17], off
	s_or_b64 exec, exec, s[4:5]
	s_and_saveexec_b64 s[4:5], s[54:55]
	s_cbranch_execnz .LBB63_206
.LBB63_282:
	s_or_b64 exec, exec, s[4:5]
	s_and_saveexec_b64 s[4:5], s[56:57]
	s_cbranch_execz .LBB63_207
.LBB63_283:
	v_lshlrev_b32_e32 v2, 3, v47
	ds_read_b64 v[12:13], v2
	ds_read_b64 v[16:17], v8 offset:20480
	v_lshlrev_b32_e32 v18, 3, v21
	v_mov_b32_e32 v19, 0
	s_waitcnt lgkmcnt(1)
	v_lshl_add_u64 v[12:13], v[12:13], 3, s[82:83]
	v_lshl_add_u64 v[12:13], v[12:13], 0, v[18:19]
	s_waitcnt lgkmcnt(0)
	global_store_dwordx2 v[12:13], v[16:17], off
	s_or_b64 exec, exec, s[4:5]
	s_and_saveexec_b64 s[4:5], s[58:59]
	s_cbranch_execnz .LBB63_208
.LBB63_284:
	s_or_b64 exec, exec, s[4:5]
	s_and_saveexec_b64 s[4:5], s[60:61]
	s_cbranch_execz .LBB63_209
.LBB63_285:
	v_lshlrev_b32_e32 v2, 3, v44
	ds_read_b64 v[12:13], v2
	ds_read_b64 v[16:17], v8 offset:24576
	v_lshlrev_b32_e32 v18, 3, v23
	v_mov_b32_e32 v19, 0
	s_waitcnt lgkmcnt(1)
	v_lshl_add_u64 v[12:13], v[12:13], 3, s[82:83]
	v_lshl_add_u64 v[12:13], v[12:13], 0, v[18:19]
	s_waitcnt lgkmcnt(0)
	global_store_dwordx2 v[12:13], v[16:17], off
	s_or_b64 exec, exec, s[4:5]
	s_and_saveexec_b64 s[4:5], s[62:63]
	s_cbranch_execnz .LBB63_210
.LBB63_286:
	s_or_b64 exec, exec, s[4:5]
	s_and_saveexec_b64 s[4:5], s[64:65]
	s_cbranch_execz .LBB63_211
.LBB63_287:
	v_lshlrev_b32_e32 v2, 3, v11
	ds_read_b64 v[12:13], v2
	ds_read_b64 v[16:17], v8 offset:28672
	v_lshlrev_b32_e32 v18, 3, v25
	v_mov_b32_e32 v19, 0
	s_waitcnt lgkmcnt(1)
	v_lshl_add_u64 v[12:13], v[12:13], 3, s[82:83]
	v_lshl_add_u64 v[12:13], v[12:13], 0, v[18:19]
	s_waitcnt lgkmcnt(0)
	global_store_dwordx2 v[12:13], v[16:17], off
	s_or_b64 exec, exec, s[4:5]
	s_and_saveexec_b64 s[4:5], s[66:67]
	s_cbranch_execnz .LBB63_212
.LBB63_288:
	s_or_b64 exec, exec, s[4:5]
	s_and_saveexec_b64 s[4:5], s[68:69]
	s_cbranch_execz .LBB63_213
.LBB63_289:
	v_lshlrev_b32_e32 v2, 3, v10
	ds_read_b64 v[10:11], v2
	ds_read_b64 v[12:13], v8 offset:32768
	v_lshlrev_b32_e32 v16, 3, v27
	v_mov_b32_e32 v17, 0
	s_waitcnt lgkmcnt(1)
	v_lshl_add_u64 v[10:11], v[10:11], 3, s[82:83]
	v_lshl_add_u64 v[10:11], v[10:11], 0, v[16:17]
	s_waitcnt lgkmcnt(0)
	global_store_dwordx2 v[10:11], v[12:13], off
	s_or_b64 exec, exec, s[4:5]
	s_and_saveexec_b64 s[4:5], s[70:71]
	s_cbranch_execnz .LBB63_214
.LBB63_290:
	s_or_b64 exec, exec, s[4:5]
	s_and_saveexec_b64 s[4:5], s[72:73]
	s_cbranch_execz .LBB63_215
.LBB63_291:
	v_lshlrev_b32_e32 v2, 3, v3
	ds_read_b64 v[2:3], v2
	ds_read_b64 v[10:11], v8 offset:36864
	v_lshlrev_b32_e32 v12, 3, v43
	v_mov_b32_e32 v13, 0
	s_waitcnt lgkmcnt(1)
	v_lshl_add_u64 v[2:3], v[2:3], 3, s[82:83]
	v_lshl_add_u64 v[2:3], v[2:3], 0, v[12:13]
	s_waitcnt lgkmcnt(0)
	global_store_dwordx2 v[2:3], v[10:11], off
	s_or_b64 exec, exec, s[4:5]
	s_add_i32 s33, s33, -1
	s_cmp_eq_u32 s2, s33
	s_cbranch_scc1 .LBB63_216
	s_branch .LBB63_217
	.section	.rodata,"a",@progbits
	.p2align	6, 0x0
	.amdhsa_kernel _ZN7rocprim17ROCPRIM_304000_NS6detail25onesweep_iteration_kernelINS1_34wrapped_radix_sort_onesweep_configINS0_14default_configEsN2at4cuda3cub6detail10OpaqueTypeILi8EEEEELb1EPsSC_PSA_SD_mNS0_19identity_decomposerEEEvT1_T2_T3_T4_jPT5_SK_PNS1_23onesweep_lookback_stateET6_jjj
		.amdhsa_group_segment_fixed_size 38912
		.amdhsa_private_segment_fixed_size 0
		.amdhsa_kernarg_size 336
		.amdhsa_user_sgpr_count 2
		.amdhsa_user_sgpr_dispatch_ptr 0
		.amdhsa_user_sgpr_queue_ptr 0
		.amdhsa_user_sgpr_kernarg_segment_ptr 1
		.amdhsa_user_sgpr_dispatch_id 0
		.amdhsa_user_sgpr_kernarg_preload_length 0
		.amdhsa_user_sgpr_kernarg_preload_offset 0
		.amdhsa_user_sgpr_private_segment_size 0
		.amdhsa_uses_dynamic_stack 0
		.amdhsa_enable_private_segment 0
		.amdhsa_system_sgpr_workgroup_id_x 1
		.amdhsa_system_sgpr_workgroup_id_y 0
		.amdhsa_system_sgpr_workgroup_id_z 0
		.amdhsa_system_sgpr_workgroup_info 0
		.amdhsa_system_vgpr_workitem_id 2
		.amdhsa_next_free_vgpr 100
		.amdhsa_next_free_sgpr 97
		.amdhsa_accum_offset 100
		.amdhsa_reserve_vcc 1
		.amdhsa_float_round_mode_32 0
		.amdhsa_float_round_mode_16_64 0
		.amdhsa_float_denorm_mode_32 3
		.amdhsa_float_denorm_mode_16_64 3
		.amdhsa_dx10_clamp 1
		.amdhsa_ieee_mode 1
		.amdhsa_fp16_overflow 0
		.amdhsa_tg_split 0
		.amdhsa_exception_fp_ieee_invalid_op 0
		.amdhsa_exception_fp_denorm_src 0
		.amdhsa_exception_fp_ieee_div_zero 0
		.amdhsa_exception_fp_ieee_overflow 0
		.amdhsa_exception_fp_ieee_underflow 0
		.amdhsa_exception_fp_ieee_inexact 0
		.amdhsa_exception_int_div_zero 0
	.end_amdhsa_kernel
	.section	.text._ZN7rocprim17ROCPRIM_304000_NS6detail25onesweep_iteration_kernelINS1_34wrapped_radix_sort_onesweep_configINS0_14default_configEsN2at4cuda3cub6detail10OpaqueTypeILi8EEEEELb1EPsSC_PSA_SD_mNS0_19identity_decomposerEEEvT1_T2_T3_T4_jPT5_SK_PNS1_23onesweep_lookback_stateET6_jjj,"axG",@progbits,_ZN7rocprim17ROCPRIM_304000_NS6detail25onesweep_iteration_kernelINS1_34wrapped_radix_sort_onesweep_configINS0_14default_configEsN2at4cuda3cub6detail10OpaqueTypeILi8EEEEELb1EPsSC_PSA_SD_mNS0_19identity_decomposerEEEvT1_T2_T3_T4_jPT5_SK_PNS1_23onesweep_lookback_stateET6_jjj,comdat
.Lfunc_end63:
	.size	_ZN7rocprim17ROCPRIM_304000_NS6detail25onesweep_iteration_kernelINS1_34wrapped_radix_sort_onesweep_configINS0_14default_configEsN2at4cuda3cub6detail10OpaqueTypeILi8EEEEELb1EPsSC_PSA_SD_mNS0_19identity_decomposerEEEvT1_T2_T3_T4_jPT5_SK_PNS1_23onesweep_lookback_stateET6_jjj, .Lfunc_end63-_ZN7rocprim17ROCPRIM_304000_NS6detail25onesweep_iteration_kernelINS1_34wrapped_radix_sort_onesweep_configINS0_14default_configEsN2at4cuda3cub6detail10OpaqueTypeILi8EEEEELb1EPsSC_PSA_SD_mNS0_19identity_decomposerEEEvT1_T2_T3_T4_jPT5_SK_PNS1_23onesweep_lookback_stateET6_jjj
                                        ; -- End function
	.set _ZN7rocprim17ROCPRIM_304000_NS6detail25onesweep_iteration_kernelINS1_34wrapped_radix_sort_onesweep_configINS0_14default_configEsN2at4cuda3cub6detail10OpaqueTypeILi8EEEEELb1EPsSC_PSA_SD_mNS0_19identity_decomposerEEEvT1_T2_T3_T4_jPT5_SK_PNS1_23onesweep_lookback_stateET6_jjj.num_vgpr, 100
	.set _ZN7rocprim17ROCPRIM_304000_NS6detail25onesweep_iteration_kernelINS1_34wrapped_radix_sort_onesweep_configINS0_14default_configEsN2at4cuda3cub6detail10OpaqueTypeILi8EEEEELb1EPsSC_PSA_SD_mNS0_19identity_decomposerEEEvT1_T2_T3_T4_jPT5_SK_PNS1_23onesweep_lookback_stateET6_jjj.num_agpr, 0
	.set _ZN7rocprim17ROCPRIM_304000_NS6detail25onesweep_iteration_kernelINS1_34wrapped_radix_sort_onesweep_configINS0_14default_configEsN2at4cuda3cub6detail10OpaqueTypeILi8EEEEELb1EPsSC_PSA_SD_mNS0_19identity_decomposerEEEvT1_T2_T3_T4_jPT5_SK_PNS1_23onesweep_lookback_stateET6_jjj.numbered_sgpr, 97
	.set _ZN7rocprim17ROCPRIM_304000_NS6detail25onesweep_iteration_kernelINS1_34wrapped_radix_sort_onesweep_configINS0_14default_configEsN2at4cuda3cub6detail10OpaqueTypeILi8EEEEELb1EPsSC_PSA_SD_mNS0_19identity_decomposerEEEvT1_T2_T3_T4_jPT5_SK_PNS1_23onesweep_lookback_stateET6_jjj.num_named_barrier, 0
	.set _ZN7rocprim17ROCPRIM_304000_NS6detail25onesweep_iteration_kernelINS1_34wrapped_radix_sort_onesweep_configINS0_14default_configEsN2at4cuda3cub6detail10OpaqueTypeILi8EEEEELb1EPsSC_PSA_SD_mNS0_19identity_decomposerEEEvT1_T2_T3_T4_jPT5_SK_PNS1_23onesweep_lookback_stateET6_jjj.private_seg_size, 0
	.set _ZN7rocprim17ROCPRIM_304000_NS6detail25onesweep_iteration_kernelINS1_34wrapped_radix_sort_onesweep_configINS0_14default_configEsN2at4cuda3cub6detail10OpaqueTypeILi8EEEEELb1EPsSC_PSA_SD_mNS0_19identity_decomposerEEEvT1_T2_T3_T4_jPT5_SK_PNS1_23onesweep_lookback_stateET6_jjj.uses_vcc, 1
	.set _ZN7rocprim17ROCPRIM_304000_NS6detail25onesweep_iteration_kernelINS1_34wrapped_radix_sort_onesweep_configINS0_14default_configEsN2at4cuda3cub6detail10OpaqueTypeILi8EEEEELb1EPsSC_PSA_SD_mNS0_19identity_decomposerEEEvT1_T2_T3_T4_jPT5_SK_PNS1_23onesweep_lookback_stateET6_jjj.uses_flat_scratch, 0
	.set _ZN7rocprim17ROCPRIM_304000_NS6detail25onesweep_iteration_kernelINS1_34wrapped_radix_sort_onesweep_configINS0_14default_configEsN2at4cuda3cub6detail10OpaqueTypeILi8EEEEELb1EPsSC_PSA_SD_mNS0_19identity_decomposerEEEvT1_T2_T3_T4_jPT5_SK_PNS1_23onesweep_lookback_stateET6_jjj.has_dyn_sized_stack, 0
	.set _ZN7rocprim17ROCPRIM_304000_NS6detail25onesweep_iteration_kernelINS1_34wrapped_radix_sort_onesweep_configINS0_14default_configEsN2at4cuda3cub6detail10OpaqueTypeILi8EEEEELb1EPsSC_PSA_SD_mNS0_19identity_decomposerEEEvT1_T2_T3_T4_jPT5_SK_PNS1_23onesweep_lookback_stateET6_jjj.has_recursion, 0
	.set _ZN7rocprim17ROCPRIM_304000_NS6detail25onesweep_iteration_kernelINS1_34wrapped_radix_sort_onesweep_configINS0_14default_configEsN2at4cuda3cub6detail10OpaqueTypeILi8EEEEELb1EPsSC_PSA_SD_mNS0_19identity_decomposerEEEvT1_T2_T3_T4_jPT5_SK_PNS1_23onesweep_lookback_stateET6_jjj.has_indirect_call, 0
	.section	.AMDGPU.csdata,"",@progbits
; Kernel info:
; codeLenInByte = 27716
; TotalNumSgprs: 103
; NumVgprs: 100
; NumAgprs: 0
; TotalNumVgprs: 100
; ScratchSize: 0
; MemoryBound: 0
; FloatMode: 240
; IeeeMode: 1
; LDSByteSize: 38912 bytes/workgroup (compile time only)
; SGPRBlocks: 12
; VGPRBlocks: 12
; NumSGPRsForWavesPerEU: 103
; NumVGPRsForWavesPerEU: 100
; AccumOffset: 100
; Occupancy: 4
; WaveLimiterHint : 1
; COMPUTE_PGM_RSRC2:SCRATCH_EN: 0
; COMPUTE_PGM_RSRC2:USER_SGPR: 2
; COMPUTE_PGM_RSRC2:TRAP_HANDLER: 0
; COMPUTE_PGM_RSRC2:TGID_X_EN: 1
; COMPUTE_PGM_RSRC2:TGID_Y_EN: 0
; COMPUTE_PGM_RSRC2:TGID_Z_EN: 0
; COMPUTE_PGM_RSRC2:TIDIG_COMP_CNT: 2
; COMPUTE_PGM_RSRC3_GFX90A:ACCUM_OFFSET: 24
; COMPUTE_PGM_RSRC3_GFX90A:TG_SPLIT: 0
	.section	.text._ZN7rocprim17ROCPRIM_304000_NS6detail28radix_sort_block_sort_kernelINS1_36wrapped_radix_sort_block_sort_configINS0_13kernel_configILj256ELj4ELj4294967295EEEsN2at4cuda3cub6detail10OpaqueTypeILi8EEEEELb0EPKsPsPKSB_PSB_NS0_19identity_decomposerEEEvT1_T2_T3_T4_jT5_jj,"axG",@progbits,_ZN7rocprim17ROCPRIM_304000_NS6detail28radix_sort_block_sort_kernelINS1_36wrapped_radix_sort_block_sort_configINS0_13kernel_configILj256ELj4ELj4294967295EEEsN2at4cuda3cub6detail10OpaqueTypeILi8EEEEELb0EPKsPsPKSB_PSB_NS0_19identity_decomposerEEEvT1_T2_T3_T4_jT5_jj,comdat
	.protected	_ZN7rocprim17ROCPRIM_304000_NS6detail28radix_sort_block_sort_kernelINS1_36wrapped_radix_sort_block_sort_configINS0_13kernel_configILj256ELj4ELj4294967295EEEsN2at4cuda3cub6detail10OpaqueTypeILi8EEEEELb0EPKsPsPKSB_PSB_NS0_19identity_decomposerEEEvT1_T2_T3_T4_jT5_jj ; -- Begin function _ZN7rocprim17ROCPRIM_304000_NS6detail28radix_sort_block_sort_kernelINS1_36wrapped_radix_sort_block_sort_configINS0_13kernel_configILj256ELj4ELj4294967295EEEsN2at4cuda3cub6detail10OpaqueTypeILi8EEEEELb0EPKsPsPKSB_PSB_NS0_19identity_decomposerEEEvT1_T2_T3_T4_jT5_jj
	.globl	_ZN7rocprim17ROCPRIM_304000_NS6detail28radix_sort_block_sort_kernelINS1_36wrapped_radix_sort_block_sort_configINS0_13kernel_configILj256ELj4ELj4294967295EEEsN2at4cuda3cub6detail10OpaqueTypeILi8EEEEELb0EPKsPsPKSB_PSB_NS0_19identity_decomposerEEEvT1_T2_T3_T4_jT5_jj
	.p2align	8
	.type	_ZN7rocprim17ROCPRIM_304000_NS6detail28radix_sort_block_sort_kernelINS1_36wrapped_radix_sort_block_sort_configINS0_13kernel_configILj256ELj4ELj4294967295EEEsN2at4cuda3cub6detail10OpaqueTypeILi8EEEEELb0EPKsPsPKSB_PSB_NS0_19identity_decomposerEEEvT1_T2_T3_T4_jT5_jj,@function
_ZN7rocprim17ROCPRIM_304000_NS6detail28radix_sort_block_sort_kernelINS1_36wrapped_radix_sort_block_sort_configINS0_13kernel_configILj256ELj4ELj4294967295EEEsN2at4cuda3cub6detail10OpaqueTypeILi8EEEEELb0EPKsPsPKSB_PSB_NS0_19identity_decomposerEEEvT1_T2_T3_T4_jT5_jj: ; @_ZN7rocprim17ROCPRIM_304000_NS6detail28radix_sort_block_sort_kernelINS1_36wrapped_radix_sort_block_sort_configINS0_13kernel_configILj256ELj4ELj4294967295EEEsN2at4cuda3cub6detail10OpaqueTypeILi8EEEEELb0EPKsPsPKSB_PSB_NS0_19identity_decomposerEEEvT1_T2_T3_T4_jT5_jj
; %bb.0:
	s_load_dword s4, s[0:1], 0x20
	s_load_dwordx8 s[36:43], s[0:1], 0x0
	s_lshl_b32 s28, s2, 10
	s_mov_b32 s29, 0
	v_and_b32_e32 v8, 0x3ff, v0
	s_waitcnt lgkmcnt(0)
	s_lshr_b32 s3, s4, 10
	s_cmp_lg_u32 s2, s3
	s_cselect_b64 s[30:31], -1, 0
	s_lshl_b64 s[34:35], s[28:29], 1
	v_mbcnt_lo_u32_b32 v1, -1, 0
	s_add_u32 s6, s36, s34
	v_mbcnt_hi_u32_b32 v1, -1, v1
	v_lshlrev_b32_e32 v9, 2, v8
	s_addc_u32 s7, s37, s35
	v_and_b32_e32 v12, 0x300, v9
	v_mov_b32_e32 v5, 0
	v_lshlrev_b32_e32 v4, 1, v1
	v_lshl_add_u64 v[2:3], s[6:7], 0, v[4:5]
	v_lshlrev_b32_e32 v4, 1, v12
	s_cmp_eq_u32 s2, s3
	v_lshl_add_u64 v[10:11], v[2:3], 0, v[4:5]
	v_lshlrev_b32_e32 v4, 3, v1
	v_lshlrev_b32_e32 v6, 3, v12
	v_add_u32_e32 v13, v1, v12
	s_cbranch_scc1 .LBB64_2
; %bb.1:
	s_lshl_b64 s[2:3], s[28:29], 3
	s_add_u32 s2, s40, s2
	s_addc_u32 s3, s41, s3
	v_lshl_add_u64 v[2:3], s[2:3], 0, v[4:5]
	v_mov_b32_e32 v7, v5
	v_lshl_add_u64 v[2:3], v[2:3], 0, v[6:7]
	global_load_ushort v14, v[10:11], off
	global_load_ushort v15, v[10:11], off offset:128
	global_load_ushort v16, v[10:11], off offset:256
	global_load_ushort v17, v[10:11], off offset:384
	global_load_dwordx2 v[44:45], v[2:3], off
	global_load_dwordx2 v[46:47], v[2:3], off offset:512
	global_load_dwordx2 v[48:49], v[2:3], off offset:1024
	;; [unrolled: 1-line block ×3, first 2 shown]
	s_mov_b32 s2, 0x5040100
	v_add_u32_e32 v5, v1, v12
	v_add_u32_e32 v12, 64, v5
	s_waitcnt vmcnt(6)
	v_perm_b32 v2, v15, v14, s2
	v_add_u32_e32 v14, 0x80, v5
	s_waitcnt vmcnt(4)
	v_perm_b32 v3, v17, v16, s2
	v_add_u32_e32 v15, 0xc0, v5
	s_sub_i32 s33, s4, s28
	s_cbranch_execz .LBB64_3
	s_branch .LBB64_17
.LBB64_2:
                                        ; implicit-def: $vgpr2_vgpr3
                                        ; implicit-def: $vgpr44_vgpr45
                                        ; implicit-def: $vgpr46_vgpr47
                                        ; implicit-def: $vgpr48_vgpr49
                                        ; implicit-def: $vgpr50_vgpr51
                                        ; implicit-def: $vgpr5
                                        ; implicit-def: $vgpr12
                                        ; implicit-def: $vgpr14
                                        ; implicit-def: $vgpr15
	s_sub_i32 s33, s4, s28
.LBB64_3:
	v_mov_b32_e32 v2, 0x7fff7fff
	v_cmp_gt_u32_e32 vcc, s33, v13
	v_mov_b32_e32 v3, v2
	s_and_saveexec_b64 s[2:3], vcc
	s_cbranch_execz .LBB64_5
; %bb.4:
	global_load_ushort v3, v[10:11], off
	s_movk_i32 s4, 0x7fff
	v_mov_b32_e32 v5, 0x5040100
	v_mov_b32_e32 v15, v2
	s_waitcnt vmcnt(0)
	v_perm_b32 v14, s4, v3, v5
	v_mov_b64_e32 v[2:3], v[14:15]
.LBB64_5:
	s_or_b64 exec, exec, s[2:3]
	v_add_u32_e32 v12, 64, v13
	v_cmp_gt_u32_e64 s[2:3], s33, v12
	s_and_saveexec_b64 s[4:5], s[2:3]
	s_cbranch_execz .LBB64_7
; %bb.6:
	global_load_ushort v5, v[10:11], off offset:128
	s_mov_b32 s6, 0x5040100
	s_waitcnt vmcnt(0)
	v_perm_b32 v2, v5, v2, s6
.LBB64_7:
	s_or_b64 exec, exec, s[4:5]
	v_add_u32_e32 v14, 0x80, v13
	v_cmp_gt_u32_e64 s[4:5], s33, v14
	s_and_saveexec_b64 s[6:7], s[4:5]
	s_cbranch_execz .LBB64_9
; %bb.8:
	global_load_ushort v5, v[10:11], off offset:256
	s_mov_b32 s8, 0xffff
	s_waitcnt vmcnt(0)
	v_bfi_b32 v3, s8, v5, v3
.LBB64_9:
	s_or_b64 exec, exec, s[6:7]
	v_add_u32_e32 v15, 0xc0, v13
	v_cmp_gt_u32_e64 s[6:7], s33, v15
	s_and_saveexec_b64 s[8:9], s[6:7]
	s_cbranch_execz .LBB64_11
; %bb.10:
	global_load_ushort v5, v[10:11], off offset:384
	s_mov_b32 s10, 0x5040100
	s_waitcnt vmcnt(0)
	v_perm_b32 v3, v5, v3, s10
.LBB64_11:
	s_or_b64 exec, exec, s[8:9]
	s_lshl_b64 s[8:9], s[28:29], 3
	s_add_u32 s8, s40, s8
	s_addc_u32 s9, s41, s9
	v_mov_b32_e32 v5, 0
	v_lshl_add_u64 v[10:11], s[8:9], 0, v[4:5]
	v_mov_b32_e32 v7, v5
	v_lshl_add_u64 v[4:5], v[10:11], 0, v[6:7]
                                        ; implicit-def: $vgpr44_vgpr45
	s_and_saveexec_b64 s[8:9], vcc
	s_cbranch_execnz .LBB64_54
; %bb.12:
	s_or_b64 exec, exec, s[8:9]
                                        ; implicit-def: $vgpr46_vgpr47
	s_and_saveexec_b64 s[8:9], s[2:3]
	s_cbranch_execnz .LBB64_55
.LBB64_13:
	s_or_b64 exec, exec, s[8:9]
                                        ; implicit-def: $vgpr48_vgpr49
	s_and_saveexec_b64 s[2:3], s[4:5]
	s_cbranch_execnz .LBB64_56
.LBB64_14:
	s_or_b64 exec, exec, s[2:3]
                                        ; implicit-def: $vgpr50_vgpr51
	s_and_saveexec_b64 s[2:3], s[6:7]
	s_cbranch_execz .LBB64_16
.LBB64_15:
	global_load_dwordx2 v[50:51], v[4:5], off offset:1536
.LBB64_16:
	s_or_b64 exec, exec, s[2:3]
	v_mov_b32_e32 v5, v13
.LBB64_17:
	s_load_dwordx2 s[36:37], s[0:1], 0x28
	s_movk_i32 s2, 0x8000
	s_load_dword s0, s[0:1], 0x3c
	v_xor_b32_e32 v7, 0xffff8000, v2
	v_xor_b32_sdwa v10, v2, s2 dst_sel:DWORD dst_unused:UNUSED_PAD src0_sel:WORD_1 src1_sel:DWORD
	v_bfe_u32 v2, v0, 10, 10
	v_bfe_u32 v0, v0, 20, 10
	s_waitcnt lgkmcnt(0)
	s_lshr_b32 s1, s0, 16
	s_and_b32 s0, s0, 0xffff
	v_mad_u32_u24 v0, v0, s1, v2
	v_xor_b32_e32 v4, 0xffff8000, v3
	v_xor_b32_sdwa v6, v3, s2 dst_sel:DWORD dst_unused:UNUSED_PAD src0_sel:WORD_1 src1_sel:DWORD
	v_mad_u64_u32 v[2:3], s[0:1], v0, s0, v[8:9]
	v_lshrrev_b32_e32 v0, 4, v2
	v_and_b32_e32 v20, 0xffffffc, v0
	v_and_b32_e32 v0, 15, v1
	v_cmp_eq_u32_e64 s[0:1], 0, v0
	v_cmp_lt_u32_e64 s[2:3], 1, v0
	v_cmp_lt_u32_e64 s[4:5], 3, v0
	;; [unrolled: 1-line block ×3, first 2 shown]
	v_and_b32_e32 v0, 16, v1
	v_cmp_eq_u32_e64 s[8:9], 0, v0
	v_and_b32_e32 v0, 0x3c0, v8
	v_min_u32_e32 v0, 0xc0, v0
	v_or_b32_e32 v0, 63, v0
	v_cmp_eq_u32_e64 s[12:13], v8, v0
	v_subrev_co_u32_e64 v0, s[18:19], 1, v1
	v_and_b32_e32 v2, 64, v1
	v_cmp_lt_i32_e32 vcc, v0, v2
	s_mov_b32 s26, 0
	v_cmp_lt_u32_e64 s[10:11], 31, v1
	v_cndmask_b32_e32 v0, v0, v1, vcc
	v_lshlrev_b32_e32 v21, 2, v0
	v_lshrrev_b32_e32 v0, 4, v8
	v_and_b32_e32 v1, 3, v1
	v_lshlrev_b32_e32 v9, 2, v9
	v_and_b32_e32 v22, 60, v0
	v_mul_i32_i24_e32 v0, -12, v8
	v_cmp_eq_u32_e64 s[22:23], 0, v1
	v_cmp_lt_u32_e64 s[24:25], 1, v1
	v_lshlrev_b32_e32 v24, 1, v5
	v_lshlrev_b32_e32 v25, 1, v12
	;; [unrolled: 1-line block ×4, first 2 shown]
	v_mul_lo_u32 v1, v5, 6
	v_mul_lo_u32 v2, v12, 6
	;; [unrolled: 1-line block ×4, first 2 shown]
	s_mov_b32 s41, 0x5040100
	s_mov_b32 s27, s26
	;; [unrolled: 1-line block ×4, first 2 shown]
	s_add_i32 s40, s37, s36
	v_cmp_gt_u32_e64 s[14:15], 4, v8
	v_cmp_lt_u32_e64 s[16:17], 63, v8
	v_cmp_eq_u32_e64 s[20:21], 0, v8
	v_add_u32_e32 v23, -4, v22
	v_perm_b32 v34, v10, v7, s41
	v_perm_b32 v40, v6, v4, s41
	v_mov_b64_e32 v[12:13], s[26:27]
	v_mov_b64_e32 v[16:17], s[44:45]
	v_mov_b32_e32 v19, 0
	v_add_u32_e32 v28, v9, v0
	v_add_u32_e32 v29, v24, v1
	;; [unrolled: 1-line block ×5, first 2 shown]
	s_branch .LBB64_19
.LBB64_18:                              ;   in Loop: Header=BB64_19 Depth=1
	s_andn2_b64 vcc, exec, s[26:27]
	s_cbranch_vccz .LBB64_35
.LBB64_19:                              ; =>This Inner Loop Header: Depth=1
	s_min_u32 s26, s37, 8
	s_lshl_b32 s44, -1, s26
	v_lshrrev_b32_sdwa v0, s36, v34 dst_sel:DWORD dst_unused:UNUSED_PAD src0_sel:DWORD src1_sel:WORD_0
	v_bitop3_b32 v2, v0, s44, v0 bitop3:0x30
	v_and_b32_e32 v18, 1, v2
	v_lshl_add_u64 v[0:1], v[18:19], 0, -1
	v_cmp_ne_u32_e32 vcc, 0, v18
	v_lshlrev_b32_e32 v3, 4, v2
	v_mov_b32_e32 v33, v40
	v_xor_b32_e32 v1, vcc_hi, v1
	v_xor_b32_e32 v0, vcc_lo, v0
	v_and_b32_e32 v18, exec_hi, v1
	v_and_b32_e32 v35, exec_lo, v0
	v_lshlrev_b32_e32 v1, 30, v2
	v_mov_b32_e32 v0, v19
	v_cmp_gt_i64_e32 vcc, 0, v[0:1]
	v_not_b32_e32 v0, v1
	v_ashrrev_i32_e32 v0, 31, v0
	v_xor_b32_e32 v1, vcc_hi, v0
	v_xor_b32_e32 v0, vcc_lo, v0
	v_and_b32_e32 v18, v18, v1
	v_and_b32_e32 v35, v35, v0
	v_lshlrev_b32_e32 v1, 29, v2
	v_mov_b32_e32 v0, v19
	v_cmp_gt_i64_e32 vcc, 0, v[0:1]
	v_not_b32_e32 v0, v1
	v_ashrrev_i32_e32 v0, 31, v0
	v_xor_b32_e32 v1, vcc_hi, v0
	v_xor_b32_e32 v0, vcc_lo, v0
	v_and_b32_e32 v18, v18, v1
	v_and_b32_e32 v35, v35, v0
	;; [unrolled: 9-line block ×7, first 2 shown]
	v_mbcnt_lo_u32_b32 v2, v0, 0
	v_mbcnt_hi_u32_b32 v36, v1, v2
	v_cmp_eq_u32_e32 vcc, 0, v36
	v_cmp_ne_u64_e64 s[26:27], 0, v[0:1]
	s_waitcnt vmcnt(0)
	v_mov_b64_e32 v[14:15], v[44:45]
	v_mov_b64_e32 v[10:11], v[46:47]
	;; [unrolled: 1-line block ×4, first 2 shown]
	s_and_b64 s[46:47], s[26:27], vcc
	v_add_u32_e32 v37, v20, v3
	ds_write2_b64 v9, v[12:13], v[16:17] offset0:2 offset1:3
	s_waitcnt lgkmcnt(0)
	s_barrier
	; wave barrier
	s_and_saveexec_b64 s[26:27], s[46:47]
; %bb.20:                               ;   in Loop: Header=BB64_19 Depth=1
	v_bcnt_u32_b32 v0, v0, 0
	v_bcnt_u32_b32 v0, v1, v0
	ds_write_b32 v37, v0 offset:16
; %bb.21:                               ;   in Loop: Header=BB64_19 Depth=1
	s_or_b64 exec, exec, s[26:27]
	v_lshrrev_b32_e32 v35, 16, v34
	s_not_b32 s44, s44
	v_lshrrev_b32_e32 v0, s36, v35
	v_and_b32_e32 v2, s44, v0
	v_lshlrev_b32_e32 v0, 4, v2
	v_and_b32_e32 v18, 1, v2
	v_add_u32_e32 v39, v20, v0
	v_lshl_add_u64 v[0:1], v[18:19], 0, -1
	v_cmp_ne_u32_e32 vcc, 0, v18
	; wave barrier
	s_nop 1
	v_xor_b32_e32 v1, vcc_hi, v1
	v_xor_b32_e32 v0, vcc_lo, v0
	v_and_b32_e32 v3, exec_hi, v1
	v_and_b32_e32 v18, exec_lo, v0
	v_lshlrev_b32_e32 v1, 30, v2
	v_mov_b32_e32 v0, v19
	v_cmp_gt_i64_e32 vcc, 0, v[0:1]
	v_not_b32_e32 v0, v1
	v_ashrrev_i32_e32 v0, 31, v0
	v_xor_b32_e32 v1, vcc_hi, v0
	v_xor_b32_e32 v0, vcc_lo, v0
	v_and_b32_e32 v3, v3, v1
	v_and_b32_e32 v18, v18, v0
	v_lshlrev_b32_e32 v1, 29, v2
	v_mov_b32_e32 v0, v19
	v_cmp_gt_i64_e32 vcc, 0, v[0:1]
	v_not_b32_e32 v0, v1
	v_ashrrev_i32_e32 v0, 31, v0
	v_xor_b32_e32 v1, vcc_hi, v0
	v_xor_b32_e32 v0, vcc_lo, v0
	v_and_b32_e32 v3, v3, v1
	v_and_b32_e32 v18, v18, v0
	;; [unrolled: 9-line block ×6, first 2 shown]
	v_lshlrev_b32_e32 v1, 24, v2
	v_mov_b32_e32 v0, v19
	v_cmp_gt_i64_e32 vcc, 0, v[0:1]
	v_not_b32_e32 v0, v1
	v_ashrrev_i32_e32 v0, 31, v0
	v_xor_b32_e32 v1, vcc_hi, v0
	v_xor_b32_e32 v0, vcc_lo, v0
	ds_read_b32 v38, v39 offset:16
	v_and_b32_e32 v0, v18, v0
	v_and_b32_e32 v1, v3, v1
	v_mbcnt_lo_u32_b32 v2, v0, 0
	v_mbcnt_hi_u32_b32 v40, v1, v2
	v_cmp_eq_u32_e32 vcc, 0, v40
	v_cmp_ne_u64_e64 s[26:27], 0, v[0:1]
	s_and_b64 s[46:47], s[26:27], vcc
	; wave barrier
	s_and_saveexec_b64 s[26:27], s[46:47]
	s_cbranch_execz .LBB64_23
; %bb.22:                               ;   in Loop: Header=BB64_19 Depth=1
	v_bcnt_u32_b32 v0, v0, 0
	v_bcnt_u32_b32 v0, v1, v0
	s_waitcnt lgkmcnt(0)
	v_add_u32_e32 v0, v38, v0
	ds_write_b32 v39, v0 offset:16
.LBB64_23:                              ;   in Loop: Header=BB64_19 Depth=1
	s_or_b64 exec, exec, s[26:27]
	v_lshrrev_b32_sdwa v0, s36, v33 dst_sel:DWORD dst_unused:UNUSED_PAD src0_sel:DWORD src1_sel:WORD_0
	v_and_b32_e32 v2, s44, v0
	v_lshlrev_b32_e32 v0, 4, v2
	v_and_b32_e32 v18, 1, v2
	v_add_u32_e32 v42, v20, v0
	v_lshl_add_u64 v[0:1], v[18:19], 0, -1
	v_cmp_ne_u32_e32 vcc, 0, v18
	; wave barrier
	s_nop 1
	v_xor_b32_e32 v1, vcc_hi, v1
	v_xor_b32_e32 v0, vcc_lo, v0
	v_and_b32_e32 v3, exec_hi, v1
	v_and_b32_e32 v18, exec_lo, v0
	v_lshlrev_b32_e32 v1, 30, v2
	v_mov_b32_e32 v0, v19
	v_cmp_gt_i64_e32 vcc, 0, v[0:1]
	v_not_b32_e32 v0, v1
	v_ashrrev_i32_e32 v0, 31, v0
	v_xor_b32_e32 v1, vcc_hi, v0
	v_xor_b32_e32 v0, vcc_lo, v0
	v_and_b32_e32 v3, v3, v1
	v_and_b32_e32 v18, v18, v0
	v_lshlrev_b32_e32 v1, 29, v2
	v_mov_b32_e32 v0, v19
	v_cmp_gt_i64_e32 vcc, 0, v[0:1]
	v_not_b32_e32 v0, v1
	v_ashrrev_i32_e32 v0, 31, v0
	v_xor_b32_e32 v1, vcc_hi, v0
	v_xor_b32_e32 v0, vcc_lo, v0
	v_and_b32_e32 v3, v3, v1
	v_and_b32_e32 v18, v18, v0
	;; [unrolled: 9-line block ×6, first 2 shown]
	v_lshlrev_b32_e32 v1, 24, v2
	v_mov_b32_e32 v0, v19
	v_cmp_gt_i64_e32 vcc, 0, v[0:1]
	v_not_b32_e32 v0, v1
	v_ashrrev_i32_e32 v0, 31, v0
	v_xor_b32_e32 v1, vcc_hi, v0
	v_xor_b32_e32 v0, vcc_lo, v0
	ds_read_b32 v41, v42 offset:16
	v_and_b32_e32 v0, v18, v0
	v_and_b32_e32 v1, v3, v1
	v_mbcnt_lo_u32_b32 v2, v0, 0
	v_mbcnt_hi_u32_b32 v44, v1, v2
	v_cmp_eq_u32_e32 vcc, 0, v44
	v_cmp_ne_u64_e64 s[26:27], 0, v[0:1]
	s_and_b64 s[46:47], s[26:27], vcc
	; wave barrier
	s_and_saveexec_b64 s[26:27], s[46:47]
	s_cbranch_execz .LBB64_25
; %bb.24:                               ;   in Loop: Header=BB64_19 Depth=1
	v_bcnt_u32_b32 v0, v0, 0
	v_bcnt_u32_b32 v0, v1, v0
	s_waitcnt lgkmcnt(0)
	v_add_u32_e32 v0, v41, v0
	ds_write_b32 v42, v0 offset:16
.LBB64_25:                              ;   in Loop: Header=BB64_19 Depth=1
	s_or_b64 exec, exec, s[26:27]
	v_lshrrev_b32_e32 v43, 16, v33
	v_lshrrev_b32_e32 v0, s36, v43
	v_and_b32_e32 v2, s44, v0
	v_lshlrev_b32_e32 v0, 4, v2
	v_and_b32_e32 v18, 1, v2
	v_add_u32_e32 v46, v20, v0
	v_lshl_add_u64 v[0:1], v[18:19], 0, -1
	v_cmp_ne_u32_e32 vcc, 0, v18
	; wave barrier
	s_nop 1
	v_xor_b32_e32 v1, vcc_hi, v1
	v_xor_b32_e32 v0, vcc_lo, v0
	v_and_b32_e32 v3, exec_hi, v1
	v_and_b32_e32 v18, exec_lo, v0
	v_lshlrev_b32_e32 v1, 30, v2
	v_mov_b32_e32 v0, v19
	v_cmp_gt_i64_e32 vcc, 0, v[0:1]
	v_not_b32_e32 v0, v1
	v_ashrrev_i32_e32 v0, 31, v0
	v_xor_b32_e32 v1, vcc_hi, v0
	v_xor_b32_e32 v0, vcc_lo, v0
	v_and_b32_e32 v3, v3, v1
	v_and_b32_e32 v18, v18, v0
	v_lshlrev_b32_e32 v1, 29, v2
	v_mov_b32_e32 v0, v19
	v_cmp_gt_i64_e32 vcc, 0, v[0:1]
	v_not_b32_e32 v0, v1
	v_ashrrev_i32_e32 v0, 31, v0
	v_xor_b32_e32 v1, vcc_hi, v0
	v_xor_b32_e32 v0, vcc_lo, v0
	v_and_b32_e32 v3, v3, v1
	v_and_b32_e32 v18, v18, v0
	;; [unrolled: 9-line block ×6, first 2 shown]
	v_lshlrev_b32_e32 v1, 24, v2
	v_mov_b32_e32 v0, v19
	v_cmp_gt_i64_e32 vcc, 0, v[0:1]
	v_not_b32_e32 v0, v1
	v_ashrrev_i32_e32 v0, 31, v0
	v_xor_b32_e32 v1, vcc_hi, v0
	v_xor_b32_e32 v0, vcc_lo, v0
	ds_read_b32 v45, v46 offset:16
	v_and_b32_e32 v0, v18, v0
	v_and_b32_e32 v1, v3, v1
	v_mbcnt_lo_u32_b32 v2, v0, 0
	v_mbcnt_hi_u32_b32 v18, v1, v2
	v_cmp_eq_u32_e32 vcc, 0, v18
	v_cmp_ne_u64_e64 s[26:27], 0, v[0:1]
	s_and_b64 s[44:45], s[26:27], vcc
	; wave barrier
	s_and_saveexec_b64 s[26:27], s[44:45]
	s_cbranch_execz .LBB64_27
; %bb.26:                               ;   in Loop: Header=BB64_19 Depth=1
	v_bcnt_u32_b32 v0, v0, 0
	v_bcnt_u32_b32 v0, v1, v0
	s_waitcnt lgkmcnt(0)
	v_add_u32_e32 v0, v45, v0
	ds_write_b32 v46, v0 offset:16
.LBB64_27:                              ;   in Loop: Header=BB64_19 Depth=1
	s_or_b64 exec, exec, s[26:27]
	; wave barrier
	s_waitcnt lgkmcnt(0)
	s_barrier
	ds_read2_b64 v[0:3], v9 offset0:2 offset1:3
	s_waitcnt lgkmcnt(0)
	v_add_u32_e32 v47, v1, v0
	v_add3_u32 v3, v47, v2, v3
	s_nop 1
	v_mov_b32_dpp v47, v3 row_shr:1 row_mask:0xf bank_mask:0xf
	v_cndmask_b32_e64 v47, v47, 0, s[0:1]
	v_add_u32_e32 v3, v47, v3
	s_nop 1
	v_mov_b32_dpp v47, v3 row_shr:2 row_mask:0xf bank_mask:0xf
	v_cndmask_b32_e64 v47, 0, v47, s[2:3]
	v_add_u32_e32 v3, v3, v47
	;; [unrolled: 4-line block ×4, first 2 shown]
	s_nop 1
	v_mov_b32_dpp v47, v3 row_bcast:15 row_mask:0xf bank_mask:0xf
	v_cndmask_b32_e64 v47, v47, 0, s[8:9]
	v_add_u32_e32 v3, v3, v47
	s_nop 1
	v_mov_b32_dpp v47, v3 row_bcast:31 row_mask:0xf bank_mask:0xf
	v_cndmask_b32_e64 v47, 0, v47, s[10:11]
	v_add_u32_e32 v3, v3, v47
	s_and_saveexec_b64 s[26:27], s[12:13]
; %bb.28:                               ;   in Loop: Header=BB64_19 Depth=1
	ds_write_b32 v22, v3
; %bb.29:                               ;   in Loop: Header=BB64_19 Depth=1
	s_or_b64 exec, exec, s[26:27]
	s_waitcnt lgkmcnt(0)
	s_barrier
	s_and_saveexec_b64 s[26:27], s[14:15]
	s_cbranch_execz .LBB64_31
; %bb.30:                               ;   in Loop: Header=BB64_19 Depth=1
	ds_read_b32 v47, v28
	s_waitcnt lgkmcnt(0)
	s_nop 0
	v_mov_b32_dpp v48, v47 row_shr:1 row_mask:0xf bank_mask:0xf
	v_cndmask_b32_e64 v48, v48, 0, s[22:23]
	v_add_u32_e32 v47, v48, v47
	s_nop 1
	v_mov_b32_dpp v48, v47 row_shr:2 row_mask:0xf bank_mask:0xf
	v_cndmask_b32_e64 v48, 0, v48, s[24:25]
	v_add_u32_e32 v47, v47, v48
	ds_write_b32 v28, v47
.LBB64_31:                              ;   in Loop: Header=BB64_19 Depth=1
	s_or_b64 exec, exec, s[26:27]
	v_mov_b32_e32 v47, 0
	s_waitcnt lgkmcnt(0)
	s_barrier
	s_and_saveexec_b64 s[26:27], s[16:17]
; %bb.32:                               ;   in Loop: Header=BB64_19 Depth=1
	ds_read_b32 v47, v23
; %bb.33:                               ;   in Loop: Header=BB64_19 Depth=1
	s_or_b64 exec, exec, s[26:27]
	s_waitcnt lgkmcnt(0)
	v_add_u32_e32 v3, v47, v3
	ds_bpermute_b32 v3, v21, v3
	s_add_i32 s36, s36, 8
	s_cmp_ge_u32 s36, s40
	s_mov_b64 s[26:27], -1
                                        ; implicit-def: $vgpr50_vgpr51
	s_waitcnt lgkmcnt(0)
	v_cndmask_b32_e64 v3, v3, v47, s[18:19]
	v_cndmask_b32_e64 v48, v3, 0, s[20:21]
	v_add_u32_e32 v49, v48, v0
	v_add_u32_e32 v0, v49, v1
	;; [unrolled: 1-line block ×3, first 2 shown]
	ds_write2_b64 v9, v[48:49], v[0:1] offset0:2 offset1:3
	s_waitcnt lgkmcnt(0)
	s_barrier
	ds_read_b32 v0, v37 offset:16
	ds_read_b32 v1, v39 offset:16
	;; [unrolled: 1-line block ×4, first 2 shown]
	v_mov_b32_e32 v39, v34
	s_waitcnt lgkmcnt(3)
	v_add_u32_e32 v42, v0, v36
	s_waitcnt lgkmcnt(2)
	v_add3_u32 v36, v40, v38, v1
	s_waitcnt lgkmcnt(1)
	v_add3_u32 v3, v44, v41, v2
	s_waitcnt lgkmcnt(0)
	v_add3_u32 v1, v18, v45, v37
	v_lshlrev_b32_e32 v37, 1, v42
	v_lshlrev_b32_e32 v18, 1, v36
	;; [unrolled: 1-line block ×4, first 2 shown]
	v_mul_lo_u32 v38, v42, 6
                                        ; implicit-def: $vgpr40
                                        ; implicit-def: $vgpr44_vgpr45
                                        ; implicit-def: $vgpr46_vgpr47
                                        ; implicit-def: $vgpr48_vgpr49
	s_cbranch_scc1 .LBB64_18
; %bb.34:                               ;   in Loop: Header=BB64_19 Depth=1
	v_add_u32_e32 v40, v37, v38
	s_barrier
	ds_write_b16 v37, v34
	ds_write_b16 v18, v35
	;; [unrolled: 1-line block ×4, first 2 shown]
	s_waitcnt lgkmcnt(0)
	s_barrier
	ds_read_u16 v34, v24
	ds_read_u16 v42, v25
	ds_read_u16 v52, v26
	ds_read_u16 v53, v27
	s_waitcnt lgkmcnt(0)
	s_barrier
	ds_write_b64 v40, v[14:15]
	v_mad_u64_u32 v[40:41], s[26:27], v36, 6, v[18:19]
	ds_write_b64 v40, v[10:11]
	v_mad_u64_u32 v[40:41], s[26:27], v3, 6, v[2:3]
	;; [unrolled: 2-line block ×3, first 2 shown]
	ds_write_b64 v40, v[4:5]
	s_waitcnt lgkmcnt(0)
	s_barrier
	ds_read_b64 v[44:45], v29
	ds_read_b64 v[46:47], v30
	;; [unrolled: 1-line block ×4, first 2 shown]
	v_perm_b32 v34, v42, v34, s41
	v_perm_b32 v40, v53, v52, s41
	s_add_i32 s37, s37, -8
	s_mov_b64 s[26:27], 0
	s_waitcnt lgkmcnt(0)
	s_barrier
	s_branch .LBB64_18
.LBB64_35:
	v_lshlrev_b32_e32 v12, 1, v8
	s_barrier
	ds_write_b16 v37, v39
	ds_write_b16 v18, v35
	;; [unrolled: 1-line block ×4, first 2 shown]
	s_waitcnt lgkmcnt(0)
	s_barrier
	ds_read_u16 v9, v12
	ds_read_u16 v13, v12 offset:512
	ds_read_u16 v17, v12 offset:1024
	;; [unrolled: 1-line block ×3, first 2 shown]
	v_add_u32_e32 v16, v37, v38
	s_waitcnt lgkmcnt(0)
	s_barrier
	ds_write_b64 v16, v[14:15]
	v_mad_u64_u32 v[14:15], s[0:1], v36, 6, v[18:19]
	v_mad_u64_u32 v[2:3], s[0:1], v3, 6, v[2:3]
	;; [unrolled: 1-line block ×3, first 2 shown]
	ds_write_b64 v14, v[10:11]
	ds_write_b64 v2, v[6:7]
	;; [unrolled: 1-line block ×3, first 2 shown]
	v_mad_u32_u24 v0, v8, 6, v12
	s_waitcnt lgkmcnt(0)
	s_barrier
	ds_read2st64_b64 v[4:7], v0 offset1:4
	ds_read2st64_b64 v[0:3], v0 offset0:8 offset1:12
	s_add_u32 s0, s38, s34
	v_xor_b32_e32 v15, 0xffff8000, v13
	s_addc_u32 s1, s39, s35
	v_mov_b32_e32 v13, 0
	v_xor_b32_e32 v16, 0xffff8000, v9
	v_xor_b32_e32 v14, 0xffff8000, v17
	;; [unrolled: 1-line block ×3, first 2 shown]
	v_lshl_add_u64 v[10:11], s[0:1], 0, v[12:13]
	s_andn2_b64 vcc, exec, s[30:31]
	v_lshlrev_b32_e32 v12, 3, v8
	s_cbranch_vccnz .LBB64_37
; %bb.36:
	s_lshl_b64 s[0:1], s[28:29], 3
	s_add_u32 s0, s42, s0
	s_addc_u32 s1, s43, s1
	v_lshl_add_u64 v[18:19], s[0:1], 0, v[12:13]
	v_add_co_u32_e32 v18, vcc, 0x1000, v18
	global_store_short v[10:11], v16, off
	global_store_short v[10:11], v15, off offset:512
	global_store_short v[10:11], v14, off offset:1024
	;; [unrolled: 1-line block ×3, first 2 shown]
	s_waitcnt lgkmcnt(1)
	global_store_dwordx2 v12, v[4:5], s[0:1]
	global_store_dwordx2 v12, v[6:7], s[0:1] offset:2048
	v_addc_co_u32_e32 v19, vcc, 0, v19, vcc
	s_mov_b64 s[4:5], -1
	s_waitcnt lgkmcnt(0)
	global_store_dwordx2 v[18:19], v[0:1], off
	s_cbranch_execz .LBB64_38
	s_branch .LBB64_51
.LBB64_37:
	s_mov_b64 s[4:5], 0
.LBB64_38:
	v_cmp_gt_u32_e32 vcc, s33, v8
	s_and_saveexec_b64 s[0:1], vcc
	s_cbranch_execz .LBB64_40
; %bb.39:
	global_store_short v[10:11], v16, off
.LBB64_40:
	s_or_b64 exec, exec, s[0:1]
	v_add_u32_e32 v13, 0x100, v8
	v_cmp_gt_u32_e64 s[0:1], s33, v13
	s_and_saveexec_b64 s[2:3], s[0:1]
	s_cbranch_execz .LBB64_42
; %bb.41:
	global_store_short v[10:11], v15, off offset:512
.LBB64_42:
	s_or_b64 exec, exec, s[2:3]
	v_add_u32_e32 v13, 0x200, v8
	v_cmp_gt_u32_e64 s[2:3], s33, v13
	s_and_saveexec_b64 s[4:5], s[2:3]
	s_cbranch_execz .LBB64_44
; %bb.43:
	global_store_short v[10:11], v14, off offset:1024
.LBB64_44:
	;; [unrolled: 8-line block ×3, first 2 shown]
	s_or_b64 exec, exec, s[6:7]
	s_lshl_b64 s[6:7], s[28:29], 3
	s_add_u32 s6, s42, s6
	s_addc_u32 s7, s43, s7
	v_mov_b32_e32 v13, 0
	v_lshl_add_u64 v[8:9], s[6:7], 0, v[12:13]
	s_and_saveexec_b64 s[6:7], vcc
	s_cbranch_execnz .LBB64_57
; %bb.47:
	s_or_b64 exec, exec, s[6:7]
	s_and_saveexec_b64 s[6:7], s[0:1]
	s_cbranch_execnz .LBB64_58
.LBB64_48:
	s_or_b64 exec, exec, s[6:7]
	s_and_saveexec_b64 s[0:1], s[2:3]
	s_cbranch_execz .LBB64_50
.LBB64_49:
	s_waitcnt lgkmcnt(1)
	v_add_co_u32_e32 v4, vcc, 0x1000, v8
	s_nop 1
	v_addc_co_u32_e32 v5, vcc, 0, v9, vcc
	s_waitcnt lgkmcnt(0)
	global_store_dwordx2 v[4:5], v[0:1], off
.LBB64_50:
	s_or_b64 exec, exec, s[0:1]
.LBB64_51:
	s_and_saveexec_b64 s[0:1], s[4:5]
	s_cbranch_execnz .LBB64_53
; %bb.52:
	s_endpgm
.LBB64_53:
	s_lshl_b64 s[0:1], s[28:29], 3
	s_add_u32 s0, s42, s0
	s_addc_u32 s1, s43, s1
	v_mov_b32_e32 v13, 0
	s_waitcnt lgkmcnt(0)
	v_lshl_add_u64 v[0:1], s[0:1], 0, v[12:13]
	v_add_co_u32_e32 v0, vcc, 0x1000, v0
	s_nop 1
	v_addc_co_u32_e32 v1, vcc, 0, v1, vcc
	global_store_dwordx2 v[0:1], v[2:3], off offset:2048
	s_endpgm
.LBB64_54:
	global_load_dwordx2 v[44:45], v[4:5], off
	s_or_b64 exec, exec, s[8:9]
                                        ; implicit-def: $vgpr46_vgpr47
	s_and_saveexec_b64 s[8:9], s[2:3]
	s_cbranch_execz .LBB64_13
.LBB64_55:
	global_load_dwordx2 v[46:47], v[4:5], off offset:512
	s_or_b64 exec, exec, s[8:9]
                                        ; implicit-def: $vgpr48_vgpr49
	s_and_saveexec_b64 s[2:3], s[4:5]
	s_cbranch_execz .LBB64_14
.LBB64_56:
	global_load_dwordx2 v[48:49], v[4:5], off offset:1024
	s_or_b64 exec, exec, s[2:3]
                                        ; implicit-def: $vgpr50_vgpr51
	s_and_saveexec_b64 s[2:3], s[6:7]
	s_cbranch_execnz .LBB64_15
	s_branch .LBB64_16
.LBB64_57:
	s_waitcnt lgkmcnt(1)
	global_store_dwordx2 v[8:9], v[4:5], off
	s_or_b64 exec, exec, s[6:7]
	s_and_saveexec_b64 s[6:7], s[0:1]
	s_cbranch_execz .LBB64_48
.LBB64_58:
	s_waitcnt lgkmcnt(1)
	global_store_dwordx2 v[8:9], v[6:7], off offset:2048
	s_or_b64 exec, exec, s[6:7]
	s_and_saveexec_b64 s[0:1], s[2:3]
	s_cbranch_execnz .LBB64_49
	s_branch .LBB64_50
	.section	.rodata,"a",@progbits
	.p2align	6, 0x0
	.amdhsa_kernel _ZN7rocprim17ROCPRIM_304000_NS6detail28radix_sort_block_sort_kernelINS1_36wrapped_radix_sort_block_sort_configINS0_13kernel_configILj256ELj4ELj4294967295EEEsN2at4cuda3cub6detail10OpaqueTypeILi8EEEEELb0EPKsPsPKSB_PSB_NS0_19identity_decomposerEEEvT1_T2_T3_T4_jT5_jj
		.amdhsa_group_segment_fixed_size 8192
		.amdhsa_private_segment_fixed_size 0
		.amdhsa_kernarg_size 304
		.amdhsa_user_sgpr_count 2
		.amdhsa_user_sgpr_dispatch_ptr 0
		.amdhsa_user_sgpr_queue_ptr 0
		.amdhsa_user_sgpr_kernarg_segment_ptr 1
		.amdhsa_user_sgpr_dispatch_id 0
		.amdhsa_user_sgpr_kernarg_preload_length 0
		.amdhsa_user_sgpr_kernarg_preload_offset 0
		.amdhsa_user_sgpr_private_segment_size 0
		.amdhsa_uses_dynamic_stack 0
		.amdhsa_enable_private_segment 0
		.amdhsa_system_sgpr_workgroup_id_x 1
		.amdhsa_system_sgpr_workgroup_id_y 0
		.amdhsa_system_sgpr_workgroup_id_z 0
		.amdhsa_system_sgpr_workgroup_info 0
		.amdhsa_system_vgpr_workitem_id 2
		.amdhsa_next_free_vgpr 54
		.amdhsa_next_free_sgpr 48
		.amdhsa_accum_offset 56
		.amdhsa_reserve_vcc 1
		.amdhsa_float_round_mode_32 0
		.amdhsa_float_round_mode_16_64 0
		.amdhsa_float_denorm_mode_32 3
		.amdhsa_float_denorm_mode_16_64 3
		.amdhsa_dx10_clamp 1
		.amdhsa_ieee_mode 1
		.amdhsa_fp16_overflow 0
		.amdhsa_tg_split 0
		.amdhsa_exception_fp_ieee_invalid_op 0
		.amdhsa_exception_fp_denorm_src 0
		.amdhsa_exception_fp_ieee_div_zero 0
		.amdhsa_exception_fp_ieee_overflow 0
		.amdhsa_exception_fp_ieee_underflow 0
		.amdhsa_exception_fp_ieee_inexact 0
		.amdhsa_exception_int_div_zero 0
	.end_amdhsa_kernel
	.section	.text._ZN7rocprim17ROCPRIM_304000_NS6detail28radix_sort_block_sort_kernelINS1_36wrapped_radix_sort_block_sort_configINS0_13kernel_configILj256ELj4ELj4294967295EEEsN2at4cuda3cub6detail10OpaqueTypeILi8EEEEELb0EPKsPsPKSB_PSB_NS0_19identity_decomposerEEEvT1_T2_T3_T4_jT5_jj,"axG",@progbits,_ZN7rocprim17ROCPRIM_304000_NS6detail28radix_sort_block_sort_kernelINS1_36wrapped_radix_sort_block_sort_configINS0_13kernel_configILj256ELj4ELj4294967295EEEsN2at4cuda3cub6detail10OpaqueTypeILi8EEEEELb0EPKsPsPKSB_PSB_NS0_19identity_decomposerEEEvT1_T2_T3_T4_jT5_jj,comdat
.Lfunc_end64:
	.size	_ZN7rocprim17ROCPRIM_304000_NS6detail28radix_sort_block_sort_kernelINS1_36wrapped_radix_sort_block_sort_configINS0_13kernel_configILj256ELj4ELj4294967295EEEsN2at4cuda3cub6detail10OpaqueTypeILi8EEEEELb0EPKsPsPKSB_PSB_NS0_19identity_decomposerEEEvT1_T2_T3_T4_jT5_jj, .Lfunc_end64-_ZN7rocprim17ROCPRIM_304000_NS6detail28radix_sort_block_sort_kernelINS1_36wrapped_radix_sort_block_sort_configINS0_13kernel_configILj256ELj4ELj4294967295EEEsN2at4cuda3cub6detail10OpaqueTypeILi8EEEEELb0EPKsPsPKSB_PSB_NS0_19identity_decomposerEEEvT1_T2_T3_T4_jT5_jj
                                        ; -- End function
	.set _ZN7rocprim17ROCPRIM_304000_NS6detail28radix_sort_block_sort_kernelINS1_36wrapped_radix_sort_block_sort_configINS0_13kernel_configILj256ELj4ELj4294967295EEEsN2at4cuda3cub6detail10OpaqueTypeILi8EEEEELb0EPKsPsPKSB_PSB_NS0_19identity_decomposerEEEvT1_T2_T3_T4_jT5_jj.num_vgpr, 54
	.set _ZN7rocprim17ROCPRIM_304000_NS6detail28radix_sort_block_sort_kernelINS1_36wrapped_radix_sort_block_sort_configINS0_13kernel_configILj256ELj4ELj4294967295EEEsN2at4cuda3cub6detail10OpaqueTypeILi8EEEEELb0EPKsPsPKSB_PSB_NS0_19identity_decomposerEEEvT1_T2_T3_T4_jT5_jj.num_agpr, 0
	.set _ZN7rocprim17ROCPRIM_304000_NS6detail28radix_sort_block_sort_kernelINS1_36wrapped_radix_sort_block_sort_configINS0_13kernel_configILj256ELj4ELj4294967295EEEsN2at4cuda3cub6detail10OpaqueTypeILi8EEEEELb0EPKsPsPKSB_PSB_NS0_19identity_decomposerEEEvT1_T2_T3_T4_jT5_jj.numbered_sgpr, 48
	.set _ZN7rocprim17ROCPRIM_304000_NS6detail28radix_sort_block_sort_kernelINS1_36wrapped_radix_sort_block_sort_configINS0_13kernel_configILj256ELj4ELj4294967295EEEsN2at4cuda3cub6detail10OpaqueTypeILi8EEEEELb0EPKsPsPKSB_PSB_NS0_19identity_decomposerEEEvT1_T2_T3_T4_jT5_jj.num_named_barrier, 0
	.set _ZN7rocprim17ROCPRIM_304000_NS6detail28radix_sort_block_sort_kernelINS1_36wrapped_radix_sort_block_sort_configINS0_13kernel_configILj256ELj4ELj4294967295EEEsN2at4cuda3cub6detail10OpaqueTypeILi8EEEEELb0EPKsPsPKSB_PSB_NS0_19identity_decomposerEEEvT1_T2_T3_T4_jT5_jj.private_seg_size, 0
	.set _ZN7rocprim17ROCPRIM_304000_NS6detail28radix_sort_block_sort_kernelINS1_36wrapped_radix_sort_block_sort_configINS0_13kernel_configILj256ELj4ELj4294967295EEEsN2at4cuda3cub6detail10OpaqueTypeILi8EEEEELb0EPKsPsPKSB_PSB_NS0_19identity_decomposerEEEvT1_T2_T3_T4_jT5_jj.uses_vcc, 1
	.set _ZN7rocprim17ROCPRIM_304000_NS6detail28radix_sort_block_sort_kernelINS1_36wrapped_radix_sort_block_sort_configINS0_13kernel_configILj256ELj4ELj4294967295EEEsN2at4cuda3cub6detail10OpaqueTypeILi8EEEEELb0EPKsPsPKSB_PSB_NS0_19identity_decomposerEEEvT1_T2_T3_T4_jT5_jj.uses_flat_scratch, 0
	.set _ZN7rocprim17ROCPRIM_304000_NS6detail28radix_sort_block_sort_kernelINS1_36wrapped_radix_sort_block_sort_configINS0_13kernel_configILj256ELj4ELj4294967295EEEsN2at4cuda3cub6detail10OpaqueTypeILi8EEEEELb0EPKsPsPKSB_PSB_NS0_19identity_decomposerEEEvT1_T2_T3_T4_jT5_jj.has_dyn_sized_stack, 0
	.set _ZN7rocprim17ROCPRIM_304000_NS6detail28radix_sort_block_sort_kernelINS1_36wrapped_radix_sort_block_sort_configINS0_13kernel_configILj256ELj4ELj4294967295EEEsN2at4cuda3cub6detail10OpaqueTypeILi8EEEEELb0EPKsPsPKSB_PSB_NS0_19identity_decomposerEEEvT1_T2_T3_T4_jT5_jj.has_recursion, 0
	.set _ZN7rocprim17ROCPRIM_304000_NS6detail28radix_sort_block_sort_kernelINS1_36wrapped_radix_sort_block_sort_configINS0_13kernel_configILj256ELj4ELj4294967295EEEsN2at4cuda3cub6detail10OpaqueTypeILi8EEEEELb0EPKsPsPKSB_PSB_NS0_19identity_decomposerEEEvT1_T2_T3_T4_jT5_jj.has_indirect_call, 0
	.section	.AMDGPU.csdata,"",@progbits
; Kernel info:
; codeLenInByte = 4128
; TotalNumSgprs: 54
; NumVgprs: 54
; NumAgprs: 0
; TotalNumVgprs: 54
; ScratchSize: 0
; MemoryBound: 0
; FloatMode: 240
; IeeeMode: 1
; LDSByteSize: 8192 bytes/workgroup (compile time only)
; SGPRBlocks: 6
; VGPRBlocks: 6
; NumSGPRsForWavesPerEU: 54
; NumVGPRsForWavesPerEU: 54
; AccumOffset: 56
; Occupancy: 8
; WaveLimiterHint : 1
; COMPUTE_PGM_RSRC2:SCRATCH_EN: 0
; COMPUTE_PGM_RSRC2:USER_SGPR: 2
; COMPUTE_PGM_RSRC2:TRAP_HANDLER: 0
; COMPUTE_PGM_RSRC2:TGID_X_EN: 1
; COMPUTE_PGM_RSRC2:TGID_Y_EN: 0
; COMPUTE_PGM_RSRC2:TGID_Z_EN: 0
; COMPUTE_PGM_RSRC2:TIDIG_COMP_CNT: 2
; COMPUTE_PGM_RSRC3_GFX90A:ACCUM_OFFSET: 13
; COMPUTE_PGM_RSRC3_GFX90A:TG_SPLIT: 0
	.section	.text._ZN7rocprim17ROCPRIM_304000_NS6detail45device_block_merge_mergepath_partition_kernelINS1_37wrapped_merge_sort_block_merge_configINS0_14default_configEsN2at4cuda3cub6detail10OpaqueTypeILi8EEEEEPsjNS1_19radix_merge_compareILb0ELb0EsNS0_19identity_decomposerEEEEEvT0_T1_jPSH_T2_SH_,"axG",@progbits,_ZN7rocprim17ROCPRIM_304000_NS6detail45device_block_merge_mergepath_partition_kernelINS1_37wrapped_merge_sort_block_merge_configINS0_14default_configEsN2at4cuda3cub6detail10OpaqueTypeILi8EEEEEPsjNS1_19radix_merge_compareILb0ELb0EsNS0_19identity_decomposerEEEEEvT0_T1_jPSH_T2_SH_,comdat
	.protected	_ZN7rocprim17ROCPRIM_304000_NS6detail45device_block_merge_mergepath_partition_kernelINS1_37wrapped_merge_sort_block_merge_configINS0_14default_configEsN2at4cuda3cub6detail10OpaqueTypeILi8EEEEEPsjNS1_19radix_merge_compareILb0ELb0EsNS0_19identity_decomposerEEEEEvT0_T1_jPSH_T2_SH_ ; -- Begin function _ZN7rocprim17ROCPRIM_304000_NS6detail45device_block_merge_mergepath_partition_kernelINS1_37wrapped_merge_sort_block_merge_configINS0_14default_configEsN2at4cuda3cub6detail10OpaqueTypeILi8EEEEEPsjNS1_19radix_merge_compareILb0ELb0EsNS0_19identity_decomposerEEEEEvT0_T1_jPSH_T2_SH_
	.globl	_ZN7rocprim17ROCPRIM_304000_NS6detail45device_block_merge_mergepath_partition_kernelINS1_37wrapped_merge_sort_block_merge_configINS0_14default_configEsN2at4cuda3cub6detail10OpaqueTypeILi8EEEEEPsjNS1_19radix_merge_compareILb0ELb0EsNS0_19identity_decomposerEEEEEvT0_T1_jPSH_T2_SH_
	.p2align	8
	.type	_ZN7rocprim17ROCPRIM_304000_NS6detail45device_block_merge_mergepath_partition_kernelINS1_37wrapped_merge_sort_block_merge_configINS0_14default_configEsN2at4cuda3cub6detail10OpaqueTypeILi8EEEEEPsjNS1_19radix_merge_compareILb0ELb0EsNS0_19identity_decomposerEEEEEvT0_T1_jPSH_T2_SH_,@function
_ZN7rocprim17ROCPRIM_304000_NS6detail45device_block_merge_mergepath_partition_kernelINS1_37wrapped_merge_sort_block_merge_configINS0_14default_configEsN2at4cuda3cub6detail10OpaqueTypeILi8EEEEEPsjNS1_19radix_merge_compareILb0ELb0EsNS0_19identity_decomposerEEEEEvT0_T1_jPSH_T2_SH_: ; @_ZN7rocprim17ROCPRIM_304000_NS6detail45device_block_merge_mergepath_partition_kernelINS1_37wrapped_merge_sort_block_merge_configINS0_14default_configEsN2at4cuda3cub6detail10OpaqueTypeILi8EEEEEPsjNS1_19radix_merge_compareILb0ELb0EsNS0_19identity_decomposerEEEEEvT0_T1_jPSH_T2_SH_
; %bb.0:
	s_load_dwordx2 s[4:5], s[0:1], 0x8
	v_lshl_or_b32 v0, s2, 7, v0
	s_waitcnt lgkmcnt(0)
	v_cmp_gt_u32_e32 vcc, s5, v0
	s_and_saveexec_b64 s[2:3], vcc
	s_cbranch_execz .LBB65_6
; %bb.1:
	s_load_dword s2, s[0:1], 0x1c
	s_waitcnt lgkmcnt(0)
	s_lshr_b32 s3, s2, 9
	s_and_b32 s3, s3, 0x7ffffe
	s_add_i32 s5, s3, -1
	s_sub_i32 s3, 0, s3
	v_and_b32_e32 v1, s3, v0
	v_and_b32_e32 v2, s5, v0
	v_lshlrev_b32_e32 v1, 10, v1
	v_lshlrev_b32_e32 v3, 10, v2
	v_min_u32_e32 v2, s4, v1
	v_add_u32_e32 v1, s2, v1
	v_min_u32_e32 v4, s4, v1
	v_add_u32_e32 v1, s2, v4
	v_min_u32_e32 v1, s4, v1
	v_sub_u32_e32 v5, v1, v2
	v_min_u32_e32 v10, v5, v3
	v_sub_u32_e32 v3, v4, v2
	v_sub_u32_e32 v1, v1, v4
	v_sub_u32_e64 v1, v10, v1 clamp
	v_min_u32_e32 v11, v10, v3
	v_cmp_lt_u32_e32 vcc, v1, v11
	s_and_saveexec_b64 s[2:3], vcc
	s_cbranch_execz .LBB65_5
; %bb.2:
	s_load_dwordx2 s[4:5], s[0:1], 0x0
	v_mov_b32_e32 v5, 0
	v_mov_b32_e32 v3, v5
	s_waitcnt lgkmcnt(0)
	v_lshl_add_u64 v[6:7], v[2:3], 1, s[4:5]
	v_lshl_add_u64 v[8:9], v[4:5], 1, s[4:5]
	s_mov_b64 s[4:5], 0
.LBB65_3:                               ; =>This Inner Loop Header: Depth=1
	v_add_u32_e32 v3, v11, v1
	v_lshrrev_b32_e32 v16, 1, v3
	v_and_b32_e32 v4, -2, v3
	v_mov_b32_e32 v13, v5
	v_xad_u32 v12, v16, -1, v10
	v_lshl_add_u64 v[14:15], v[6:7], 0, v[4:5]
	v_lshl_add_u64 v[12:13], v[12:13], 1, v[8:9]
	global_load_ushort v3, v[14:15], off
	global_load_ushort v4, v[12:13], off
	v_add_u32_e32 v12, 1, v16
	s_waitcnt vmcnt(0)
	v_cmp_gt_i16_e32 vcc, v3, v4
	s_nop 1
	v_cndmask_b32_e32 v11, v11, v16, vcc
	v_cndmask_b32_e32 v1, v12, v1, vcc
	v_cmp_ge_u32_e32 vcc, v1, v11
	s_or_b64 s[4:5], vcc, s[4:5]
	s_andn2_b64 exec, exec, s[4:5]
	s_cbranch_execnz .LBB65_3
; %bb.4:
	s_or_b64 exec, exec, s[4:5]
.LBB65_5:
	s_or_b64 exec, exec, s[2:3]
	s_load_dwordx2 s[0:1], s[0:1], 0x10
	v_add_u32_e32 v2, v1, v2
	v_mov_b32_e32 v1, 0
	s_waitcnt lgkmcnt(0)
	v_lshl_add_u64 v[0:1], v[0:1], 2, s[0:1]
	global_store_dword v[0:1], v2, off
.LBB65_6:
	s_endpgm
	.section	.rodata,"a",@progbits
	.p2align	6, 0x0
	.amdhsa_kernel _ZN7rocprim17ROCPRIM_304000_NS6detail45device_block_merge_mergepath_partition_kernelINS1_37wrapped_merge_sort_block_merge_configINS0_14default_configEsN2at4cuda3cub6detail10OpaqueTypeILi8EEEEEPsjNS1_19radix_merge_compareILb0ELb0EsNS0_19identity_decomposerEEEEEvT0_T1_jPSH_T2_SH_
		.amdhsa_group_segment_fixed_size 0
		.amdhsa_private_segment_fixed_size 0
		.amdhsa_kernarg_size 32
		.amdhsa_user_sgpr_count 2
		.amdhsa_user_sgpr_dispatch_ptr 0
		.amdhsa_user_sgpr_queue_ptr 0
		.amdhsa_user_sgpr_kernarg_segment_ptr 1
		.amdhsa_user_sgpr_dispatch_id 0
		.amdhsa_user_sgpr_kernarg_preload_length 0
		.amdhsa_user_sgpr_kernarg_preload_offset 0
		.amdhsa_user_sgpr_private_segment_size 0
		.amdhsa_uses_dynamic_stack 0
		.amdhsa_enable_private_segment 0
		.amdhsa_system_sgpr_workgroup_id_x 1
		.amdhsa_system_sgpr_workgroup_id_y 0
		.amdhsa_system_sgpr_workgroup_id_z 0
		.amdhsa_system_sgpr_workgroup_info 0
		.amdhsa_system_vgpr_workitem_id 0
		.amdhsa_next_free_vgpr 17
		.amdhsa_next_free_sgpr 6
		.amdhsa_accum_offset 20
		.amdhsa_reserve_vcc 1
		.amdhsa_float_round_mode_32 0
		.amdhsa_float_round_mode_16_64 0
		.amdhsa_float_denorm_mode_32 3
		.amdhsa_float_denorm_mode_16_64 3
		.amdhsa_dx10_clamp 1
		.amdhsa_ieee_mode 1
		.amdhsa_fp16_overflow 0
		.amdhsa_tg_split 0
		.amdhsa_exception_fp_ieee_invalid_op 0
		.amdhsa_exception_fp_denorm_src 0
		.amdhsa_exception_fp_ieee_div_zero 0
		.amdhsa_exception_fp_ieee_overflow 0
		.amdhsa_exception_fp_ieee_underflow 0
		.amdhsa_exception_fp_ieee_inexact 0
		.amdhsa_exception_int_div_zero 0
	.end_amdhsa_kernel
	.section	.text._ZN7rocprim17ROCPRIM_304000_NS6detail45device_block_merge_mergepath_partition_kernelINS1_37wrapped_merge_sort_block_merge_configINS0_14default_configEsN2at4cuda3cub6detail10OpaqueTypeILi8EEEEEPsjNS1_19radix_merge_compareILb0ELb0EsNS0_19identity_decomposerEEEEEvT0_T1_jPSH_T2_SH_,"axG",@progbits,_ZN7rocprim17ROCPRIM_304000_NS6detail45device_block_merge_mergepath_partition_kernelINS1_37wrapped_merge_sort_block_merge_configINS0_14default_configEsN2at4cuda3cub6detail10OpaqueTypeILi8EEEEEPsjNS1_19radix_merge_compareILb0ELb0EsNS0_19identity_decomposerEEEEEvT0_T1_jPSH_T2_SH_,comdat
.Lfunc_end65:
	.size	_ZN7rocprim17ROCPRIM_304000_NS6detail45device_block_merge_mergepath_partition_kernelINS1_37wrapped_merge_sort_block_merge_configINS0_14default_configEsN2at4cuda3cub6detail10OpaqueTypeILi8EEEEEPsjNS1_19radix_merge_compareILb0ELb0EsNS0_19identity_decomposerEEEEEvT0_T1_jPSH_T2_SH_, .Lfunc_end65-_ZN7rocprim17ROCPRIM_304000_NS6detail45device_block_merge_mergepath_partition_kernelINS1_37wrapped_merge_sort_block_merge_configINS0_14default_configEsN2at4cuda3cub6detail10OpaqueTypeILi8EEEEEPsjNS1_19radix_merge_compareILb0ELb0EsNS0_19identity_decomposerEEEEEvT0_T1_jPSH_T2_SH_
                                        ; -- End function
	.set _ZN7rocprim17ROCPRIM_304000_NS6detail45device_block_merge_mergepath_partition_kernelINS1_37wrapped_merge_sort_block_merge_configINS0_14default_configEsN2at4cuda3cub6detail10OpaqueTypeILi8EEEEEPsjNS1_19radix_merge_compareILb0ELb0EsNS0_19identity_decomposerEEEEEvT0_T1_jPSH_T2_SH_.num_vgpr, 17
	.set _ZN7rocprim17ROCPRIM_304000_NS6detail45device_block_merge_mergepath_partition_kernelINS1_37wrapped_merge_sort_block_merge_configINS0_14default_configEsN2at4cuda3cub6detail10OpaqueTypeILi8EEEEEPsjNS1_19radix_merge_compareILb0ELb0EsNS0_19identity_decomposerEEEEEvT0_T1_jPSH_T2_SH_.num_agpr, 0
	.set _ZN7rocprim17ROCPRIM_304000_NS6detail45device_block_merge_mergepath_partition_kernelINS1_37wrapped_merge_sort_block_merge_configINS0_14default_configEsN2at4cuda3cub6detail10OpaqueTypeILi8EEEEEPsjNS1_19radix_merge_compareILb0ELb0EsNS0_19identity_decomposerEEEEEvT0_T1_jPSH_T2_SH_.numbered_sgpr, 6
	.set _ZN7rocprim17ROCPRIM_304000_NS6detail45device_block_merge_mergepath_partition_kernelINS1_37wrapped_merge_sort_block_merge_configINS0_14default_configEsN2at4cuda3cub6detail10OpaqueTypeILi8EEEEEPsjNS1_19radix_merge_compareILb0ELb0EsNS0_19identity_decomposerEEEEEvT0_T1_jPSH_T2_SH_.num_named_barrier, 0
	.set _ZN7rocprim17ROCPRIM_304000_NS6detail45device_block_merge_mergepath_partition_kernelINS1_37wrapped_merge_sort_block_merge_configINS0_14default_configEsN2at4cuda3cub6detail10OpaqueTypeILi8EEEEEPsjNS1_19radix_merge_compareILb0ELb0EsNS0_19identity_decomposerEEEEEvT0_T1_jPSH_T2_SH_.private_seg_size, 0
	.set _ZN7rocprim17ROCPRIM_304000_NS6detail45device_block_merge_mergepath_partition_kernelINS1_37wrapped_merge_sort_block_merge_configINS0_14default_configEsN2at4cuda3cub6detail10OpaqueTypeILi8EEEEEPsjNS1_19radix_merge_compareILb0ELb0EsNS0_19identity_decomposerEEEEEvT0_T1_jPSH_T2_SH_.uses_vcc, 1
	.set _ZN7rocprim17ROCPRIM_304000_NS6detail45device_block_merge_mergepath_partition_kernelINS1_37wrapped_merge_sort_block_merge_configINS0_14default_configEsN2at4cuda3cub6detail10OpaqueTypeILi8EEEEEPsjNS1_19radix_merge_compareILb0ELb0EsNS0_19identity_decomposerEEEEEvT0_T1_jPSH_T2_SH_.uses_flat_scratch, 0
	.set _ZN7rocprim17ROCPRIM_304000_NS6detail45device_block_merge_mergepath_partition_kernelINS1_37wrapped_merge_sort_block_merge_configINS0_14default_configEsN2at4cuda3cub6detail10OpaqueTypeILi8EEEEEPsjNS1_19radix_merge_compareILb0ELb0EsNS0_19identity_decomposerEEEEEvT0_T1_jPSH_T2_SH_.has_dyn_sized_stack, 0
	.set _ZN7rocprim17ROCPRIM_304000_NS6detail45device_block_merge_mergepath_partition_kernelINS1_37wrapped_merge_sort_block_merge_configINS0_14default_configEsN2at4cuda3cub6detail10OpaqueTypeILi8EEEEEPsjNS1_19radix_merge_compareILb0ELb0EsNS0_19identity_decomposerEEEEEvT0_T1_jPSH_T2_SH_.has_recursion, 0
	.set _ZN7rocprim17ROCPRIM_304000_NS6detail45device_block_merge_mergepath_partition_kernelINS1_37wrapped_merge_sort_block_merge_configINS0_14default_configEsN2at4cuda3cub6detail10OpaqueTypeILi8EEEEEPsjNS1_19radix_merge_compareILb0ELb0EsNS0_19identity_decomposerEEEEEvT0_T1_jPSH_T2_SH_.has_indirect_call, 0
	.section	.AMDGPU.csdata,"",@progbits
; Kernel info:
; codeLenInByte = 324
; TotalNumSgprs: 12
; NumVgprs: 17
; NumAgprs: 0
; TotalNumVgprs: 17
; ScratchSize: 0
; MemoryBound: 0
; FloatMode: 240
; IeeeMode: 1
; LDSByteSize: 0 bytes/workgroup (compile time only)
; SGPRBlocks: 1
; VGPRBlocks: 2
; NumSGPRsForWavesPerEU: 12
; NumVGPRsForWavesPerEU: 17
; AccumOffset: 20
; Occupancy: 8
; WaveLimiterHint : 0
; COMPUTE_PGM_RSRC2:SCRATCH_EN: 0
; COMPUTE_PGM_RSRC2:USER_SGPR: 2
; COMPUTE_PGM_RSRC2:TRAP_HANDLER: 0
; COMPUTE_PGM_RSRC2:TGID_X_EN: 1
; COMPUTE_PGM_RSRC2:TGID_Y_EN: 0
; COMPUTE_PGM_RSRC2:TGID_Z_EN: 0
; COMPUTE_PGM_RSRC2:TIDIG_COMP_CNT: 0
; COMPUTE_PGM_RSRC3_GFX90A:ACCUM_OFFSET: 4
; COMPUTE_PGM_RSRC3_GFX90A:TG_SPLIT: 0
	.section	.text._ZN7rocprim17ROCPRIM_304000_NS6detail35device_block_merge_mergepath_kernelINS1_37wrapped_merge_sort_block_merge_configINS0_14default_configEsN2at4cuda3cub6detail10OpaqueTypeILi8EEEEEPsSC_PSA_SD_jNS1_19radix_merge_compareILb0ELb0EsNS0_19identity_decomposerEEEEEvT0_T1_T2_T3_T4_SL_jT5_PKSL_NS1_7vsmem_tE,"axG",@progbits,_ZN7rocprim17ROCPRIM_304000_NS6detail35device_block_merge_mergepath_kernelINS1_37wrapped_merge_sort_block_merge_configINS0_14default_configEsN2at4cuda3cub6detail10OpaqueTypeILi8EEEEEPsSC_PSA_SD_jNS1_19radix_merge_compareILb0ELb0EsNS0_19identity_decomposerEEEEEvT0_T1_T2_T3_T4_SL_jT5_PKSL_NS1_7vsmem_tE,comdat
	.protected	_ZN7rocprim17ROCPRIM_304000_NS6detail35device_block_merge_mergepath_kernelINS1_37wrapped_merge_sort_block_merge_configINS0_14default_configEsN2at4cuda3cub6detail10OpaqueTypeILi8EEEEEPsSC_PSA_SD_jNS1_19radix_merge_compareILb0ELb0EsNS0_19identity_decomposerEEEEEvT0_T1_T2_T3_T4_SL_jT5_PKSL_NS1_7vsmem_tE ; -- Begin function _ZN7rocprim17ROCPRIM_304000_NS6detail35device_block_merge_mergepath_kernelINS1_37wrapped_merge_sort_block_merge_configINS0_14default_configEsN2at4cuda3cub6detail10OpaqueTypeILi8EEEEEPsSC_PSA_SD_jNS1_19radix_merge_compareILb0ELb0EsNS0_19identity_decomposerEEEEEvT0_T1_T2_T3_T4_SL_jT5_PKSL_NS1_7vsmem_tE
	.globl	_ZN7rocprim17ROCPRIM_304000_NS6detail35device_block_merge_mergepath_kernelINS1_37wrapped_merge_sort_block_merge_configINS0_14default_configEsN2at4cuda3cub6detail10OpaqueTypeILi8EEEEEPsSC_PSA_SD_jNS1_19radix_merge_compareILb0ELb0EsNS0_19identity_decomposerEEEEEvT0_T1_T2_T3_T4_SL_jT5_PKSL_NS1_7vsmem_tE
	.p2align	8
	.type	_ZN7rocprim17ROCPRIM_304000_NS6detail35device_block_merge_mergepath_kernelINS1_37wrapped_merge_sort_block_merge_configINS0_14default_configEsN2at4cuda3cub6detail10OpaqueTypeILi8EEEEEPsSC_PSA_SD_jNS1_19radix_merge_compareILb0ELb0EsNS0_19identity_decomposerEEEEEvT0_T1_T2_T3_T4_SL_jT5_PKSL_NS1_7vsmem_tE,@function
_ZN7rocprim17ROCPRIM_304000_NS6detail35device_block_merge_mergepath_kernelINS1_37wrapped_merge_sort_block_merge_configINS0_14default_configEsN2at4cuda3cub6detail10OpaqueTypeILi8EEEEEPsSC_PSA_SD_jNS1_19radix_merge_compareILb0ELb0EsNS0_19identity_decomposerEEEEEvT0_T1_T2_T3_T4_SL_jT5_PKSL_NS1_7vsmem_tE: ; @_ZN7rocprim17ROCPRIM_304000_NS6detail35device_block_merge_mergepath_kernelINS1_37wrapped_merge_sort_block_merge_configINS0_14default_configEsN2at4cuda3cub6detail10OpaqueTypeILi8EEEEEPsSC_PSA_SD_jNS1_19radix_merge_compareILb0ELb0EsNS0_19identity_decomposerEEEEEvT0_T1_T2_T3_T4_SL_jT5_PKSL_NS1_7vsmem_tE
; %bb.0:
	s_load_dwordx2 s[26:27], s[0:1], 0x40
	s_load_dwordx4 s[12:15], s[0:1], 0x20
	s_add_u32 s24, s0, 64
	s_addc_u32 s25, s1, 0
	s_waitcnt lgkmcnt(0)
	s_mul_i32 s4, s27, s4
	s_add_i32 s3, s4, s3
	s_mul_i32 s3, s3, s26
	s_add_i32 s22, s3, s2
	s_cmp_ge_u32 s22, s14
	s_cbranch_scc1 .LBB66_51
; %bb.1:
	s_load_dwordx8 s[4:11], s[0:1], 0x0
	s_load_dwordx2 s[14:15], s[0:1], 0x30
	s_lshr_b32 s30, s12, 10
	s_cmp_lg_u32 s22, s30
	s_mov_b32 s23, 0
	s_cselect_b64 s[16:17], -1, 0
	s_lshl_b64 s[0:1], s[22:23], 2
	s_waitcnt lgkmcnt(0)
	s_add_u32 s0, s14, s0
	s_addc_u32 s1, s15, s1
	s_load_dwordx2 s[18:19], s[0:1], 0x0
	s_lshr_b32 s0, s13, 9
	s_and_b32 s0, s0, 0x7ffffe
	s_sub_i32 s0, 0, s0
	s_and_b32 s1, s22, s0
	s_lshl_b32 s3, s1, 10
	s_lshl_b32 s14, s22, 10
	;; [unrolled: 1-line block ×3, first 2 shown]
	s_sub_i32 s15, s14, s3
	s_add_i32 s1, s1, s13
	s_add_i32 s15, s1, s15
	s_waitcnt lgkmcnt(0)
	s_sub_i32 s20, s15, s18
	s_sub_i32 s15, s15, s19
	;; [unrolled: 1-line block ×3, first 2 shown]
	s_min_u32 s20, s12, s20
	s_addk_i32 s15, 0x400
	s_or_b32 s0, s22, s0
	s_min_u32 s3, s12, s1
	s_add_i32 s1, s1, s13
	s_cmp_eq_u32 s0, -1
	s_cselect_b32 s0, s1, s15
	s_cselect_b32 s1, s3, s19
	s_min_u32 s0, s0, s12
	s_mov_b32 s19, s23
	s_sub_i32 s15, s1, s18
	s_sub_i32 s27, s0, s20
	s_lshl_b64 s[0:1], s[18:19], 1
	s_add_u32 s0, s4, s0
	s_mov_b32 s21, s23
	s_addc_u32 s1, s5, s1
	s_lshl_b64 s[28:29], s[20:21], 1
	s_add_u32 s4, s4, s28
	s_addc_u32 s5, s5, s29
	s_cmp_lt_u32 s2, s26
	v_mov_b32_e32 v3, 0
	s_cselect_b32 s2, 12, 18
	global_load_dword v1, v3, s[24:25] offset:14
	s_add_u32 s2, s24, s2
	s_addc_u32 s3, s25, 0
	global_load_ushort v2, v3, s[2:3]
	v_cmp_gt_u32_e32 vcc, s15, v0
	s_cmp_eq_u32 s22, s30
	s_waitcnt vmcnt(1)
	v_lshrrev_b32_e32 v4, 16, v1
	v_and_b32_e32 v1, 0xffff, v1
	v_mul_lo_u32 v1, v1, v4
	s_waitcnt vmcnt(0)
	v_mul_lo_u32 v1, v1, v2
	v_lshlrev_b32_e32 v2, 1, v0
	v_add_u32_e32 v4, v1, v0
	s_cbranch_scc1 .LBB66_3
; %bb.2:
	v_subrev_u32_e32 v1, s15, v0
	v_lshlrev_b32_e32 v8, 1, v1
	v_mov_b32_e32 v9, v3
	v_lshl_add_u64 v[6:7], s[0:1], 0, v[2:3]
	v_lshl_add_u64 v[8:9], s[4:5], 0, v[8:9]
	v_cndmask_b32_e32 v7, v9, v7, vcc
	v_cndmask_b32_e32 v6, v8, v6, vcc
	v_mov_b32_e32 v5, v3
	v_subrev_co_u32_e32 v8, vcc, s15, v4
	v_mov_b32_e32 v9, v3
	global_load_ushort v1, v[6:7], off
	v_lshl_add_u64 v[6:7], v[4:5], 1, s[0:1]
	v_lshl_add_u64 v[8:9], v[8:9], 1, s[4:5]
	v_cndmask_b32_e32 v7, v9, v7, vcc
	v_cndmask_b32_e32 v6, v8, v6, vcc
	global_load_ushort v3, v[6:7], off
	s_mov_b32 s2, 0x5040100
	s_add_i32 s13, s27, s15
	s_waitcnt vmcnt(0)
	v_perm_b32 v1, v3, v1, s2
	s_cbranch_execz .LBB66_4
	s_branch .LBB66_9
.LBB66_3:
                                        ; implicit-def: $vgpr1
                                        ; implicit-def: $sgpr13
.LBB66_4:
	s_add_i32 s13, s27, s15
	v_cmp_gt_u32_e32 vcc, s13, v0
	v_mov_b32_e32 v1, 0
	s_and_saveexec_b64 s[2:3], vcc
	s_cbranch_execz .LBB66_6
; %bb.5:
	v_mov_b32_e32 v3, 0
	v_subrev_u32_e32 v1, s15, v0
	v_lshlrev_b32_e32 v8, 1, v1
	v_mov_b32_e32 v9, v3
	v_lshl_add_u64 v[6:7], s[0:1], 0, v[2:3]
	v_lshl_add_u64 v[8:9], s[4:5], 0, v[8:9]
	v_cmp_gt_u32_e32 vcc, s15, v0
	s_nop 1
	v_cndmask_b32_e32 v7, v9, v7, vcc
	v_cndmask_b32_e32 v6, v8, v6, vcc
	global_load_ushort v1, v[6:7], off
	s_waitcnt vmcnt(0)
	v_and_b32_e32 v1, 0xffff, v1
.LBB66_6:
	s_or_b64 exec, exec, s[2:3]
	v_cmp_gt_u32_e32 vcc, s13, v4
	s_and_saveexec_b64 s[2:3], vcc
	s_cbranch_execz .LBB66_8
; %bb.7:
	v_mov_b32_e32 v5, 0
	v_lshl_add_u64 v[6:7], v[4:5], 1, s[0:1]
	v_subrev_co_u32_e32 v4, vcc, s15, v4
	v_lshl_add_u64 v[4:5], v[4:5], 1, s[4:5]
	s_nop 0
	v_cndmask_b32_e32 v5, v5, v7, vcc
	v_cndmask_b32_e32 v4, v4, v6, vcc
	global_load_ushort v3, v[4:5], off
	s_mov_b32 s0, 0x5040100
	s_waitcnt vmcnt(0)
	v_perm_b32 v1, v3, v1, s0
.LBB66_8:
	s_or_b64 exec, exec, s[2:3]
.LBB66_9:
	v_min_u32_e32 v3, s13, v2
	v_sub_u32_e64 v4, v3, s27 clamp
	v_min_u32_e32 v5, s15, v3
	v_cmp_lt_u32_e32 vcc, v4, v5
	ds_write_b16 v2, v1
	ds_write_b16_d16_hi v2, v1 offset:1024
	s_waitcnt lgkmcnt(0)
	s_barrier
	s_and_saveexec_b64 s[0:1], vcc
	s_cbranch_execz .LBB66_13
; %bb.10:
	v_lshlrev_b32_e32 v6, 1, v3
	v_lshl_add_u32 v6, s15, 1, v6
	s_mov_b64 s[2:3], 0
.LBB66_11:                              ; =>This Inner Loop Header: Depth=1
	v_add_u32_e32 v7, v5, v4
	v_lshrrev_b32_e32 v8, 1, v7
	v_not_b32_e32 v9, v8
	v_and_b32_e32 v7, -2, v7
	v_lshl_add_u32 v9, v9, 1, v6
	ds_read_u16 v7, v7
	ds_read_u16 v9, v9
	v_add_u32_e32 v10, 1, v8
	s_waitcnt lgkmcnt(0)
	v_cmp_gt_i16_e32 vcc, v7, v9
	s_nop 1
	v_cndmask_b32_e32 v5, v5, v8, vcc
	v_cndmask_b32_e32 v4, v10, v4, vcc
	v_cmp_ge_u32_e32 vcc, v4, v5
	s_or_b64 s[2:3], vcc, s[2:3]
	s_andn2_b64 exec, exec, s[2:3]
	s_cbranch_execnz .LBB66_11
; %bb.12:
	s_or_b64 exec, exec, s[2:3]
.LBB66_13:
	s_or_b64 exec, exec, s[0:1]
	v_sub_u32_e32 v3, v3, v4
	v_add_u32_e32 v5, s15, v3
	v_cmp_ge_u32_e32 vcc, s15, v4
	v_cmp_ge_u32_e64 s[0:1], s13, v5
	s_or_b64 s[0:1], vcc, s[0:1]
	v_mov_b32_e32 v3, 0
	v_mov_b32_e32 v8, 0
	s_and_saveexec_b64 s[4:5], s[0:1]
	s_cbranch_execz .LBB66_19
; %bb.14:
	v_cmp_gt_u32_e32 vcc, s15, v4
                                        ; implicit-def: $vgpr1
	s_and_saveexec_b64 s[0:1], vcc
; %bb.15:
	v_lshlrev_b32_e32 v1, 1, v4
	ds_read_u16 v1, v1
; %bb.16:
	s_or_b64 exec, exec, s[0:1]
	v_cmp_le_u32_e64 s[0:1], s13, v5
	v_cmp_gt_u32_e64 s[2:3], s13, v5
                                        ; implicit-def: $vgpr3
	s_and_saveexec_b64 s[22:23], s[2:3]
; %bb.17:
	v_lshlrev_b32_e32 v3, 1, v5
	ds_read_u16 v3, v3
; %bb.18:
	s_or_b64 exec, exec, s[22:23]
	s_waitcnt lgkmcnt(0)
	v_cmp_le_i16_e64 s[2:3], v1, v3
	s_and_b64 s[2:3], vcc, s[2:3]
	s_or_b64 vcc, s[0:1], s[2:3]
	v_mov_b32_e32 v6, s13
	v_mov_b32_e32 v7, s15
	v_cndmask_b32_e32 v8, v5, v4, vcc
	v_cndmask_b32_e32 v6, v6, v7, vcc
	v_add_u32_e32 v7, 1, v8
	v_add_u32_e32 v6, -1, v6
	v_min_u32_e32 v6, v7, v6
	v_lshlrev_b32_e32 v6, 1, v6
	ds_read_u16 v6, v6
	v_cndmask_b32_e32 v9, v3, v1, vcc
	v_cndmask_b32_e32 v4, v4, v7, vcc
	v_cmp_gt_u32_e64 s[0:1], s15, v4
	s_waitcnt lgkmcnt(0)
	v_cndmask_b32_e32 v10, v6, v3, vcc
	v_cndmask_b32_e32 v1, v1, v6, vcc
	v_cndmask_b32_e32 v3, v7, v5, vcc
	v_cmp_le_i16_e64 s[2:3], v1, v10
	v_cmp_le_u32_e32 vcc, s13, v3
	s_and_b64 s[0:1], s[0:1], s[2:3]
	s_or_b64 vcc, vcc, s[0:1]
	v_cndmask_b32_e32 v1, v10, v1, vcc
	s_mov_b32 s0, 0x5040100
	v_cndmask_b32_e32 v3, v3, v4, vcc
	v_perm_b32 v1, v1, v9, s0
.LBB66_19:
	s_or_b64 exec, exec, s[4:5]
	s_lshl_b64 s[0:1], s[18:19], 3
	s_add_u32 s18, s8, s0
	s_addc_u32 s19, s9, s1
	s_lshl_b64 s[0:1], s[20:21], 3
	s_add_u32 s8, s8, s0
	v_cndmask_b32_e64 v4, 0, 1, s[16:17]
	v_mov_b32_e32 v5, 0
	s_addc_u32 s9, s9, s1
	v_cmp_gt_u32_e64 s[4:5], s15, v0
	v_cmp_ne_u32_e64 s[0:1], 1, v4
	s_andn2_b64 vcc, exec, s[16:17]
	v_cmp_le_u32_e64 s[2:3], s15, v0
	s_barrier
	s_cbranch_vccnz .LBB66_21
; %bb.20:
	v_lshlrev_b32_e32 v4, 3, v0
	v_lshl_add_u64 v[6:7], s[18:19], 0, v[4:5]
	v_subrev_u32_e32 v4, s15, v0
	v_lshlrev_b32_e32 v4, 3, v4
	v_lshl_add_u64 v[4:5], s[8:9], 0, v[4:5]
	v_cndmask_b32_e64 v5, v5, v7, s[4:5]
	v_cndmask_b32_e64 v4, v4, v6, s[4:5]
	global_load_dwordx2 v[10:11], v[4:5], off
	v_or_b32_e32 v9, 0x200, v0
	v_mov_b32_e32 v4, s9
	v_mov_b32_e32 v5, s19
	;; [unrolled: 1-line block ×4, first 2 shown]
	v_subrev_u32_e32 v6, s15, v9
	v_cmp_gt_u32_e32 vcc, s15, v9
	v_mad_u32_u24 v7, v0, 6, v2
	s_nop 0
	v_cndmask_b32_e32 v5, v4, v5, vcc
	v_min_u32_e32 v6, v9, v6
	v_cndmask_b32_e32 v4, v12, v13, vcc
	s_mov_b64 s[4:5], -1
	s_waitcnt vmcnt(0)
	ds_write_b64 v7, v[10:11]
	s_cbranch_execz .LBB66_22
	s_branch .LBB66_31
.LBB66_21:
	s_mov_b64 s[4:5], 0
                                        ; implicit-def: $vgpr9
                                        ; implicit-def: $vgpr4_vgpr5
                                        ; implicit-def: $vgpr6
.LBB66_22:
	s_and_saveexec_b64 s[4:5], s[2:3]
	s_xor_b64 s[2:3], exec, s[4:5]
	s_cbranch_execz .LBB66_26
; %bb.23:
	v_subrev_u32_e32 v4, s15, v0
	v_cmp_gt_u32_e32 vcc, s27, v4
	s_and_saveexec_b64 s[4:5], vcc
	s_cbranch_execz .LBB66_25
; %bb.24:
	v_lshlrev_b32_e32 v4, 3, v4
	global_load_dwordx2 v[4:5], v4, s[8:9]
	v_mad_u32_u24 v6, v0, 6, v2
	s_waitcnt vmcnt(0)
	ds_write_b64 v6, v[4:5]
.LBB66_25:
	s_or_b64 exec, exec, s[4:5]
.LBB66_26:
	s_andn2_saveexec_b64 s[2:3], s[2:3]
	s_cbranch_execz .LBB66_28
; %bb.27:
	v_lshlrev_b32_e32 v4, 3, v0
	global_load_dwordx2 v[4:5], v4, s[18:19]
	v_mad_u32_u24 v6, v0, 6, v2
	s_waitcnt vmcnt(0)
	ds_write_b64 v6, v[4:5]
.LBB66_28:
	s_or_b64 exec, exec, s[2:3]
	v_or_b32_e32 v9, 0x200, v0
	v_cmp_le_u32_e32 vcc, s15, v9
	s_mov_b64 s[4:5], -1
	v_mov_b64_e32 v[4:5], s[18:19]
	v_mov_b32_e32 v6, v9
	s_and_saveexec_b64 s[2:3], vcc
; %bb.29:
	v_subrev_u32_e32 v6, s15, v9
	v_cmp_gt_u32_e32 vcc, s27, v6
	v_mov_b64_e32 v[4:5], s[8:9]
	s_orn2_b64 s[4:5], vcc, exec
; %bb.30:
	s_or_b64 exec, exec, s[2:3]
.LBB66_31:
	s_and_saveexec_b64 s[2:3], s[4:5]
	s_cbranch_execz .LBB66_33
; %bb.32:
	v_mov_b32_e32 v7, 0
	v_lshl_add_u64 v[4:5], v[6:7], 3, v[4:5]
	global_load_dwordx2 v[4:5], v[4:5], off
	v_lshlrev_b32_e32 v6, 3, v9
	s_waitcnt vmcnt(0)
	ds_write_b64 v6, v[4:5]
.LBB66_33:
	s_or_b64 exec, exec, s[2:3]
	s_and_b64 vcc, exec, s[0:1]
	v_add_u32_e32 v4, s14, v2
	s_waitcnt lgkmcnt(0)
	s_barrier
	s_cbranch_vccnz .LBB66_35
; %bb.34:
	v_lshlrev_b32_e32 v5, 3, v8
	ds_read_b64 v[6:7], v5
	v_mov_b32_e32 v5, 0
	v_lshl_add_u64 v[10:11], v[4:5], 3, s[10:11]
	s_mov_b64 s[0:1], -1
	s_waitcnt lgkmcnt(0)
	global_store_dwordx2 v[10:11], v[6:7], off
	s_cbranch_execz .LBB66_36
	s_branch .LBB66_41
.LBB66_35:
	s_mov_b64 s[0:1], 0
.LBB66_36:
	v_cmp_gt_u32_e32 vcc, s13, v2
	s_and_saveexec_b64 s[2:3], vcc
	s_cbranch_execz .LBB66_38
; %bb.37:
	v_lshlrev_b32_e32 v5, 3, v8
	ds_read_b64 v[6:7], v5
	v_mov_b32_e32 v5, 0
	v_lshl_add_u64 v[8:9], v[4:5], 3, s[10:11]
	s_waitcnt lgkmcnt(0)
	global_store_dwordx2 v[8:9], v[6:7], off
.LBB66_38:
	s_or_b64 exec, exec, s[2:3]
	v_or_b32_e32 v5, 1, v2
	v_cmp_gt_u32_e32 vcc, s13, v5
	s_and_saveexec_b64 s[2:3], vcc
; %bb.39:
	v_mov_b32_e32 v5, 0
	s_or_b64 s[0:1], s[0:1], exec
; %bb.40:
	s_or_b64 exec, exec, s[2:3]
.LBB66_41:
	s_and_saveexec_b64 s[2:3], s[0:1]
	s_cbranch_execz .LBB66_43
; %bb.42:
	v_lshlrev_b32_e32 v3, 3, v3
	ds_read_b64 v[6:7], v3
	v_lshl_add_u64 v[4:5], v[4:5], 3, s[10:11]
	s_waitcnt lgkmcnt(0)
	global_store_dwordx2 v[4:5], v[6:7], off offset:8
.LBB66_43:
	s_or_b64 exec, exec, s[2:3]
	v_lshrrev_b32_e32 v4, 3, v0
	v_and_b32_e32 v4, 60, v4
	v_lshrrev_b32_e32 v3, 4, v0
	v_lshl_add_u32 v4, v2, 1, v4
	s_barrier
	s_barrier
	ds_write_b32 v4, v1
	v_and_b32_e32 v1, 28, v3
	s_mov_b32 s15, 0
	v_add_u32_e32 v4, v1, v2
	v_or_b32_e32 v1, 0x200, v0
	s_lshl_b64 s[0:1], s[14:15], 1
	v_lshrrev_b32_e32 v3, 4, v1
	s_add_u32 s0, s6, s0
	v_and_b32_e32 v3, 60, v3
	s_addc_u32 s1, s7, s1
	v_add_u32_e32 v6, v3, v2
	v_mov_b32_e32 v3, 0
	v_lshl_add_u64 v[2:3], s[0:1], 0, v[2:3]
	s_and_b64 vcc, exec, s[16:17]
	s_waitcnt lgkmcnt(0)
	s_cbranch_vccz .LBB66_45
; %bb.44:
	s_barrier
	ds_read_u16 v7, v4
	ds_read_u16 v5, v6 offset:1024
	s_mov_b64 s[0:1], -1
	s_waitcnt lgkmcnt(1)
	global_store_short v[2:3], v7, off
	s_cbranch_execz .LBB66_46
	s_branch .LBB66_49
.LBB66_45:
	s_mov_b64 s[0:1], 0
                                        ; implicit-def: $vgpr5
.LBB66_46:
	s_barrier
	s_waitcnt lgkmcnt(0)
	ds_read_u16 v5, v6 offset:1024
	s_sub_i32 s2, s12, s14
	v_cmp_gt_u32_e32 vcc, s2, v0
	s_and_saveexec_b64 s[0:1], vcc
	s_cbranch_execz .LBB66_48
; %bb.47:
	ds_read_u16 v0, v4
	s_waitcnt lgkmcnt(0)
	global_store_short v[2:3], v0, off
.LBB66_48:
	s_or_b64 exec, exec, s[0:1]
	v_cmp_gt_u32_e64 s[0:1], s2, v1
.LBB66_49:
	s_and_saveexec_b64 s[2:3], s[0:1]
	s_cbranch_execz .LBB66_51
; %bb.50:
	s_waitcnt lgkmcnt(0)
	global_store_short v[2:3], v5, off offset:1024
.LBB66_51:
	s_endpgm
	.section	.rodata,"a",@progbits
	.p2align	6, 0x0
	.amdhsa_kernel _ZN7rocprim17ROCPRIM_304000_NS6detail35device_block_merge_mergepath_kernelINS1_37wrapped_merge_sort_block_merge_configINS0_14default_configEsN2at4cuda3cub6detail10OpaqueTypeILi8EEEEEPsSC_PSA_SD_jNS1_19radix_merge_compareILb0ELb0EsNS0_19identity_decomposerEEEEEvT0_T1_T2_T3_T4_SL_jT5_PKSL_NS1_7vsmem_tE
		.amdhsa_group_segment_fixed_size 8208
		.amdhsa_private_segment_fixed_size 0
		.amdhsa_kernarg_size 320
		.amdhsa_user_sgpr_count 2
		.amdhsa_user_sgpr_dispatch_ptr 0
		.amdhsa_user_sgpr_queue_ptr 0
		.amdhsa_user_sgpr_kernarg_segment_ptr 1
		.amdhsa_user_sgpr_dispatch_id 0
		.amdhsa_user_sgpr_kernarg_preload_length 0
		.amdhsa_user_sgpr_kernarg_preload_offset 0
		.amdhsa_user_sgpr_private_segment_size 0
		.amdhsa_uses_dynamic_stack 0
		.amdhsa_enable_private_segment 0
		.amdhsa_system_sgpr_workgroup_id_x 1
		.amdhsa_system_sgpr_workgroup_id_y 1
		.amdhsa_system_sgpr_workgroup_id_z 1
		.amdhsa_system_sgpr_workgroup_info 0
		.amdhsa_system_vgpr_workitem_id 0
		.amdhsa_next_free_vgpr 14
		.amdhsa_next_free_sgpr 31
		.amdhsa_accum_offset 16
		.amdhsa_reserve_vcc 1
		.amdhsa_float_round_mode_32 0
		.amdhsa_float_round_mode_16_64 0
		.amdhsa_float_denorm_mode_32 3
		.amdhsa_float_denorm_mode_16_64 3
		.amdhsa_dx10_clamp 1
		.amdhsa_ieee_mode 1
		.amdhsa_fp16_overflow 0
		.amdhsa_tg_split 0
		.amdhsa_exception_fp_ieee_invalid_op 0
		.amdhsa_exception_fp_denorm_src 0
		.amdhsa_exception_fp_ieee_div_zero 0
		.amdhsa_exception_fp_ieee_overflow 0
		.amdhsa_exception_fp_ieee_underflow 0
		.amdhsa_exception_fp_ieee_inexact 0
		.amdhsa_exception_int_div_zero 0
	.end_amdhsa_kernel
	.section	.text._ZN7rocprim17ROCPRIM_304000_NS6detail35device_block_merge_mergepath_kernelINS1_37wrapped_merge_sort_block_merge_configINS0_14default_configEsN2at4cuda3cub6detail10OpaqueTypeILi8EEEEEPsSC_PSA_SD_jNS1_19radix_merge_compareILb0ELb0EsNS0_19identity_decomposerEEEEEvT0_T1_T2_T3_T4_SL_jT5_PKSL_NS1_7vsmem_tE,"axG",@progbits,_ZN7rocprim17ROCPRIM_304000_NS6detail35device_block_merge_mergepath_kernelINS1_37wrapped_merge_sort_block_merge_configINS0_14default_configEsN2at4cuda3cub6detail10OpaqueTypeILi8EEEEEPsSC_PSA_SD_jNS1_19radix_merge_compareILb0ELb0EsNS0_19identity_decomposerEEEEEvT0_T1_T2_T3_T4_SL_jT5_PKSL_NS1_7vsmem_tE,comdat
.Lfunc_end66:
	.size	_ZN7rocprim17ROCPRIM_304000_NS6detail35device_block_merge_mergepath_kernelINS1_37wrapped_merge_sort_block_merge_configINS0_14default_configEsN2at4cuda3cub6detail10OpaqueTypeILi8EEEEEPsSC_PSA_SD_jNS1_19radix_merge_compareILb0ELb0EsNS0_19identity_decomposerEEEEEvT0_T1_T2_T3_T4_SL_jT5_PKSL_NS1_7vsmem_tE, .Lfunc_end66-_ZN7rocprim17ROCPRIM_304000_NS6detail35device_block_merge_mergepath_kernelINS1_37wrapped_merge_sort_block_merge_configINS0_14default_configEsN2at4cuda3cub6detail10OpaqueTypeILi8EEEEEPsSC_PSA_SD_jNS1_19radix_merge_compareILb0ELb0EsNS0_19identity_decomposerEEEEEvT0_T1_T2_T3_T4_SL_jT5_PKSL_NS1_7vsmem_tE
                                        ; -- End function
	.set _ZN7rocprim17ROCPRIM_304000_NS6detail35device_block_merge_mergepath_kernelINS1_37wrapped_merge_sort_block_merge_configINS0_14default_configEsN2at4cuda3cub6detail10OpaqueTypeILi8EEEEEPsSC_PSA_SD_jNS1_19radix_merge_compareILb0ELb0EsNS0_19identity_decomposerEEEEEvT0_T1_T2_T3_T4_SL_jT5_PKSL_NS1_7vsmem_tE.num_vgpr, 14
	.set _ZN7rocprim17ROCPRIM_304000_NS6detail35device_block_merge_mergepath_kernelINS1_37wrapped_merge_sort_block_merge_configINS0_14default_configEsN2at4cuda3cub6detail10OpaqueTypeILi8EEEEEPsSC_PSA_SD_jNS1_19radix_merge_compareILb0ELb0EsNS0_19identity_decomposerEEEEEvT0_T1_T2_T3_T4_SL_jT5_PKSL_NS1_7vsmem_tE.num_agpr, 0
	.set _ZN7rocprim17ROCPRIM_304000_NS6detail35device_block_merge_mergepath_kernelINS1_37wrapped_merge_sort_block_merge_configINS0_14default_configEsN2at4cuda3cub6detail10OpaqueTypeILi8EEEEEPsSC_PSA_SD_jNS1_19radix_merge_compareILb0ELb0EsNS0_19identity_decomposerEEEEEvT0_T1_T2_T3_T4_SL_jT5_PKSL_NS1_7vsmem_tE.numbered_sgpr, 31
	.set _ZN7rocprim17ROCPRIM_304000_NS6detail35device_block_merge_mergepath_kernelINS1_37wrapped_merge_sort_block_merge_configINS0_14default_configEsN2at4cuda3cub6detail10OpaqueTypeILi8EEEEEPsSC_PSA_SD_jNS1_19radix_merge_compareILb0ELb0EsNS0_19identity_decomposerEEEEEvT0_T1_T2_T3_T4_SL_jT5_PKSL_NS1_7vsmem_tE.num_named_barrier, 0
	.set _ZN7rocprim17ROCPRIM_304000_NS6detail35device_block_merge_mergepath_kernelINS1_37wrapped_merge_sort_block_merge_configINS0_14default_configEsN2at4cuda3cub6detail10OpaqueTypeILi8EEEEEPsSC_PSA_SD_jNS1_19radix_merge_compareILb0ELb0EsNS0_19identity_decomposerEEEEEvT0_T1_T2_T3_T4_SL_jT5_PKSL_NS1_7vsmem_tE.private_seg_size, 0
	.set _ZN7rocprim17ROCPRIM_304000_NS6detail35device_block_merge_mergepath_kernelINS1_37wrapped_merge_sort_block_merge_configINS0_14default_configEsN2at4cuda3cub6detail10OpaqueTypeILi8EEEEEPsSC_PSA_SD_jNS1_19radix_merge_compareILb0ELb0EsNS0_19identity_decomposerEEEEEvT0_T1_T2_T3_T4_SL_jT5_PKSL_NS1_7vsmem_tE.uses_vcc, 1
	.set _ZN7rocprim17ROCPRIM_304000_NS6detail35device_block_merge_mergepath_kernelINS1_37wrapped_merge_sort_block_merge_configINS0_14default_configEsN2at4cuda3cub6detail10OpaqueTypeILi8EEEEEPsSC_PSA_SD_jNS1_19radix_merge_compareILb0ELb0EsNS0_19identity_decomposerEEEEEvT0_T1_T2_T3_T4_SL_jT5_PKSL_NS1_7vsmem_tE.uses_flat_scratch, 0
	.set _ZN7rocprim17ROCPRIM_304000_NS6detail35device_block_merge_mergepath_kernelINS1_37wrapped_merge_sort_block_merge_configINS0_14default_configEsN2at4cuda3cub6detail10OpaqueTypeILi8EEEEEPsSC_PSA_SD_jNS1_19radix_merge_compareILb0ELb0EsNS0_19identity_decomposerEEEEEvT0_T1_T2_T3_T4_SL_jT5_PKSL_NS1_7vsmem_tE.has_dyn_sized_stack, 0
	.set _ZN7rocprim17ROCPRIM_304000_NS6detail35device_block_merge_mergepath_kernelINS1_37wrapped_merge_sort_block_merge_configINS0_14default_configEsN2at4cuda3cub6detail10OpaqueTypeILi8EEEEEPsSC_PSA_SD_jNS1_19radix_merge_compareILb0ELb0EsNS0_19identity_decomposerEEEEEvT0_T1_T2_T3_T4_SL_jT5_PKSL_NS1_7vsmem_tE.has_recursion, 0
	.set _ZN7rocprim17ROCPRIM_304000_NS6detail35device_block_merge_mergepath_kernelINS1_37wrapped_merge_sort_block_merge_configINS0_14default_configEsN2at4cuda3cub6detail10OpaqueTypeILi8EEEEEPsSC_PSA_SD_jNS1_19radix_merge_compareILb0ELb0EsNS0_19identity_decomposerEEEEEvT0_T1_T2_T3_T4_SL_jT5_PKSL_NS1_7vsmem_tE.has_indirect_call, 0
	.section	.AMDGPU.csdata,"",@progbits
; Kernel info:
; codeLenInByte = 1868
; TotalNumSgprs: 37
; NumVgprs: 14
; NumAgprs: 0
; TotalNumVgprs: 14
; ScratchSize: 0
; MemoryBound: 0
; FloatMode: 240
; IeeeMode: 1
; LDSByteSize: 8208 bytes/workgroup (compile time only)
; SGPRBlocks: 4
; VGPRBlocks: 1
; NumSGPRsForWavesPerEU: 37
; NumVGPRsForWavesPerEU: 14
; AccumOffset: 16
; Occupancy: 8
; WaveLimiterHint : 1
; COMPUTE_PGM_RSRC2:SCRATCH_EN: 0
; COMPUTE_PGM_RSRC2:USER_SGPR: 2
; COMPUTE_PGM_RSRC2:TRAP_HANDLER: 0
; COMPUTE_PGM_RSRC2:TGID_X_EN: 1
; COMPUTE_PGM_RSRC2:TGID_Y_EN: 1
; COMPUTE_PGM_RSRC2:TGID_Z_EN: 1
; COMPUTE_PGM_RSRC2:TIDIG_COMP_CNT: 0
; COMPUTE_PGM_RSRC3_GFX90A:ACCUM_OFFSET: 3
; COMPUTE_PGM_RSRC3_GFX90A:TG_SPLIT: 0
	.section	.text._ZN7rocprim17ROCPRIM_304000_NS6detail33device_block_merge_oddeven_kernelINS1_37wrapped_merge_sort_block_merge_configINS0_14default_configEsN2at4cuda3cub6detail10OpaqueTypeILi8EEEEEPsSC_PSA_SD_jNS1_19radix_merge_compareILb0ELb0EsNS0_19identity_decomposerEEEEEvT0_T1_T2_T3_T4_SL_T5_,"axG",@progbits,_ZN7rocprim17ROCPRIM_304000_NS6detail33device_block_merge_oddeven_kernelINS1_37wrapped_merge_sort_block_merge_configINS0_14default_configEsN2at4cuda3cub6detail10OpaqueTypeILi8EEEEEPsSC_PSA_SD_jNS1_19radix_merge_compareILb0ELb0EsNS0_19identity_decomposerEEEEEvT0_T1_T2_T3_T4_SL_T5_,comdat
	.protected	_ZN7rocprim17ROCPRIM_304000_NS6detail33device_block_merge_oddeven_kernelINS1_37wrapped_merge_sort_block_merge_configINS0_14default_configEsN2at4cuda3cub6detail10OpaqueTypeILi8EEEEEPsSC_PSA_SD_jNS1_19radix_merge_compareILb0ELb0EsNS0_19identity_decomposerEEEEEvT0_T1_T2_T3_T4_SL_T5_ ; -- Begin function _ZN7rocprim17ROCPRIM_304000_NS6detail33device_block_merge_oddeven_kernelINS1_37wrapped_merge_sort_block_merge_configINS0_14default_configEsN2at4cuda3cub6detail10OpaqueTypeILi8EEEEEPsSC_PSA_SD_jNS1_19radix_merge_compareILb0ELb0EsNS0_19identity_decomposerEEEEEvT0_T1_T2_T3_T4_SL_T5_
	.globl	_ZN7rocprim17ROCPRIM_304000_NS6detail33device_block_merge_oddeven_kernelINS1_37wrapped_merge_sort_block_merge_configINS0_14default_configEsN2at4cuda3cub6detail10OpaqueTypeILi8EEEEEPsSC_PSA_SD_jNS1_19radix_merge_compareILb0ELb0EsNS0_19identity_decomposerEEEEEvT0_T1_T2_T3_T4_SL_T5_
	.p2align	8
	.type	_ZN7rocprim17ROCPRIM_304000_NS6detail33device_block_merge_oddeven_kernelINS1_37wrapped_merge_sort_block_merge_configINS0_14default_configEsN2at4cuda3cub6detail10OpaqueTypeILi8EEEEEPsSC_PSA_SD_jNS1_19radix_merge_compareILb0ELb0EsNS0_19identity_decomposerEEEEEvT0_T1_T2_T3_T4_SL_T5_,@function
_ZN7rocprim17ROCPRIM_304000_NS6detail33device_block_merge_oddeven_kernelINS1_37wrapped_merge_sort_block_merge_configINS0_14default_configEsN2at4cuda3cub6detail10OpaqueTypeILi8EEEEEPsSC_PSA_SD_jNS1_19radix_merge_compareILb0ELb0EsNS0_19identity_decomposerEEEEEvT0_T1_T2_T3_T4_SL_T5_: ; @_ZN7rocprim17ROCPRIM_304000_NS6detail33device_block_merge_oddeven_kernelINS1_37wrapped_merge_sort_block_merge_configINS0_14default_configEsN2at4cuda3cub6detail10OpaqueTypeILi8EEEEEPsSC_PSA_SD_jNS1_19radix_merge_compareILb0ELb0EsNS0_19identity_decomposerEEEEEvT0_T1_T2_T3_T4_SL_T5_
; %bb.0:
	s_load_dwordx2 s[16:17], s[0:1], 0x20
	s_waitcnt lgkmcnt(0)
	s_lshr_b32 s3, s16, 8
	s_cmp_eq_u32 s2, s3
	s_cselect_b64 s[6:7], -1, 0
	s_cmp_lg_u32 s2, s3
	s_cselect_b64 s[8:9], -1, 0
	s_lshl_b32 s18, s2, 8
	s_sub_i32 s3, s16, s18
	v_cmp_gt_u32_e64 s[4:5], s3, v0
	s_or_b64 s[8:9], s[8:9], s[4:5]
	s_and_saveexec_b64 s[10:11], s[8:9]
	s_cbranch_execz .LBB67_24
; %bb.1:
	s_load_dwordx8 s[8:15], s[0:1], 0x0
	s_mov_b32 s19, 0
	s_lshl_b64 s[0:1], s[18:19], 1
	v_lshlrev_b32_e32 v5, 3, v0
	v_lshlrev_b32_e32 v1, 1, v0
	s_waitcnt lgkmcnt(0)
	s_add_u32 s0, s8, s0
	s_addc_u32 s1, s9, s1
	s_lshl_b64 s[20:21], s[18:19], 3
	s_add_u32 s12, s12, s20
	s_addc_u32 s13, s13, s21
	global_load_dwordx2 v[2:3], v5, s[12:13]
	global_load_ushort v4, v1, s[0:1]
	s_lshr_b32 s0, s17, 8
	s_sub_i32 s1, 0, s0
	s_and_b32 s1, s2, s1
	s_and_b32 s0, s1, s0
	s_lshl_b32 s19, s1, 8
	s_sub_i32 s12, 0, s17
	s_cmp_eq_u32 s0, 0
	s_cselect_b64 s[0:1], -1, 0
	s_and_b64 s[2:3], s[0:1], exec
	s_cselect_b32 s12, s17, s12
	s_add_i32 s12, s12, s19
	s_mov_b64 s[2:3], -1
	s_cmp_gt_u32 s16, s12
	v_add_u32_e32 v0, s18, v0
	s_cbranch_scc1 .LBB67_9
; %bb.2:
	s_and_b64 vcc, exec, s[6:7]
	s_cbranch_vccz .LBB67_6
; %bb.3:
	v_cmp_gt_u32_e32 vcc, s16, v0
	s_and_saveexec_b64 s[2:3], vcc
	s_cbranch_execz .LBB67_5
; %bb.4:
	v_mov_b32_e32 v1, 0
	v_lshl_add_u64 v[8:9], v[0:1], 1, s[10:11]
	v_lshl_add_u64 v[6:7], v[0:1], 3, s[14:15]
	s_waitcnt vmcnt(0)
	global_store_short v[8:9], v4, off
	global_store_dwordx2 v[6:7], v[2:3], off
.LBB67_5:
	s_or_b64 exec, exec, s[2:3]
	s_mov_b64 s[2:3], 0
.LBB67_6:
	s_andn2_b64 vcc, exec, s[2:3]
	s_cbranch_vccnz .LBB67_8
; %bb.7:
	v_mov_b32_e32 v1, 0
	v_lshl_add_u64 v[6:7], v[0:1], 1, s[10:11]
	v_lshl_add_u64 v[8:9], v[0:1], 3, s[14:15]
	s_waitcnt vmcnt(0)
	global_store_short v[6:7], v4, off
	global_store_dwordx2 v[8:9], v[2:3], off
.LBB67_8:
	s_mov_b64 s[2:3], 0
.LBB67_9:
	s_andn2_b64 vcc, exec, s[2:3]
	s_cbranch_vccnz .LBB67_24
; %bb.10:
	s_min_u32 s13, s12, s16
	s_add_i32 s2, s13, s17
	s_min_u32 s16, s2, s16
	s_min_u32 s2, s19, s13
	s_add_i32 s19, s19, s13
	v_subrev_u32_e32 v0, s19, v0
	v_add_u32_e32 v0, s2, v0
	s_andn2_b64 vcc, exec, s[6:7]
	s_mov_b64 s[2:3], -1
	s_cbranch_vccnz .LBB67_18
; %bb.11:
	s_and_saveexec_b64 s[2:3], s[4:5]
	s_cbranch_execz .LBB67_17
; %bb.12:
	s_cmp_ge_u32 s12, s16
	v_mov_b32_e32 v1, s13
	s_cbranch_scc1 .LBB67_16
; %bb.13:
	s_mov_b64 s[4:5], 0
	v_mov_b32_e32 v5, s16
	v_mov_b32_e32 v1, s13
.LBB67_14:                              ; =>This Inner Loop Header: Depth=1
	v_add_u32_e32 v6, v1, v5
	v_and_b32_e32 v7, -2, v6
	global_load_ushort v7, v7, s[8:9]
	v_lshrrev_b32_e32 v6, 1, v6
	v_add_u32_e32 v8, 1, v6
	s_waitcnt vmcnt(0)
	v_cmp_gt_i16_e32 vcc, v4, v7
	s_nop 1
	v_cndmask_b32_e64 v9, 0, 1, vcc
	v_cmp_le_i16_e32 vcc, v7, v4
	s_nop 1
	v_cndmask_b32_e64 v7, 0, 1, vcc
	v_cndmask_b32_e64 v7, v7, v9, s[0:1]
	v_and_b32_e32 v7, 1, v7
	v_cmp_eq_u32_e32 vcc, 1, v7
	s_nop 1
	v_cndmask_b32_e32 v5, v6, v5, vcc
	v_cndmask_b32_e32 v1, v1, v8, vcc
	v_cmp_ge_u32_e32 vcc, v1, v5
	s_or_b64 s[4:5], vcc, s[4:5]
	s_andn2_b64 exec, exec, s[4:5]
	s_cbranch_execnz .LBB67_14
; %bb.15:
	s_or_b64 exec, exec, s[4:5]
.LBB67_16:
	v_add_u32_e32 v6, v1, v0
	v_mov_b32_e32 v7, 0
	v_lshl_add_u64 v[8:9], v[6:7], 1, s[10:11]
	v_lshl_add_u64 v[6:7], v[6:7], 3, s[14:15]
	s_waitcnt vmcnt(0)
	global_store_short v[8:9], v4, off
	global_store_dwordx2 v[6:7], v[2:3], off
.LBB67_17:
	s_or_b64 exec, exec, s[2:3]
	s_mov_b64 s[2:3], 0
.LBB67_18:
	s_andn2_b64 vcc, exec, s[2:3]
	s_cbranch_vccnz .LBB67_24
; %bb.19:
	s_cmp_ge_u32 s12, s16
	v_mov_b32_e32 v1, s13
	s_cbranch_scc1 .LBB67_23
; %bb.20:
	s_mov_b64 s[2:3], 0
	v_mov_b32_e32 v5, s16
	v_mov_b32_e32 v1, s13
.LBB67_21:                              ; =>This Inner Loop Header: Depth=1
	v_add_u32_e32 v6, v1, v5
	v_and_b32_e32 v7, -2, v6
	global_load_ushort v7, v7, s[8:9]
	v_lshrrev_b32_e32 v6, 1, v6
	v_add_u32_e32 v8, 1, v6
	s_waitcnt vmcnt(0)
	v_cmp_gt_i16_e32 vcc, v4, v7
	s_nop 1
	v_cndmask_b32_e64 v9, 0, 1, vcc
	v_cmp_le_i16_e32 vcc, v7, v4
	s_nop 1
	v_cndmask_b32_e64 v7, 0, 1, vcc
	v_cndmask_b32_e64 v7, v7, v9, s[0:1]
	v_and_b32_e32 v7, 1, v7
	v_cmp_eq_u32_e32 vcc, 1, v7
	s_nop 1
	v_cndmask_b32_e32 v5, v6, v5, vcc
	v_cndmask_b32_e32 v1, v1, v8, vcc
	v_cmp_ge_u32_e32 vcc, v1, v5
	s_or_b64 s[2:3], vcc, s[2:3]
	s_andn2_b64 exec, exec, s[2:3]
	s_cbranch_execnz .LBB67_21
; %bb.22:
	s_or_b64 exec, exec, s[2:3]
.LBB67_23:
	v_add_u32_e32 v0, v1, v0
	v_mov_b32_e32 v1, 0
	v_lshl_add_u64 v[6:7], v[0:1], 1, s[10:11]
	v_lshl_add_u64 v[0:1], v[0:1], 3, s[14:15]
	s_waitcnt vmcnt(0)
	global_store_short v[6:7], v4, off
	global_store_dwordx2 v[0:1], v[2:3], off
.LBB67_24:
	s_endpgm
	.section	.rodata,"a",@progbits
	.p2align	6, 0x0
	.amdhsa_kernel _ZN7rocprim17ROCPRIM_304000_NS6detail33device_block_merge_oddeven_kernelINS1_37wrapped_merge_sort_block_merge_configINS0_14default_configEsN2at4cuda3cub6detail10OpaqueTypeILi8EEEEEPsSC_PSA_SD_jNS1_19radix_merge_compareILb0ELb0EsNS0_19identity_decomposerEEEEEvT0_T1_T2_T3_T4_SL_T5_
		.amdhsa_group_segment_fixed_size 0
		.amdhsa_private_segment_fixed_size 0
		.amdhsa_kernarg_size 44
		.amdhsa_user_sgpr_count 2
		.amdhsa_user_sgpr_dispatch_ptr 0
		.amdhsa_user_sgpr_queue_ptr 0
		.amdhsa_user_sgpr_kernarg_segment_ptr 1
		.amdhsa_user_sgpr_dispatch_id 0
		.amdhsa_user_sgpr_kernarg_preload_length 0
		.amdhsa_user_sgpr_kernarg_preload_offset 0
		.amdhsa_user_sgpr_private_segment_size 0
		.amdhsa_uses_dynamic_stack 0
		.amdhsa_enable_private_segment 0
		.amdhsa_system_sgpr_workgroup_id_x 1
		.amdhsa_system_sgpr_workgroup_id_y 0
		.amdhsa_system_sgpr_workgroup_id_z 0
		.amdhsa_system_sgpr_workgroup_info 0
		.amdhsa_system_vgpr_workitem_id 0
		.amdhsa_next_free_vgpr 10
		.amdhsa_next_free_sgpr 22
		.amdhsa_accum_offset 12
		.amdhsa_reserve_vcc 1
		.amdhsa_float_round_mode_32 0
		.amdhsa_float_round_mode_16_64 0
		.amdhsa_float_denorm_mode_32 3
		.amdhsa_float_denorm_mode_16_64 3
		.amdhsa_dx10_clamp 1
		.amdhsa_ieee_mode 1
		.amdhsa_fp16_overflow 0
		.amdhsa_tg_split 0
		.amdhsa_exception_fp_ieee_invalid_op 0
		.amdhsa_exception_fp_denorm_src 0
		.amdhsa_exception_fp_ieee_div_zero 0
		.amdhsa_exception_fp_ieee_overflow 0
		.amdhsa_exception_fp_ieee_underflow 0
		.amdhsa_exception_fp_ieee_inexact 0
		.amdhsa_exception_int_div_zero 0
	.end_amdhsa_kernel
	.section	.text._ZN7rocprim17ROCPRIM_304000_NS6detail33device_block_merge_oddeven_kernelINS1_37wrapped_merge_sort_block_merge_configINS0_14default_configEsN2at4cuda3cub6detail10OpaqueTypeILi8EEEEEPsSC_PSA_SD_jNS1_19radix_merge_compareILb0ELb0EsNS0_19identity_decomposerEEEEEvT0_T1_T2_T3_T4_SL_T5_,"axG",@progbits,_ZN7rocprim17ROCPRIM_304000_NS6detail33device_block_merge_oddeven_kernelINS1_37wrapped_merge_sort_block_merge_configINS0_14default_configEsN2at4cuda3cub6detail10OpaqueTypeILi8EEEEEPsSC_PSA_SD_jNS1_19radix_merge_compareILb0ELb0EsNS0_19identity_decomposerEEEEEvT0_T1_T2_T3_T4_SL_T5_,comdat
.Lfunc_end67:
	.size	_ZN7rocprim17ROCPRIM_304000_NS6detail33device_block_merge_oddeven_kernelINS1_37wrapped_merge_sort_block_merge_configINS0_14default_configEsN2at4cuda3cub6detail10OpaqueTypeILi8EEEEEPsSC_PSA_SD_jNS1_19radix_merge_compareILb0ELb0EsNS0_19identity_decomposerEEEEEvT0_T1_T2_T3_T4_SL_T5_, .Lfunc_end67-_ZN7rocprim17ROCPRIM_304000_NS6detail33device_block_merge_oddeven_kernelINS1_37wrapped_merge_sort_block_merge_configINS0_14default_configEsN2at4cuda3cub6detail10OpaqueTypeILi8EEEEEPsSC_PSA_SD_jNS1_19radix_merge_compareILb0ELb0EsNS0_19identity_decomposerEEEEEvT0_T1_T2_T3_T4_SL_T5_
                                        ; -- End function
	.set _ZN7rocprim17ROCPRIM_304000_NS6detail33device_block_merge_oddeven_kernelINS1_37wrapped_merge_sort_block_merge_configINS0_14default_configEsN2at4cuda3cub6detail10OpaqueTypeILi8EEEEEPsSC_PSA_SD_jNS1_19radix_merge_compareILb0ELb0EsNS0_19identity_decomposerEEEEEvT0_T1_T2_T3_T4_SL_T5_.num_vgpr, 10
	.set _ZN7rocprim17ROCPRIM_304000_NS6detail33device_block_merge_oddeven_kernelINS1_37wrapped_merge_sort_block_merge_configINS0_14default_configEsN2at4cuda3cub6detail10OpaqueTypeILi8EEEEEPsSC_PSA_SD_jNS1_19radix_merge_compareILb0ELb0EsNS0_19identity_decomposerEEEEEvT0_T1_T2_T3_T4_SL_T5_.num_agpr, 0
	.set _ZN7rocprim17ROCPRIM_304000_NS6detail33device_block_merge_oddeven_kernelINS1_37wrapped_merge_sort_block_merge_configINS0_14default_configEsN2at4cuda3cub6detail10OpaqueTypeILi8EEEEEPsSC_PSA_SD_jNS1_19radix_merge_compareILb0ELb0EsNS0_19identity_decomposerEEEEEvT0_T1_T2_T3_T4_SL_T5_.numbered_sgpr, 22
	.set _ZN7rocprim17ROCPRIM_304000_NS6detail33device_block_merge_oddeven_kernelINS1_37wrapped_merge_sort_block_merge_configINS0_14default_configEsN2at4cuda3cub6detail10OpaqueTypeILi8EEEEEPsSC_PSA_SD_jNS1_19radix_merge_compareILb0ELb0EsNS0_19identity_decomposerEEEEEvT0_T1_T2_T3_T4_SL_T5_.num_named_barrier, 0
	.set _ZN7rocprim17ROCPRIM_304000_NS6detail33device_block_merge_oddeven_kernelINS1_37wrapped_merge_sort_block_merge_configINS0_14default_configEsN2at4cuda3cub6detail10OpaqueTypeILi8EEEEEPsSC_PSA_SD_jNS1_19radix_merge_compareILb0ELb0EsNS0_19identity_decomposerEEEEEvT0_T1_T2_T3_T4_SL_T5_.private_seg_size, 0
	.set _ZN7rocprim17ROCPRIM_304000_NS6detail33device_block_merge_oddeven_kernelINS1_37wrapped_merge_sort_block_merge_configINS0_14default_configEsN2at4cuda3cub6detail10OpaqueTypeILi8EEEEEPsSC_PSA_SD_jNS1_19radix_merge_compareILb0ELb0EsNS0_19identity_decomposerEEEEEvT0_T1_T2_T3_T4_SL_T5_.uses_vcc, 1
	.set _ZN7rocprim17ROCPRIM_304000_NS6detail33device_block_merge_oddeven_kernelINS1_37wrapped_merge_sort_block_merge_configINS0_14default_configEsN2at4cuda3cub6detail10OpaqueTypeILi8EEEEEPsSC_PSA_SD_jNS1_19radix_merge_compareILb0ELb0EsNS0_19identity_decomposerEEEEEvT0_T1_T2_T3_T4_SL_T5_.uses_flat_scratch, 0
	.set _ZN7rocprim17ROCPRIM_304000_NS6detail33device_block_merge_oddeven_kernelINS1_37wrapped_merge_sort_block_merge_configINS0_14default_configEsN2at4cuda3cub6detail10OpaqueTypeILi8EEEEEPsSC_PSA_SD_jNS1_19radix_merge_compareILb0ELb0EsNS0_19identity_decomposerEEEEEvT0_T1_T2_T3_T4_SL_T5_.has_dyn_sized_stack, 0
	.set _ZN7rocprim17ROCPRIM_304000_NS6detail33device_block_merge_oddeven_kernelINS1_37wrapped_merge_sort_block_merge_configINS0_14default_configEsN2at4cuda3cub6detail10OpaqueTypeILi8EEEEEPsSC_PSA_SD_jNS1_19radix_merge_compareILb0ELb0EsNS0_19identity_decomposerEEEEEvT0_T1_T2_T3_T4_SL_T5_.has_recursion, 0
	.set _ZN7rocprim17ROCPRIM_304000_NS6detail33device_block_merge_oddeven_kernelINS1_37wrapped_merge_sort_block_merge_configINS0_14default_configEsN2at4cuda3cub6detail10OpaqueTypeILi8EEEEEPsSC_PSA_SD_jNS1_19radix_merge_compareILb0ELb0EsNS0_19identity_decomposerEEEEEvT0_T1_T2_T3_T4_SL_T5_.has_indirect_call, 0
	.section	.AMDGPU.csdata,"",@progbits
; Kernel info:
; codeLenInByte = 732
; TotalNumSgprs: 28
; NumVgprs: 10
; NumAgprs: 0
; TotalNumVgprs: 10
; ScratchSize: 0
; MemoryBound: 0
; FloatMode: 240
; IeeeMode: 1
; LDSByteSize: 0 bytes/workgroup (compile time only)
; SGPRBlocks: 3
; VGPRBlocks: 1
; NumSGPRsForWavesPerEU: 28
; NumVGPRsForWavesPerEU: 10
; AccumOffset: 12
; Occupancy: 8
; WaveLimiterHint : 0
; COMPUTE_PGM_RSRC2:SCRATCH_EN: 0
; COMPUTE_PGM_RSRC2:USER_SGPR: 2
; COMPUTE_PGM_RSRC2:TRAP_HANDLER: 0
; COMPUTE_PGM_RSRC2:TGID_X_EN: 1
; COMPUTE_PGM_RSRC2:TGID_Y_EN: 0
; COMPUTE_PGM_RSRC2:TGID_Z_EN: 0
; COMPUTE_PGM_RSRC2:TIDIG_COMP_CNT: 0
; COMPUTE_PGM_RSRC3_GFX90A:ACCUM_OFFSET: 2
; COMPUTE_PGM_RSRC3_GFX90A:TG_SPLIT: 0
	.section	.text._ZN7rocprim17ROCPRIM_304000_NS6detail45device_block_merge_mergepath_partition_kernelINS1_37wrapped_merge_sort_block_merge_configINS0_14default_configEsN2at4cuda3cub6detail10OpaqueTypeILi8EEEEEPsjNS1_19radix_merge_compareILb0ELb1EsNS0_19identity_decomposerEEEEEvT0_T1_jPSH_T2_SH_,"axG",@progbits,_ZN7rocprim17ROCPRIM_304000_NS6detail45device_block_merge_mergepath_partition_kernelINS1_37wrapped_merge_sort_block_merge_configINS0_14default_configEsN2at4cuda3cub6detail10OpaqueTypeILi8EEEEEPsjNS1_19radix_merge_compareILb0ELb1EsNS0_19identity_decomposerEEEEEvT0_T1_jPSH_T2_SH_,comdat
	.protected	_ZN7rocprim17ROCPRIM_304000_NS6detail45device_block_merge_mergepath_partition_kernelINS1_37wrapped_merge_sort_block_merge_configINS0_14default_configEsN2at4cuda3cub6detail10OpaqueTypeILi8EEEEEPsjNS1_19radix_merge_compareILb0ELb1EsNS0_19identity_decomposerEEEEEvT0_T1_jPSH_T2_SH_ ; -- Begin function _ZN7rocprim17ROCPRIM_304000_NS6detail45device_block_merge_mergepath_partition_kernelINS1_37wrapped_merge_sort_block_merge_configINS0_14default_configEsN2at4cuda3cub6detail10OpaqueTypeILi8EEEEEPsjNS1_19radix_merge_compareILb0ELb1EsNS0_19identity_decomposerEEEEEvT0_T1_jPSH_T2_SH_
	.globl	_ZN7rocprim17ROCPRIM_304000_NS6detail45device_block_merge_mergepath_partition_kernelINS1_37wrapped_merge_sort_block_merge_configINS0_14default_configEsN2at4cuda3cub6detail10OpaqueTypeILi8EEEEEPsjNS1_19radix_merge_compareILb0ELb1EsNS0_19identity_decomposerEEEEEvT0_T1_jPSH_T2_SH_
	.p2align	8
	.type	_ZN7rocprim17ROCPRIM_304000_NS6detail45device_block_merge_mergepath_partition_kernelINS1_37wrapped_merge_sort_block_merge_configINS0_14default_configEsN2at4cuda3cub6detail10OpaqueTypeILi8EEEEEPsjNS1_19radix_merge_compareILb0ELb1EsNS0_19identity_decomposerEEEEEvT0_T1_jPSH_T2_SH_,@function
_ZN7rocprim17ROCPRIM_304000_NS6detail45device_block_merge_mergepath_partition_kernelINS1_37wrapped_merge_sort_block_merge_configINS0_14default_configEsN2at4cuda3cub6detail10OpaqueTypeILi8EEEEEPsjNS1_19radix_merge_compareILb0ELb1EsNS0_19identity_decomposerEEEEEvT0_T1_jPSH_T2_SH_: ; @_ZN7rocprim17ROCPRIM_304000_NS6detail45device_block_merge_mergepath_partition_kernelINS1_37wrapped_merge_sort_block_merge_configINS0_14default_configEsN2at4cuda3cub6detail10OpaqueTypeILi8EEEEEPsjNS1_19radix_merge_compareILb0ELb1EsNS0_19identity_decomposerEEEEEvT0_T1_jPSH_T2_SH_
; %bb.0:
	s_load_dwordx2 s[4:5], s[0:1], 0x8
	v_lshl_or_b32 v0, s2, 7, v0
	s_waitcnt lgkmcnt(0)
	v_cmp_gt_u32_e32 vcc, s5, v0
	s_and_saveexec_b64 s[2:3], vcc
	s_cbranch_execz .LBB68_6
; %bb.1:
	s_load_dwordx2 s[2:3], s[0:1], 0x18
	s_waitcnt lgkmcnt(0)
	s_lshr_b32 s5, s3, 9
	s_and_b32 s5, s5, 0x7ffffe
	s_add_i32 s6, s5, -1
	s_sub_i32 s5, 0, s5
	v_and_b32_e32 v1, s5, v0
	v_and_b32_e32 v2, s6, v0
	v_lshlrev_b32_e32 v1, 10, v1
	v_lshlrev_b32_e32 v3, 10, v2
	v_min_u32_e32 v2, s4, v1
	v_add_u32_e32 v1, s3, v1
	v_min_u32_e32 v4, s4, v1
	v_add_u32_e32 v1, s3, v4
	v_min_u32_e32 v1, s4, v1
	v_sub_u32_e32 v5, v1, v2
	v_min_u32_e32 v10, v5, v3
	v_sub_u32_e32 v3, v4, v2
	v_sub_u32_e32 v1, v1, v4
	v_sub_u32_e64 v1, v10, v1 clamp
	v_min_u32_e32 v11, v10, v3
	v_cmp_lt_u32_e32 vcc, v1, v11
	s_and_saveexec_b64 s[4:5], vcc
	s_cbranch_execz .LBB68_5
; %bb.2:
	s_load_dwordx2 s[6:7], s[0:1], 0x0
	v_mov_b32_e32 v5, 0
	v_mov_b32_e32 v3, v5
	s_waitcnt lgkmcnt(0)
	v_lshl_add_u64 v[6:7], v[2:3], 1, s[6:7]
	v_lshl_add_u64 v[8:9], v[4:5], 1, s[6:7]
	s_mov_b64 s[6:7], 0
.LBB68_3:                               ; =>This Inner Loop Header: Depth=1
	v_add_u32_e32 v3, v11, v1
	v_lshrrev_b32_e32 v16, 1, v3
	v_and_b32_e32 v4, -2, v3
	v_mov_b32_e32 v13, v5
	v_xad_u32 v12, v16, -1, v10
	v_lshl_add_u64 v[14:15], v[6:7], 0, v[4:5]
	v_lshl_add_u64 v[12:13], v[12:13], 1, v[8:9]
	global_load_ushort v3, v[14:15], off
	global_load_ushort v4, v[12:13], off
	v_add_u32_e32 v12, 1, v16
	s_waitcnt vmcnt(1)
	v_and_b32_e32 v3, s2, v3
	s_waitcnt vmcnt(0)
	v_and_b32_e32 v4, s2, v4
	v_cmp_gt_i16_e32 vcc, v3, v4
	s_nop 1
	v_cndmask_b32_e32 v11, v11, v16, vcc
	v_cndmask_b32_e32 v1, v12, v1, vcc
	v_cmp_ge_u32_e32 vcc, v1, v11
	s_or_b64 s[6:7], vcc, s[6:7]
	s_andn2_b64 exec, exec, s[6:7]
	s_cbranch_execnz .LBB68_3
; %bb.4:
	s_or_b64 exec, exec, s[6:7]
.LBB68_5:
	s_or_b64 exec, exec, s[4:5]
	s_load_dwordx2 s[0:1], s[0:1], 0x10
	v_add_u32_e32 v2, v1, v2
	v_mov_b32_e32 v1, 0
	s_waitcnt lgkmcnt(0)
	v_lshl_add_u64 v[0:1], v[0:1], 2, s[0:1]
	global_store_dword v[0:1], v2, off
.LBB68_6:
	s_endpgm
	.section	.rodata,"a",@progbits
	.p2align	6, 0x0
	.amdhsa_kernel _ZN7rocprim17ROCPRIM_304000_NS6detail45device_block_merge_mergepath_partition_kernelINS1_37wrapped_merge_sort_block_merge_configINS0_14default_configEsN2at4cuda3cub6detail10OpaqueTypeILi8EEEEEPsjNS1_19radix_merge_compareILb0ELb1EsNS0_19identity_decomposerEEEEEvT0_T1_jPSH_T2_SH_
		.amdhsa_group_segment_fixed_size 0
		.amdhsa_private_segment_fixed_size 0
		.amdhsa_kernarg_size 32
		.amdhsa_user_sgpr_count 2
		.amdhsa_user_sgpr_dispatch_ptr 0
		.amdhsa_user_sgpr_queue_ptr 0
		.amdhsa_user_sgpr_kernarg_segment_ptr 1
		.amdhsa_user_sgpr_dispatch_id 0
		.amdhsa_user_sgpr_kernarg_preload_length 0
		.amdhsa_user_sgpr_kernarg_preload_offset 0
		.amdhsa_user_sgpr_private_segment_size 0
		.amdhsa_uses_dynamic_stack 0
		.amdhsa_enable_private_segment 0
		.amdhsa_system_sgpr_workgroup_id_x 1
		.amdhsa_system_sgpr_workgroup_id_y 0
		.amdhsa_system_sgpr_workgroup_id_z 0
		.amdhsa_system_sgpr_workgroup_info 0
		.amdhsa_system_vgpr_workitem_id 0
		.amdhsa_next_free_vgpr 17
		.amdhsa_next_free_sgpr 8
		.amdhsa_accum_offset 20
		.amdhsa_reserve_vcc 1
		.amdhsa_float_round_mode_32 0
		.amdhsa_float_round_mode_16_64 0
		.amdhsa_float_denorm_mode_32 3
		.amdhsa_float_denorm_mode_16_64 3
		.amdhsa_dx10_clamp 1
		.amdhsa_ieee_mode 1
		.amdhsa_fp16_overflow 0
		.amdhsa_tg_split 0
		.amdhsa_exception_fp_ieee_invalid_op 0
		.amdhsa_exception_fp_denorm_src 0
		.amdhsa_exception_fp_ieee_div_zero 0
		.amdhsa_exception_fp_ieee_overflow 0
		.amdhsa_exception_fp_ieee_underflow 0
		.amdhsa_exception_fp_ieee_inexact 0
		.amdhsa_exception_int_div_zero 0
	.end_amdhsa_kernel
	.section	.text._ZN7rocprim17ROCPRIM_304000_NS6detail45device_block_merge_mergepath_partition_kernelINS1_37wrapped_merge_sort_block_merge_configINS0_14default_configEsN2at4cuda3cub6detail10OpaqueTypeILi8EEEEEPsjNS1_19radix_merge_compareILb0ELb1EsNS0_19identity_decomposerEEEEEvT0_T1_jPSH_T2_SH_,"axG",@progbits,_ZN7rocprim17ROCPRIM_304000_NS6detail45device_block_merge_mergepath_partition_kernelINS1_37wrapped_merge_sort_block_merge_configINS0_14default_configEsN2at4cuda3cub6detail10OpaqueTypeILi8EEEEEPsjNS1_19radix_merge_compareILb0ELb1EsNS0_19identity_decomposerEEEEEvT0_T1_jPSH_T2_SH_,comdat
.Lfunc_end68:
	.size	_ZN7rocprim17ROCPRIM_304000_NS6detail45device_block_merge_mergepath_partition_kernelINS1_37wrapped_merge_sort_block_merge_configINS0_14default_configEsN2at4cuda3cub6detail10OpaqueTypeILi8EEEEEPsjNS1_19radix_merge_compareILb0ELb1EsNS0_19identity_decomposerEEEEEvT0_T1_jPSH_T2_SH_, .Lfunc_end68-_ZN7rocprim17ROCPRIM_304000_NS6detail45device_block_merge_mergepath_partition_kernelINS1_37wrapped_merge_sort_block_merge_configINS0_14default_configEsN2at4cuda3cub6detail10OpaqueTypeILi8EEEEEPsjNS1_19radix_merge_compareILb0ELb1EsNS0_19identity_decomposerEEEEEvT0_T1_jPSH_T2_SH_
                                        ; -- End function
	.set _ZN7rocprim17ROCPRIM_304000_NS6detail45device_block_merge_mergepath_partition_kernelINS1_37wrapped_merge_sort_block_merge_configINS0_14default_configEsN2at4cuda3cub6detail10OpaqueTypeILi8EEEEEPsjNS1_19radix_merge_compareILb0ELb1EsNS0_19identity_decomposerEEEEEvT0_T1_jPSH_T2_SH_.num_vgpr, 17
	.set _ZN7rocprim17ROCPRIM_304000_NS6detail45device_block_merge_mergepath_partition_kernelINS1_37wrapped_merge_sort_block_merge_configINS0_14default_configEsN2at4cuda3cub6detail10OpaqueTypeILi8EEEEEPsjNS1_19radix_merge_compareILb0ELb1EsNS0_19identity_decomposerEEEEEvT0_T1_jPSH_T2_SH_.num_agpr, 0
	.set _ZN7rocprim17ROCPRIM_304000_NS6detail45device_block_merge_mergepath_partition_kernelINS1_37wrapped_merge_sort_block_merge_configINS0_14default_configEsN2at4cuda3cub6detail10OpaqueTypeILi8EEEEEPsjNS1_19radix_merge_compareILb0ELb1EsNS0_19identity_decomposerEEEEEvT0_T1_jPSH_T2_SH_.numbered_sgpr, 8
	.set _ZN7rocprim17ROCPRIM_304000_NS6detail45device_block_merge_mergepath_partition_kernelINS1_37wrapped_merge_sort_block_merge_configINS0_14default_configEsN2at4cuda3cub6detail10OpaqueTypeILi8EEEEEPsjNS1_19radix_merge_compareILb0ELb1EsNS0_19identity_decomposerEEEEEvT0_T1_jPSH_T2_SH_.num_named_barrier, 0
	.set _ZN7rocprim17ROCPRIM_304000_NS6detail45device_block_merge_mergepath_partition_kernelINS1_37wrapped_merge_sort_block_merge_configINS0_14default_configEsN2at4cuda3cub6detail10OpaqueTypeILi8EEEEEPsjNS1_19radix_merge_compareILb0ELb1EsNS0_19identity_decomposerEEEEEvT0_T1_jPSH_T2_SH_.private_seg_size, 0
	.set _ZN7rocprim17ROCPRIM_304000_NS6detail45device_block_merge_mergepath_partition_kernelINS1_37wrapped_merge_sort_block_merge_configINS0_14default_configEsN2at4cuda3cub6detail10OpaqueTypeILi8EEEEEPsjNS1_19radix_merge_compareILb0ELb1EsNS0_19identity_decomposerEEEEEvT0_T1_jPSH_T2_SH_.uses_vcc, 1
	.set _ZN7rocprim17ROCPRIM_304000_NS6detail45device_block_merge_mergepath_partition_kernelINS1_37wrapped_merge_sort_block_merge_configINS0_14default_configEsN2at4cuda3cub6detail10OpaqueTypeILi8EEEEEPsjNS1_19radix_merge_compareILb0ELb1EsNS0_19identity_decomposerEEEEEvT0_T1_jPSH_T2_SH_.uses_flat_scratch, 0
	.set _ZN7rocprim17ROCPRIM_304000_NS6detail45device_block_merge_mergepath_partition_kernelINS1_37wrapped_merge_sort_block_merge_configINS0_14default_configEsN2at4cuda3cub6detail10OpaqueTypeILi8EEEEEPsjNS1_19radix_merge_compareILb0ELb1EsNS0_19identity_decomposerEEEEEvT0_T1_jPSH_T2_SH_.has_dyn_sized_stack, 0
	.set _ZN7rocprim17ROCPRIM_304000_NS6detail45device_block_merge_mergepath_partition_kernelINS1_37wrapped_merge_sort_block_merge_configINS0_14default_configEsN2at4cuda3cub6detail10OpaqueTypeILi8EEEEEPsjNS1_19radix_merge_compareILb0ELb1EsNS0_19identity_decomposerEEEEEvT0_T1_jPSH_T2_SH_.has_recursion, 0
	.set _ZN7rocprim17ROCPRIM_304000_NS6detail45device_block_merge_mergepath_partition_kernelINS1_37wrapped_merge_sort_block_merge_configINS0_14default_configEsN2at4cuda3cub6detail10OpaqueTypeILi8EEEEEPsjNS1_19radix_merge_compareILb0ELb1EsNS0_19identity_decomposerEEEEEvT0_T1_jPSH_T2_SH_.has_indirect_call, 0
	.section	.AMDGPU.csdata,"",@progbits
; Kernel info:
; codeLenInByte = 336
; TotalNumSgprs: 14
; NumVgprs: 17
; NumAgprs: 0
; TotalNumVgprs: 17
; ScratchSize: 0
; MemoryBound: 0
; FloatMode: 240
; IeeeMode: 1
; LDSByteSize: 0 bytes/workgroup (compile time only)
; SGPRBlocks: 1
; VGPRBlocks: 2
; NumSGPRsForWavesPerEU: 14
; NumVGPRsForWavesPerEU: 17
; AccumOffset: 20
; Occupancy: 8
; WaveLimiterHint : 0
; COMPUTE_PGM_RSRC2:SCRATCH_EN: 0
; COMPUTE_PGM_RSRC2:USER_SGPR: 2
; COMPUTE_PGM_RSRC2:TRAP_HANDLER: 0
; COMPUTE_PGM_RSRC2:TGID_X_EN: 1
; COMPUTE_PGM_RSRC2:TGID_Y_EN: 0
; COMPUTE_PGM_RSRC2:TGID_Z_EN: 0
; COMPUTE_PGM_RSRC2:TIDIG_COMP_CNT: 0
; COMPUTE_PGM_RSRC3_GFX90A:ACCUM_OFFSET: 4
; COMPUTE_PGM_RSRC3_GFX90A:TG_SPLIT: 0
	.section	.text._ZN7rocprim17ROCPRIM_304000_NS6detail35device_block_merge_mergepath_kernelINS1_37wrapped_merge_sort_block_merge_configINS0_14default_configEsN2at4cuda3cub6detail10OpaqueTypeILi8EEEEEPsSC_PSA_SD_jNS1_19radix_merge_compareILb0ELb1EsNS0_19identity_decomposerEEEEEvT0_T1_T2_T3_T4_SL_jT5_PKSL_NS1_7vsmem_tE,"axG",@progbits,_ZN7rocprim17ROCPRIM_304000_NS6detail35device_block_merge_mergepath_kernelINS1_37wrapped_merge_sort_block_merge_configINS0_14default_configEsN2at4cuda3cub6detail10OpaqueTypeILi8EEEEEPsSC_PSA_SD_jNS1_19radix_merge_compareILb0ELb1EsNS0_19identity_decomposerEEEEEvT0_T1_T2_T3_T4_SL_jT5_PKSL_NS1_7vsmem_tE,comdat
	.protected	_ZN7rocprim17ROCPRIM_304000_NS6detail35device_block_merge_mergepath_kernelINS1_37wrapped_merge_sort_block_merge_configINS0_14default_configEsN2at4cuda3cub6detail10OpaqueTypeILi8EEEEEPsSC_PSA_SD_jNS1_19radix_merge_compareILb0ELb1EsNS0_19identity_decomposerEEEEEvT0_T1_T2_T3_T4_SL_jT5_PKSL_NS1_7vsmem_tE ; -- Begin function _ZN7rocprim17ROCPRIM_304000_NS6detail35device_block_merge_mergepath_kernelINS1_37wrapped_merge_sort_block_merge_configINS0_14default_configEsN2at4cuda3cub6detail10OpaqueTypeILi8EEEEEPsSC_PSA_SD_jNS1_19radix_merge_compareILb0ELb1EsNS0_19identity_decomposerEEEEEvT0_T1_T2_T3_T4_SL_jT5_PKSL_NS1_7vsmem_tE
	.globl	_ZN7rocprim17ROCPRIM_304000_NS6detail35device_block_merge_mergepath_kernelINS1_37wrapped_merge_sort_block_merge_configINS0_14default_configEsN2at4cuda3cub6detail10OpaqueTypeILi8EEEEEPsSC_PSA_SD_jNS1_19radix_merge_compareILb0ELb1EsNS0_19identity_decomposerEEEEEvT0_T1_T2_T3_T4_SL_jT5_PKSL_NS1_7vsmem_tE
	.p2align	8
	.type	_ZN7rocprim17ROCPRIM_304000_NS6detail35device_block_merge_mergepath_kernelINS1_37wrapped_merge_sort_block_merge_configINS0_14default_configEsN2at4cuda3cub6detail10OpaqueTypeILi8EEEEEPsSC_PSA_SD_jNS1_19radix_merge_compareILb0ELb1EsNS0_19identity_decomposerEEEEEvT0_T1_T2_T3_T4_SL_jT5_PKSL_NS1_7vsmem_tE,@function
_ZN7rocprim17ROCPRIM_304000_NS6detail35device_block_merge_mergepath_kernelINS1_37wrapped_merge_sort_block_merge_configINS0_14default_configEsN2at4cuda3cub6detail10OpaqueTypeILi8EEEEEPsSC_PSA_SD_jNS1_19radix_merge_compareILb0ELb1EsNS0_19identity_decomposerEEEEEvT0_T1_T2_T3_T4_SL_jT5_PKSL_NS1_7vsmem_tE: ; @_ZN7rocprim17ROCPRIM_304000_NS6detail35device_block_merge_mergepath_kernelINS1_37wrapped_merge_sort_block_merge_configINS0_14default_configEsN2at4cuda3cub6detail10OpaqueTypeILi8EEEEEPsSC_PSA_SD_jNS1_19radix_merge_compareILb0ELb1EsNS0_19identity_decomposerEEEEEvT0_T1_T2_T3_T4_SL_jT5_PKSL_NS1_7vsmem_tE
; %bb.0:
	s_load_dwordx2 s[26:27], s[0:1], 0x40
	s_load_dwordx4 s[12:15], s[0:1], 0x20
	s_add_u32 s24, s0, 64
	s_addc_u32 s25, s1, 0
	s_waitcnt lgkmcnt(0)
	s_mul_i32 s4, s27, s4
	s_add_i32 s3, s4, s3
	s_mul_i32 s3, s3, s26
	s_add_i32 s22, s3, s2
	s_cmp_ge_u32 s22, s14
	s_cbranch_scc1 .LBB69_51
; %bb.1:
	s_load_dwordx8 s[4:11], s[0:1], 0x0
	s_load_dwordx2 s[18:19], s[0:1], 0x30
	s_lshr_b32 s29, s12, 10
	s_cmp_lg_u32 s22, s29
	s_mov_b32 s23, 0
	s_cselect_b64 s[16:17], -1, 0
	s_lshl_b64 s[0:1], s[22:23], 2
	s_waitcnt lgkmcnt(0)
	s_add_u32 s0, s18, s0
	s_addc_u32 s1, s19, s1
	s_load_dwordx2 s[18:19], s[0:1], 0x0
	s_lshr_b32 s0, s13, 9
	s_and_b32 s0, s0, 0x7ffffe
	s_sub_i32 s0, 0, s0
	s_and_b32 s1, s22, s0
	s_lshl_b32 s3, s1, 10
	s_lshl_b32 s14, s22, 10
	s_lshl_b32 s1, s1, 11
	s_sub_i32 s20, s14, s3
	s_add_i32 s1, s1, s13
	s_add_i32 s21, s1, s20
	s_waitcnt lgkmcnt(0)
	s_sub_i32 s20, s21, s18
	s_sub_i32 s21, s21, s19
	;; [unrolled: 1-line block ×3, first 2 shown]
	s_min_u32 s20, s12, s20
	s_addk_i32 s21, 0x400
	s_or_b32 s0, s22, s0
	s_min_u32 s3, s12, s1
	s_add_i32 s1, s1, s13
	s_cmp_eq_u32 s0, -1
	s_cselect_b32 s0, s1, s21
	s_cselect_b32 s1, s3, s19
	s_min_u32 s0, s0, s12
	s_mov_b32 s19, s23
	s_sub_i32 s27, s1, s18
	s_sub_i32 s28, s0, s20
	s_lshl_b64 s[0:1], s[18:19], 1
	s_add_u32 s0, s4, s0
	s_mov_b32 s21, s23
	s_addc_u32 s1, s5, s1
	s_lshl_b64 s[30:31], s[20:21], 1
	s_add_u32 s4, s4, s30
	s_addc_u32 s5, s5, s31
	s_cmp_lt_u32 s2, s26
	v_mov_b32_e32 v3, 0
	s_cselect_b32 s2, 12, 18
	global_load_dword v1, v3, s[24:25] offset:14
	s_add_u32 s2, s24, s2
	s_addc_u32 s3, s25, 0
	global_load_ushort v2, v3, s[2:3]
	v_cmp_gt_u32_e32 vcc, s27, v0
	s_cmp_eq_u32 s22, s29
	s_waitcnt vmcnt(1)
	v_lshrrev_b32_e32 v4, 16, v1
	v_and_b32_e32 v1, 0xffff, v1
	v_mul_lo_u32 v1, v1, v4
	s_waitcnt vmcnt(0)
	v_mul_lo_u32 v1, v1, v2
	v_lshlrev_b32_e32 v2, 1, v0
	v_add_u32_e32 v4, v1, v0
	s_cbranch_scc1 .LBB69_3
; %bb.2:
	v_subrev_u32_e32 v1, s27, v0
	v_lshlrev_b32_e32 v8, 1, v1
	v_mov_b32_e32 v9, v3
	v_lshl_add_u64 v[6:7], s[0:1], 0, v[2:3]
	v_lshl_add_u64 v[8:9], s[4:5], 0, v[8:9]
	v_cndmask_b32_e32 v7, v9, v7, vcc
	v_cndmask_b32_e32 v6, v8, v6, vcc
	v_mov_b32_e32 v5, v3
	v_subrev_co_u32_e32 v8, vcc, s27, v4
	v_mov_b32_e32 v9, v3
	global_load_ushort v1, v[6:7], off
	v_lshl_add_u64 v[6:7], v[4:5], 1, s[0:1]
	v_lshl_add_u64 v[8:9], v[8:9], 1, s[4:5]
	v_cndmask_b32_e32 v7, v9, v7, vcc
	v_cndmask_b32_e32 v6, v8, v6, vcc
	global_load_ushort v3, v[6:7], off
	s_mov_b32 s2, 0x5040100
	s_add_i32 s13, s28, s27
	s_waitcnt vmcnt(0)
	v_perm_b32 v1, v3, v1, s2
	s_cbranch_execz .LBB69_4
	s_branch .LBB69_9
.LBB69_3:
                                        ; implicit-def: $vgpr1
                                        ; implicit-def: $sgpr13
.LBB69_4:
	s_add_i32 s13, s28, s27
	v_cmp_gt_u32_e32 vcc, s13, v0
	v_mov_b32_e32 v1, 0
	s_and_saveexec_b64 s[2:3], vcc
	s_cbranch_execz .LBB69_6
; %bb.5:
	v_mov_b32_e32 v3, 0
	v_subrev_u32_e32 v1, s27, v0
	v_lshlrev_b32_e32 v8, 1, v1
	v_mov_b32_e32 v9, v3
	v_lshl_add_u64 v[6:7], s[0:1], 0, v[2:3]
	v_lshl_add_u64 v[8:9], s[4:5], 0, v[8:9]
	v_cmp_gt_u32_e32 vcc, s27, v0
	s_nop 1
	v_cndmask_b32_e32 v7, v9, v7, vcc
	v_cndmask_b32_e32 v6, v8, v6, vcc
	global_load_ushort v1, v[6:7], off
	s_waitcnt vmcnt(0)
	v_and_b32_e32 v1, 0xffff, v1
.LBB69_6:
	s_or_b64 exec, exec, s[2:3]
	v_cmp_gt_u32_e32 vcc, s13, v4
	s_and_saveexec_b64 s[2:3], vcc
	s_cbranch_execz .LBB69_8
; %bb.7:
	v_mov_b32_e32 v5, 0
	v_lshl_add_u64 v[6:7], v[4:5], 1, s[0:1]
	v_subrev_co_u32_e32 v4, vcc, s27, v4
	v_lshl_add_u64 v[4:5], v[4:5], 1, s[4:5]
	s_nop 0
	v_cndmask_b32_e32 v5, v5, v7, vcc
	v_cndmask_b32_e32 v4, v4, v6, vcc
	global_load_ushort v3, v[4:5], off
	s_mov_b32 s0, 0x5040100
	s_waitcnt vmcnt(0)
	v_perm_b32 v1, v3, v1, s0
.LBB69_8:
	s_or_b64 exec, exec, s[2:3]
.LBB69_9:
	v_min_u32_e32 v3, s13, v2
	v_sub_u32_e64 v4, v3, s28 clamp
	v_min_u32_e32 v5, s27, v3
	v_cmp_lt_u32_e32 vcc, v4, v5
	ds_write_b16 v2, v1
	ds_write_b16_d16_hi v2, v1 offset:1024
	s_waitcnt lgkmcnt(0)
	s_barrier
	s_and_saveexec_b64 s[0:1], vcc
	s_cbranch_execz .LBB69_13
; %bb.10:
	v_lshlrev_b32_e32 v6, 1, v3
	v_lshl_add_u32 v6, s27, 1, v6
	s_mov_b64 s[2:3], 0
.LBB69_11:                              ; =>This Inner Loop Header: Depth=1
	v_add_u32_e32 v7, v5, v4
	v_lshrrev_b32_e32 v8, 1, v7
	v_not_b32_e32 v9, v8
	v_and_b32_e32 v7, -2, v7
	v_lshl_add_u32 v9, v9, 1, v6
	ds_read_u16 v7, v7
	ds_read_u16 v9, v9
	v_add_u32_e32 v10, 1, v8
	s_waitcnt lgkmcnt(1)
	v_and_b32_e32 v7, s15, v7
	s_waitcnt lgkmcnt(0)
	v_and_b32_e32 v9, s15, v9
	v_cmp_gt_i16_e32 vcc, v7, v9
	s_nop 1
	v_cndmask_b32_e32 v5, v5, v8, vcc
	v_cndmask_b32_e32 v4, v10, v4, vcc
	v_cmp_ge_u32_e32 vcc, v4, v5
	s_or_b64 s[2:3], vcc, s[2:3]
	s_andn2_b64 exec, exec, s[2:3]
	s_cbranch_execnz .LBB69_11
; %bb.12:
	s_or_b64 exec, exec, s[2:3]
.LBB69_13:
	s_or_b64 exec, exec, s[0:1]
	v_sub_u32_e32 v3, v3, v4
	v_add_u32_e32 v5, s27, v3
	v_cmp_ge_u32_e32 vcc, s27, v4
	v_cmp_ge_u32_e64 s[0:1], s13, v5
	s_or_b64 s[0:1], vcc, s[0:1]
	v_mov_b32_e32 v3, 0
	v_mov_b32_e32 v8, 0
	s_and_saveexec_b64 s[4:5], s[0:1]
	s_cbranch_execz .LBB69_19
; %bb.14:
	v_cmp_gt_u32_e32 vcc, s27, v4
                                        ; implicit-def: $vgpr1
	s_and_saveexec_b64 s[0:1], vcc
; %bb.15:
	v_lshlrev_b32_e32 v1, 1, v4
	ds_read_u16 v1, v1
; %bb.16:
	s_or_b64 exec, exec, s[0:1]
	v_cmp_le_u32_e64 s[0:1], s13, v5
	v_cmp_gt_u32_e64 s[2:3], s13, v5
                                        ; implicit-def: $vgpr3
	s_and_saveexec_b64 s[22:23], s[2:3]
; %bb.17:
	v_lshlrev_b32_e32 v3, 1, v5
	ds_read_u16 v3, v3
; %bb.18:
	s_or_b64 exec, exec, s[22:23]
	s_waitcnt lgkmcnt(0)
	v_and_b32_e32 v6, s15, v3
	v_and_b32_e32 v7, s15, v1
	v_cmp_le_i16_e64 s[2:3], v7, v6
	s_and_b64 s[2:3], vcc, s[2:3]
	s_or_b64 vcc, s[0:1], s[2:3]
	v_mov_b32_e32 v6, s13
	v_mov_b32_e32 v7, s27
	v_cndmask_b32_e32 v8, v5, v4, vcc
	v_cndmask_b32_e32 v6, v6, v7, vcc
	v_add_u32_e32 v7, 1, v8
	v_add_u32_e32 v6, -1, v6
	v_min_u32_e32 v6, v7, v6
	v_lshlrev_b32_e32 v6, 1, v6
	ds_read_u16 v6, v6
	v_cndmask_b32_e32 v9, v3, v1, vcc
	v_cndmask_b32_e32 v4, v4, v7, vcc
	v_cmp_gt_u32_e64 s[0:1], s27, v4
	s_waitcnt lgkmcnt(0)
	v_cndmask_b32_e32 v10, v6, v3, vcc
	v_cndmask_b32_e32 v1, v1, v6, vcc
	;; [unrolled: 1-line block ×3, first 2 shown]
	v_and_b32_e32 v5, s15, v10
	v_and_b32_e32 v6, s15, v1
	v_cmp_le_i16_e64 s[2:3], v6, v5
	v_cmp_le_u32_e32 vcc, s13, v3
	s_and_b64 s[0:1], s[0:1], s[2:3]
	s_or_b64 vcc, vcc, s[0:1]
	v_cndmask_b32_e32 v1, v10, v1, vcc
	s_mov_b32 s0, 0x5040100
	v_cndmask_b32_e32 v3, v3, v4, vcc
	v_perm_b32 v1, v1, v9, s0
.LBB69_19:
	s_or_b64 exec, exec, s[4:5]
	s_lshl_b64 s[0:1], s[18:19], 3
	s_add_u32 s18, s8, s0
	s_addc_u32 s19, s9, s1
	s_lshl_b64 s[0:1], s[20:21], 3
	s_add_u32 s8, s8, s0
	v_cndmask_b32_e64 v4, 0, 1, s[16:17]
	v_mov_b32_e32 v5, 0
	s_addc_u32 s9, s9, s1
	v_cmp_gt_u32_e64 s[4:5], s27, v0
	v_cmp_ne_u32_e64 s[0:1], 1, v4
	s_andn2_b64 vcc, exec, s[16:17]
	v_cmp_le_u32_e64 s[2:3], s27, v0
	s_barrier
	s_cbranch_vccnz .LBB69_21
; %bb.20:
	v_lshlrev_b32_e32 v4, 3, v0
	v_lshl_add_u64 v[6:7], s[18:19], 0, v[4:5]
	v_subrev_u32_e32 v4, s27, v0
	v_lshlrev_b32_e32 v4, 3, v4
	v_lshl_add_u64 v[4:5], s[8:9], 0, v[4:5]
	v_cndmask_b32_e64 v5, v5, v7, s[4:5]
	v_cndmask_b32_e64 v4, v4, v6, s[4:5]
	global_load_dwordx2 v[10:11], v[4:5], off
	v_or_b32_e32 v9, 0x200, v0
	v_mov_b32_e32 v4, s9
	v_mov_b32_e32 v5, s19
	;; [unrolled: 1-line block ×4, first 2 shown]
	v_subrev_u32_e32 v6, s27, v9
	v_cmp_gt_u32_e32 vcc, s27, v9
	v_mad_u32_u24 v7, v0, 6, v2
	s_nop 0
	v_cndmask_b32_e32 v5, v4, v5, vcc
	v_min_u32_e32 v6, v9, v6
	v_cndmask_b32_e32 v4, v12, v13, vcc
	s_mov_b64 s[4:5], -1
	s_waitcnt vmcnt(0)
	ds_write_b64 v7, v[10:11]
	s_cbranch_execz .LBB69_22
	s_branch .LBB69_31
.LBB69_21:
	s_mov_b64 s[4:5], 0
                                        ; implicit-def: $vgpr9
                                        ; implicit-def: $vgpr4_vgpr5
                                        ; implicit-def: $vgpr6
.LBB69_22:
	s_and_saveexec_b64 s[4:5], s[2:3]
	s_xor_b64 s[2:3], exec, s[4:5]
	s_cbranch_execz .LBB69_26
; %bb.23:
	v_subrev_u32_e32 v4, s27, v0
	v_cmp_gt_u32_e32 vcc, s28, v4
	s_and_saveexec_b64 s[4:5], vcc
	s_cbranch_execz .LBB69_25
; %bb.24:
	v_lshlrev_b32_e32 v4, 3, v4
	global_load_dwordx2 v[4:5], v4, s[8:9]
	v_mad_u32_u24 v6, v0, 6, v2
	s_waitcnt vmcnt(0)
	ds_write_b64 v6, v[4:5]
.LBB69_25:
	s_or_b64 exec, exec, s[4:5]
.LBB69_26:
	s_andn2_saveexec_b64 s[2:3], s[2:3]
	s_cbranch_execz .LBB69_28
; %bb.27:
	v_lshlrev_b32_e32 v4, 3, v0
	global_load_dwordx2 v[4:5], v4, s[18:19]
	v_mad_u32_u24 v6, v0, 6, v2
	s_waitcnt vmcnt(0)
	ds_write_b64 v6, v[4:5]
.LBB69_28:
	s_or_b64 exec, exec, s[2:3]
	v_or_b32_e32 v9, 0x200, v0
	v_cmp_le_u32_e32 vcc, s27, v9
	s_mov_b64 s[4:5], -1
	v_mov_b64_e32 v[4:5], s[18:19]
	v_mov_b32_e32 v6, v9
	s_and_saveexec_b64 s[2:3], vcc
; %bb.29:
	v_subrev_u32_e32 v6, s27, v9
	v_cmp_gt_u32_e32 vcc, s28, v6
	v_mov_b64_e32 v[4:5], s[8:9]
	s_orn2_b64 s[4:5], vcc, exec
; %bb.30:
	s_or_b64 exec, exec, s[2:3]
.LBB69_31:
	s_and_saveexec_b64 s[2:3], s[4:5]
	s_cbranch_execz .LBB69_33
; %bb.32:
	v_mov_b32_e32 v7, 0
	v_lshl_add_u64 v[4:5], v[6:7], 3, v[4:5]
	global_load_dwordx2 v[4:5], v[4:5], off
	v_lshlrev_b32_e32 v6, 3, v9
	s_waitcnt vmcnt(0)
	ds_write_b64 v6, v[4:5]
.LBB69_33:
	s_or_b64 exec, exec, s[2:3]
	s_and_b64 vcc, exec, s[0:1]
	v_add_u32_e32 v4, s14, v2
	s_waitcnt lgkmcnt(0)
	s_barrier
	s_cbranch_vccnz .LBB69_35
; %bb.34:
	v_lshlrev_b32_e32 v5, 3, v8
	ds_read_b64 v[6:7], v5
	v_mov_b32_e32 v5, 0
	v_lshl_add_u64 v[10:11], v[4:5], 3, s[10:11]
	s_mov_b64 s[0:1], -1
	s_waitcnt lgkmcnt(0)
	global_store_dwordx2 v[10:11], v[6:7], off
	s_cbranch_execz .LBB69_36
	s_branch .LBB69_41
.LBB69_35:
	s_mov_b64 s[0:1], 0
.LBB69_36:
	v_cmp_gt_u32_e32 vcc, s13, v2
	s_and_saveexec_b64 s[2:3], vcc
	s_cbranch_execz .LBB69_38
; %bb.37:
	v_lshlrev_b32_e32 v5, 3, v8
	ds_read_b64 v[6:7], v5
	v_mov_b32_e32 v5, 0
	v_lshl_add_u64 v[8:9], v[4:5], 3, s[10:11]
	s_waitcnt lgkmcnt(0)
	global_store_dwordx2 v[8:9], v[6:7], off
.LBB69_38:
	s_or_b64 exec, exec, s[2:3]
	v_or_b32_e32 v5, 1, v2
	v_cmp_gt_u32_e32 vcc, s13, v5
	s_and_saveexec_b64 s[2:3], vcc
; %bb.39:
	v_mov_b32_e32 v5, 0
	s_or_b64 s[0:1], s[0:1], exec
; %bb.40:
	s_or_b64 exec, exec, s[2:3]
.LBB69_41:
	s_and_saveexec_b64 s[2:3], s[0:1]
	s_cbranch_execz .LBB69_43
; %bb.42:
	v_lshlrev_b32_e32 v3, 3, v3
	ds_read_b64 v[6:7], v3
	v_lshl_add_u64 v[4:5], v[4:5], 3, s[10:11]
	s_waitcnt lgkmcnt(0)
	global_store_dwordx2 v[4:5], v[6:7], off offset:8
.LBB69_43:
	s_or_b64 exec, exec, s[2:3]
	v_lshrrev_b32_e32 v4, 3, v0
	v_and_b32_e32 v4, 60, v4
	v_lshrrev_b32_e32 v3, 4, v0
	v_lshl_add_u32 v4, v2, 1, v4
	s_barrier
	s_barrier
	ds_write_b32 v4, v1
	v_and_b32_e32 v1, 28, v3
	s_mov_b32 s15, 0
	v_add_u32_e32 v4, v1, v2
	v_or_b32_e32 v1, 0x200, v0
	s_lshl_b64 s[0:1], s[14:15], 1
	v_lshrrev_b32_e32 v3, 4, v1
	s_add_u32 s0, s6, s0
	v_and_b32_e32 v3, 60, v3
	s_addc_u32 s1, s7, s1
	v_add_u32_e32 v6, v3, v2
	v_mov_b32_e32 v3, 0
	v_lshl_add_u64 v[2:3], s[0:1], 0, v[2:3]
	s_and_b64 vcc, exec, s[16:17]
	s_waitcnt lgkmcnt(0)
	s_cbranch_vccz .LBB69_45
; %bb.44:
	s_barrier
	ds_read_u16 v7, v4
	ds_read_u16 v5, v6 offset:1024
	s_mov_b64 s[0:1], -1
	s_waitcnt lgkmcnt(1)
	global_store_short v[2:3], v7, off
	s_cbranch_execz .LBB69_46
	s_branch .LBB69_49
.LBB69_45:
	s_mov_b64 s[0:1], 0
                                        ; implicit-def: $vgpr5
.LBB69_46:
	s_barrier
	s_waitcnt lgkmcnt(0)
	ds_read_u16 v5, v6 offset:1024
	s_sub_i32 s2, s12, s14
	v_cmp_gt_u32_e32 vcc, s2, v0
	s_and_saveexec_b64 s[0:1], vcc
	s_cbranch_execz .LBB69_48
; %bb.47:
	ds_read_u16 v0, v4
	s_waitcnt lgkmcnt(0)
	global_store_short v[2:3], v0, off
.LBB69_48:
	s_or_b64 exec, exec, s[0:1]
	v_cmp_gt_u32_e64 s[0:1], s2, v1
.LBB69_49:
	s_and_saveexec_b64 s[2:3], s[0:1]
	s_cbranch_execz .LBB69_51
; %bb.50:
	s_waitcnt lgkmcnt(0)
	global_store_short v[2:3], v5, off offset:1024
.LBB69_51:
	s_endpgm
	.section	.rodata,"a",@progbits
	.p2align	6, 0x0
	.amdhsa_kernel _ZN7rocprim17ROCPRIM_304000_NS6detail35device_block_merge_mergepath_kernelINS1_37wrapped_merge_sort_block_merge_configINS0_14default_configEsN2at4cuda3cub6detail10OpaqueTypeILi8EEEEEPsSC_PSA_SD_jNS1_19radix_merge_compareILb0ELb1EsNS0_19identity_decomposerEEEEEvT0_T1_T2_T3_T4_SL_jT5_PKSL_NS1_7vsmem_tE
		.amdhsa_group_segment_fixed_size 8208
		.amdhsa_private_segment_fixed_size 0
		.amdhsa_kernarg_size 320
		.amdhsa_user_sgpr_count 2
		.amdhsa_user_sgpr_dispatch_ptr 0
		.amdhsa_user_sgpr_queue_ptr 0
		.amdhsa_user_sgpr_kernarg_segment_ptr 1
		.amdhsa_user_sgpr_dispatch_id 0
		.amdhsa_user_sgpr_kernarg_preload_length 0
		.amdhsa_user_sgpr_kernarg_preload_offset 0
		.amdhsa_user_sgpr_private_segment_size 0
		.amdhsa_uses_dynamic_stack 0
		.amdhsa_enable_private_segment 0
		.amdhsa_system_sgpr_workgroup_id_x 1
		.amdhsa_system_sgpr_workgroup_id_y 1
		.amdhsa_system_sgpr_workgroup_id_z 1
		.amdhsa_system_sgpr_workgroup_info 0
		.amdhsa_system_vgpr_workitem_id 0
		.amdhsa_next_free_vgpr 14
		.amdhsa_next_free_sgpr 32
		.amdhsa_accum_offset 16
		.amdhsa_reserve_vcc 1
		.amdhsa_float_round_mode_32 0
		.amdhsa_float_round_mode_16_64 0
		.amdhsa_float_denorm_mode_32 3
		.amdhsa_float_denorm_mode_16_64 3
		.amdhsa_dx10_clamp 1
		.amdhsa_ieee_mode 1
		.amdhsa_fp16_overflow 0
		.amdhsa_tg_split 0
		.amdhsa_exception_fp_ieee_invalid_op 0
		.amdhsa_exception_fp_denorm_src 0
		.amdhsa_exception_fp_ieee_div_zero 0
		.amdhsa_exception_fp_ieee_overflow 0
		.amdhsa_exception_fp_ieee_underflow 0
		.amdhsa_exception_fp_ieee_inexact 0
		.amdhsa_exception_int_div_zero 0
	.end_amdhsa_kernel
	.section	.text._ZN7rocprim17ROCPRIM_304000_NS6detail35device_block_merge_mergepath_kernelINS1_37wrapped_merge_sort_block_merge_configINS0_14default_configEsN2at4cuda3cub6detail10OpaqueTypeILi8EEEEEPsSC_PSA_SD_jNS1_19radix_merge_compareILb0ELb1EsNS0_19identity_decomposerEEEEEvT0_T1_T2_T3_T4_SL_jT5_PKSL_NS1_7vsmem_tE,"axG",@progbits,_ZN7rocprim17ROCPRIM_304000_NS6detail35device_block_merge_mergepath_kernelINS1_37wrapped_merge_sort_block_merge_configINS0_14default_configEsN2at4cuda3cub6detail10OpaqueTypeILi8EEEEEPsSC_PSA_SD_jNS1_19radix_merge_compareILb0ELb1EsNS0_19identity_decomposerEEEEEvT0_T1_T2_T3_T4_SL_jT5_PKSL_NS1_7vsmem_tE,comdat
.Lfunc_end69:
	.size	_ZN7rocprim17ROCPRIM_304000_NS6detail35device_block_merge_mergepath_kernelINS1_37wrapped_merge_sort_block_merge_configINS0_14default_configEsN2at4cuda3cub6detail10OpaqueTypeILi8EEEEEPsSC_PSA_SD_jNS1_19radix_merge_compareILb0ELb1EsNS0_19identity_decomposerEEEEEvT0_T1_T2_T3_T4_SL_jT5_PKSL_NS1_7vsmem_tE, .Lfunc_end69-_ZN7rocprim17ROCPRIM_304000_NS6detail35device_block_merge_mergepath_kernelINS1_37wrapped_merge_sort_block_merge_configINS0_14default_configEsN2at4cuda3cub6detail10OpaqueTypeILi8EEEEEPsSC_PSA_SD_jNS1_19radix_merge_compareILb0ELb1EsNS0_19identity_decomposerEEEEEvT0_T1_T2_T3_T4_SL_jT5_PKSL_NS1_7vsmem_tE
                                        ; -- End function
	.set _ZN7rocprim17ROCPRIM_304000_NS6detail35device_block_merge_mergepath_kernelINS1_37wrapped_merge_sort_block_merge_configINS0_14default_configEsN2at4cuda3cub6detail10OpaqueTypeILi8EEEEEPsSC_PSA_SD_jNS1_19radix_merge_compareILb0ELb1EsNS0_19identity_decomposerEEEEEvT0_T1_T2_T3_T4_SL_jT5_PKSL_NS1_7vsmem_tE.num_vgpr, 14
	.set _ZN7rocprim17ROCPRIM_304000_NS6detail35device_block_merge_mergepath_kernelINS1_37wrapped_merge_sort_block_merge_configINS0_14default_configEsN2at4cuda3cub6detail10OpaqueTypeILi8EEEEEPsSC_PSA_SD_jNS1_19radix_merge_compareILb0ELb1EsNS0_19identity_decomposerEEEEEvT0_T1_T2_T3_T4_SL_jT5_PKSL_NS1_7vsmem_tE.num_agpr, 0
	.set _ZN7rocprim17ROCPRIM_304000_NS6detail35device_block_merge_mergepath_kernelINS1_37wrapped_merge_sort_block_merge_configINS0_14default_configEsN2at4cuda3cub6detail10OpaqueTypeILi8EEEEEPsSC_PSA_SD_jNS1_19radix_merge_compareILb0ELb1EsNS0_19identity_decomposerEEEEEvT0_T1_T2_T3_T4_SL_jT5_PKSL_NS1_7vsmem_tE.numbered_sgpr, 32
	.set _ZN7rocprim17ROCPRIM_304000_NS6detail35device_block_merge_mergepath_kernelINS1_37wrapped_merge_sort_block_merge_configINS0_14default_configEsN2at4cuda3cub6detail10OpaqueTypeILi8EEEEEPsSC_PSA_SD_jNS1_19radix_merge_compareILb0ELb1EsNS0_19identity_decomposerEEEEEvT0_T1_T2_T3_T4_SL_jT5_PKSL_NS1_7vsmem_tE.num_named_barrier, 0
	.set _ZN7rocprim17ROCPRIM_304000_NS6detail35device_block_merge_mergepath_kernelINS1_37wrapped_merge_sort_block_merge_configINS0_14default_configEsN2at4cuda3cub6detail10OpaqueTypeILi8EEEEEPsSC_PSA_SD_jNS1_19radix_merge_compareILb0ELb1EsNS0_19identity_decomposerEEEEEvT0_T1_T2_T3_T4_SL_jT5_PKSL_NS1_7vsmem_tE.private_seg_size, 0
	.set _ZN7rocprim17ROCPRIM_304000_NS6detail35device_block_merge_mergepath_kernelINS1_37wrapped_merge_sort_block_merge_configINS0_14default_configEsN2at4cuda3cub6detail10OpaqueTypeILi8EEEEEPsSC_PSA_SD_jNS1_19radix_merge_compareILb0ELb1EsNS0_19identity_decomposerEEEEEvT0_T1_T2_T3_T4_SL_jT5_PKSL_NS1_7vsmem_tE.uses_vcc, 1
	.set _ZN7rocprim17ROCPRIM_304000_NS6detail35device_block_merge_mergepath_kernelINS1_37wrapped_merge_sort_block_merge_configINS0_14default_configEsN2at4cuda3cub6detail10OpaqueTypeILi8EEEEEPsSC_PSA_SD_jNS1_19radix_merge_compareILb0ELb1EsNS0_19identity_decomposerEEEEEvT0_T1_T2_T3_T4_SL_jT5_PKSL_NS1_7vsmem_tE.uses_flat_scratch, 0
	.set _ZN7rocprim17ROCPRIM_304000_NS6detail35device_block_merge_mergepath_kernelINS1_37wrapped_merge_sort_block_merge_configINS0_14default_configEsN2at4cuda3cub6detail10OpaqueTypeILi8EEEEEPsSC_PSA_SD_jNS1_19radix_merge_compareILb0ELb1EsNS0_19identity_decomposerEEEEEvT0_T1_T2_T3_T4_SL_jT5_PKSL_NS1_7vsmem_tE.has_dyn_sized_stack, 0
	.set _ZN7rocprim17ROCPRIM_304000_NS6detail35device_block_merge_mergepath_kernelINS1_37wrapped_merge_sort_block_merge_configINS0_14default_configEsN2at4cuda3cub6detail10OpaqueTypeILi8EEEEEPsSC_PSA_SD_jNS1_19radix_merge_compareILb0ELb1EsNS0_19identity_decomposerEEEEEvT0_T1_T2_T3_T4_SL_jT5_PKSL_NS1_7vsmem_tE.has_recursion, 0
	.set _ZN7rocprim17ROCPRIM_304000_NS6detail35device_block_merge_mergepath_kernelINS1_37wrapped_merge_sort_block_merge_configINS0_14default_configEsN2at4cuda3cub6detail10OpaqueTypeILi8EEEEEPsSC_PSA_SD_jNS1_19radix_merge_compareILb0ELb1EsNS0_19identity_decomposerEEEEEvT0_T1_T2_T3_T4_SL_jT5_PKSL_NS1_7vsmem_tE.has_indirect_call, 0
	.section	.AMDGPU.csdata,"",@progbits
; Kernel info:
; codeLenInByte = 1896
; TotalNumSgprs: 38
; NumVgprs: 14
; NumAgprs: 0
; TotalNumVgprs: 14
; ScratchSize: 0
; MemoryBound: 0
; FloatMode: 240
; IeeeMode: 1
; LDSByteSize: 8208 bytes/workgroup (compile time only)
; SGPRBlocks: 4
; VGPRBlocks: 1
; NumSGPRsForWavesPerEU: 38
; NumVGPRsForWavesPerEU: 14
; AccumOffset: 16
; Occupancy: 8
; WaveLimiterHint : 1
; COMPUTE_PGM_RSRC2:SCRATCH_EN: 0
; COMPUTE_PGM_RSRC2:USER_SGPR: 2
; COMPUTE_PGM_RSRC2:TRAP_HANDLER: 0
; COMPUTE_PGM_RSRC2:TGID_X_EN: 1
; COMPUTE_PGM_RSRC2:TGID_Y_EN: 1
; COMPUTE_PGM_RSRC2:TGID_Z_EN: 1
; COMPUTE_PGM_RSRC2:TIDIG_COMP_CNT: 0
; COMPUTE_PGM_RSRC3_GFX90A:ACCUM_OFFSET: 3
; COMPUTE_PGM_RSRC3_GFX90A:TG_SPLIT: 0
	.section	.text._ZN7rocprim17ROCPRIM_304000_NS6detail33device_block_merge_oddeven_kernelINS1_37wrapped_merge_sort_block_merge_configINS0_14default_configEsN2at4cuda3cub6detail10OpaqueTypeILi8EEEEEPsSC_PSA_SD_jNS1_19radix_merge_compareILb0ELb1EsNS0_19identity_decomposerEEEEEvT0_T1_T2_T3_T4_SL_T5_,"axG",@progbits,_ZN7rocprim17ROCPRIM_304000_NS6detail33device_block_merge_oddeven_kernelINS1_37wrapped_merge_sort_block_merge_configINS0_14default_configEsN2at4cuda3cub6detail10OpaqueTypeILi8EEEEEPsSC_PSA_SD_jNS1_19radix_merge_compareILb0ELb1EsNS0_19identity_decomposerEEEEEvT0_T1_T2_T3_T4_SL_T5_,comdat
	.protected	_ZN7rocprim17ROCPRIM_304000_NS6detail33device_block_merge_oddeven_kernelINS1_37wrapped_merge_sort_block_merge_configINS0_14default_configEsN2at4cuda3cub6detail10OpaqueTypeILi8EEEEEPsSC_PSA_SD_jNS1_19radix_merge_compareILb0ELb1EsNS0_19identity_decomposerEEEEEvT0_T1_T2_T3_T4_SL_T5_ ; -- Begin function _ZN7rocprim17ROCPRIM_304000_NS6detail33device_block_merge_oddeven_kernelINS1_37wrapped_merge_sort_block_merge_configINS0_14default_configEsN2at4cuda3cub6detail10OpaqueTypeILi8EEEEEPsSC_PSA_SD_jNS1_19radix_merge_compareILb0ELb1EsNS0_19identity_decomposerEEEEEvT0_T1_T2_T3_T4_SL_T5_
	.globl	_ZN7rocprim17ROCPRIM_304000_NS6detail33device_block_merge_oddeven_kernelINS1_37wrapped_merge_sort_block_merge_configINS0_14default_configEsN2at4cuda3cub6detail10OpaqueTypeILi8EEEEEPsSC_PSA_SD_jNS1_19radix_merge_compareILb0ELb1EsNS0_19identity_decomposerEEEEEvT0_T1_T2_T3_T4_SL_T5_
	.p2align	8
	.type	_ZN7rocprim17ROCPRIM_304000_NS6detail33device_block_merge_oddeven_kernelINS1_37wrapped_merge_sort_block_merge_configINS0_14default_configEsN2at4cuda3cub6detail10OpaqueTypeILi8EEEEEPsSC_PSA_SD_jNS1_19radix_merge_compareILb0ELb1EsNS0_19identity_decomposerEEEEEvT0_T1_T2_T3_T4_SL_T5_,@function
_ZN7rocprim17ROCPRIM_304000_NS6detail33device_block_merge_oddeven_kernelINS1_37wrapped_merge_sort_block_merge_configINS0_14default_configEsN2at4cuda3cub6detail10OpaqueTypeILi8EEEEEPsSC_PSA_SD_jNS1_19radix_merge_compareILb0ELb1EsNS0_19identity_decomposerEEEEEvT0_T1_T2_T3_T4_SL_T5_: ; @_ZN7rocprim17ROCPRIM_304000_NS6detail33device_block_merge_oddeven_kernelINS1_37wrapped_merge_sort_block_merge_configINS0_14default_configEsN2at4cuda3cub6detail10OpaqueTypeILi8EEEEEPsSC_PSA_SD_jNS1_19radix_merge_compareILb0ELb1EsNS0_19identity_decomposerEEEEEvT0_T1_T2_T3_T4_SL_T5_
; %bb.0:
	s_load_dwordx4 s[16:19], s[0:1], 0x20
	s_waitcnt lgkmcnt(0)
	s_lshr_b32 s3, s16, 8
	s_cmp_eq_u32 s2, s3
	s_cselect_b64 s[6:7], -1, 0
	s_cmp_lg_u32 s2, s3
	s_cselect_b64 s[8:9], -1, 0
	s_lshl_b32 s20, s2, 8
	s_sub_i32 s3, s16, s20
	v_cmp_gt_u32_e64 s[4:5], s3, v0
	s_or_b64 s[8:9], s[8:9], s[4:5]
	s_and_saveexec_b64 s[10:11], s[8:9]
	s_cbranch_execz .LBB70_24
; %bb.1:
	s_load_dwordx8 s[8:15], s[0:1], 0x0
	s_mov_b32 s21, 0
	s_lshl_b64 s[0:1], s[20:21], 1
	v_lshlrev_b32_e32 v5, 3, v0
	v_lshlrev_b32_e32 v1, 1, v0
	s_waitcnt lgkmcnt(0)
	s_add_u32 s0, s8, s0
	s_addc_u32 s1, s9, s1
	s_lshl_b64 s[22:23], s[20:21], 3
	s_add_u32 s12, s12, s22
	s_addc_u32 s13, s13, s23
	global_load_dwordx2 v[2:3], v5, s[12:13]
	global_load_ushort v4, v1, s[0:1]
	s_lshr_b32 s0, s17, 8
	s_sub_i32 s1, 0, s0
	s_and_b32 s1, s2, s1
	s_and_b32 s0, s1, s0
	s_lshl_b32 s19, s1, 8
	s_sub_i32 s12, 0, s17
	s_cmp_eq_u32 s0, 0
	s_cselect_b64 s[0:1], -1, 0
	s_and_b64 s[2:3], s[0:1], exec
	s_cselect_b32 s12, s17, s12
	s_add_i32 s12, s12, s19
	s_mov_b64 s[2:3], -1
	s_cmp_gt_u32 s16, s12
	v_add_u32_e32 v0, s20, v0
	s_cbranch_scc1 .LBB70_9
; %bb.2:
	s_and_b64 vcc, exec, s[6:7]
	s_cbranch_vccz .LBB70_6
; %bb.3:
	v_cmp_gt_u32_e32 vcc, s16, v0
	s_and_saveexec_b64 s[2:3], vcc
	s_cbranch_execz .LBB70_5
; %bb.4:
	v_mov_b32_e32 v1, 0
	v_lshl_add_u64 v[8:9], v[0:1], 1, s[10:11]
	v_lshl_add_u64 v[6:7], v[0:1], 3, s[14:15]
	s_waitcnt vmcnt(0)
	global_store_short v[8:9], v4, off
	global_store_dwordx2 v[6:7], v[2:3], off
.LBB70_5:
	s_or_b64 exec, exec, s[2:3]
	s_mov_b64 s[2:3], 0
.LBB70_6:
	s_andn2_b64 vcc, exec, s[2:3]
	s_cbranch_vccnz .LBB70_8
; %bb.7:
	v_mov_b32_e32 v1, 0
	v_lshl_add_u64 v[6:7], v[0:1], 1, s[10:11]
	v_lshl_add_u64 v[8:9], v[0:1], 3, s[14:15]
	s_waitcnt vmcnt(0)
	global_store_short v[6:7], v4, off
	global_store_dwordx2 v[8:9], v[2:3], off
.LBB70_8:
	s_mov_b64 s[2:3], 0
.LBB70_9:
	s_andn2_b64 vcc, exec, s[2:3]
	s_cbranch_vccnz .LBB70_24
; %bb.10:
	s_min_u32 s13, s12, s16
	s_add_i32 s2, s13, s17
	s_min_u32 s16, s2, s16
	s_min_u32 s2, s19, s13
	s_add_i32 s19, s19, s13
	v_subrev_u32_e32 v0, s19, v0
	v_add_u32_e32 v0, s2, v0
	s_waitcnt vmcnt(0)
	v_and_b32_e32 v1, s18, v4
	s_mov_b64 s[2:3], -1
	s_and_b64 vcc, exec, s[6:7]
	s_cbranch_vccz .LBB70_18
; %bb.11:
	s_and_saveexec_b64 s[2:3], s[4:5]
	s_cbranch_execz .LBB70_17
; %bb.12:
	s_cmp_ge_u32 s12, s16
	v_mov_b32_e32 v5, s13
	s_cbranch_scc1 .LBB70_16
; %bb.13:
	s_mov_b64 s[4:5], 0
	v_mov_b32_e32 v6, s16
	v_mov_b32_e32 v5, s13
.LBB70_14:                              ; =>This Inner Loop Header: Depth=1
	v_add_u32_e32 v7, v5, v6
	v_and_b32_e32 v8, -2, v7
	global_load_ushort v8, v8, s[8:9]
	v_lshrrev_b32_e32 v7, 1, v7
	v_add_u32_e32 v9, 1, v7
	s_waitcnt vmcnt(0)
	v_and_b32_e32 v8, s18, v8
	v_cmp_gt_i16_e32 vcc, v1, v8
	s_nop 1
	v_cndmask_b32_e64 v10, 0, 1, vcc
	v_cmp_le_i16_e32 vcc, v8, v1
	s_nop 1
	v_cndmask_b32_e64 v8, 0, 1, vcc
	v_cndmask_b32_e64 v8, v8, v10, s[0:1]
	v_and_b32_e32 v8, 1, v8
	v_cmp_eq_u32_e32 vcc, 1, v8
	s_nop 1
	v_cndmask_b32_e32 v6, v7, v6, vcc
	v_cndmask_b32_e32 v5, v5, v9, vcc
	v_cmp_ge_u32_e32 vcc, v5, v6
	s_or_b64 s[4:5], vcc, s[4:5]
	s_andn2_b64 exec, exec, s[4:5]
	s_cbranch_execnz .LBB70_14
; %bb.15:
	s_or_b64 exec, exec, s[4:5]
.LBB70_16:
	v_add_u32_e32 v6, v5, v0
	v_mov_b32_e32 v7, 0
	v_lshl_add_u64 v[8:9], v[6:7], 1, s[10:11]
	v_lshl_add_u64 v[6:7], v[6:7], 3, s[14:15]
	global_store_short v[8:9], v4, off
	global_store_dwordx2 v[6:7], v[2:3], off
.LBB70_17:
	s_or_b64 exec, exec, s[2:3]
	s_mov_b64 s[2:3], 0
.LBB70_18:
	s_andn2_b64 vcc, exec, s[2:3]
	s_cbranch_vccnz .LBB70_24
; %bb.19:
	s_cmp_ge_u32 s12, s16
	v_mov_b32_e32 v5, s13
	s_cbranch_scc1 .LBB70_23
; %bb.20:
	s_mov_b64 s[2:3], 0
	v_mov_b32_e32 v6, s16
	v_mov_b32_e32 v5, s13
.LBB70_21:                              ; =>This Inner Loop Header: Depth=1
	v_add_u32_e32 v7, v5, v6
	v_and_b32_e32 v8, -2, v7
	global_load_ushort v8, v8, s[8:9]
	v_lshrrev_b32_e32 v7, 1, v7
	v_add_u32_e32 v9, 1, v7
	s_waitcnt vmcnt(0)
	v_and_b32_e32 v8, s18, v8
	v_cmp_gt_i16_e32 vcc, v1, v8
	s_nop 1
	v_cndmask_b32_e64 v10, 0, 1, vcc
	v_cmp_le_i16_e32 vcc, v8, v1
	s_nop 1
	v_cndmask_b32_e64 v8, 0, 1, vcc
	v_cndmask_b32_e64 v8, v8, v10, s[0:1]
	v_and_b32_e32 v8, 1, v8
	v_cmp_eq_u32_e32 vcc, 1, v8
	s_nop 1
	v_cndmask_b32_e32 v6, v7, v6, vcc
	v_cndmask_b32_e32 v5, v5, v9, vcc
	v_cmp_ge_u32_e32 vcc, v5, v6
	s_or_b64 s[2:3], vcc, s[2:3]
	s_andn2_b64 exec, exec, s[2:3]
	s_cbranch_execnz .LBB70_21
; %bb.22:
	s_or_b64 exec, exec, s[2:3]
.LBB70_23:
	v_add_u32_e32 v0, v5, v0
	v_mov_b32_e32 v1, 0
	v_lshl_add_u64 v[6:7], v[0:1], 1, s[10:11]
	v_lshl_add_u64 v[0:1], v[0:1], 3, s[14:15]
	global_store_short v[6:7], v4, off
	global_store_dwordx2 v[0:1], v[2:3], off
.LBB70_24:
	s_endpgm
	.section	.rodata,"a",@progbits
	.p2align	6, 0x0
	.amdhsa_kernel _ZN7rocprim17ROCPRIM_304000_NS6detail33device_block_merge_oddeven_kernelINS1_37wrapped_merge_sort_block_merge_configINS0_14default_configEsN2at4cuda3cub6detail10OpaqueTypeILi8EEEEEPsSC_PSA_SD_jNS1_19radix_merge_compareILb0ELb1EsNS0_19identity_decomposerEEEEEvT0_T1_T2_T3_T4_SL_T5_
		.amdhsa_group_segment_fixed_size 0
		.amdhsa_private_segment_fixed_size 0
		.amdhsa_kernarg_size 44
		.amdhsa_user_sgpr_count 2
		.amdhsa_user_sgpr_dispatch_ptr 0
		.amdhsa_user_sgpr_queue_ptr 0
		.amdhsa_user_sgpr_kernarg_segment_ptr 1
		.amdhsa_user_sgpr_dispatch_id 0
		.amdhsa_user_sgpr_kernarg_preload_length 0
		.amdhsa_user_sgpr_kernarg_preload_offset 0
		.amdhsa_user_sgpr_private_segment_size 0
		.amdhsa_uses_dynamic_stack 0
		.amdhsa_enable_private_segment 0
		.amdhsa_system_sgpr_workgroup_id_x 1
		.amdhsa_system_sgpr_workgroup_id_y 0
		.amdhsa_system_sgpr_workgroup_id_z 0
		.amdhsa_system_sgpr_workgroup_info 0
		.amdhsa_system_vgpr_workitem_id 0
		.amdhsa_next_free_vgpr 11
		.amdhsa_next_free_sgpr 24
		.amdhsa_accum_offset 12
		.amdhsa_reserve_vcc 1
		.amdhsa_float_round_mode_32 0
		.amdhsa_float_round_mode_16_64 0
		.amdhsa_float_denorm_mode_32 3
		.amdhsa_float_denorm_mode_16_64 3
		.amdhsa_dx10_clamp 1
		.amdhsa_ieee_mode 1
		.amdhsa_fp16_overflow 0
		.amdhsa_tg_split 0
		.amdhsa_exception_fp_ieee_invalid_op 0
		.amdhsa_exception_fp_denorm_src 0
		.amdhsa_exception_fp_ieee_div_zero 0
		.amdhsa_exception_fp_ieee_overflow 0
		.amdhsa_exception_fp_ieee_underflow 0
		.amdhsa_exception_fp_ieee_inexact 0
		.amdhsa_exception_int_div_zero 0
	.end_amdhsa_kernel
	.section	.text._ZN7rocprim17ROCPRIM_304000_NS6detail33device_block_merge_oddeven_kernelINS1_37wrapped_merge_sort_block_merge_configINS0_14default_configEsN2at4cuda3cub6detail10OpaqueTypeILi8EEEEEPsSC_PSA_SD_jNS1_19radix_merge_compareILb0ELb1EsNS0_19identity_decomposerEEEEEvT0_T1_T2_T3_T4_SL_T5_,"axG",@progbits,_ZN7rocprim17ROCPRIM_304000_NS6detail33device_block_merge_oddeven_kernelINS1_37wrapped_merge_sort_block_merge_configINS0_14default_configEsN2at4cuda3cub6detail10OpaqueTypeILi8EEEEEPsSC_PSA_SD_jNS1_19radix_merge_compareILb0ELb1EsNS0_19identity_decomposerEEEEEvT0_T1_T2_T3_T4_SL_T5_,comdat
.Lfunc_end70:
	.size	_ZN7rocprim17ROCPRIM_304000_NS6detail33device_block_merge_oddeven_kernelINS1_37wrapped_merge_sort_block_merge_configINS0_14default_configEsN2at4cuda3cub6detail10OpaqueTypeILi8EEEEEPsSC_PSA_SD_jNS1_19radix_merge_compareILb0ELb1EsNS0_19identity_decomposerEEEEEvT0_T1_T2_T3_T4_SL_T5_, .Lfunc_end70-_ZN7rocprim17ROCPRIM_304000_NS6detail33device_block_merge_oddeven_kernelINS1_37wrapped_merge_sort_block_merge_configINS0_14default_configEsN2at4cuda3cub6detail10OpaqueTypeILi8EEEEEPsSC_PSA_SD_jNS1_19radix_merge_compareILb0ELb1EsNS0_19identity_decomposerEEEEEvT0_T1_T2_T3_T4_SL_T5_
                                        ; -- End function
	.set _ZN7rocprim17ROCPRIM_304000_NS6detail33device_block_merge_oddeven_kernelINS1_37wrapped_merge_sort_block_merge_configINS0_14default_configEsN2at4cuda3cub6detail10OpaqueTypeILi8EEEEEPsSC_PSA_SD_jNS1_19radix_merge_compareILb0ELb1EsNS0_19identity_decomposerEEEEEvT0_T1_T2_T3_T4_SL_T5_.num_vgpr, 11
	.set _ZN7rocprim17ROCPRIM_304000_NS6detail33device_block_merge_oddeven_kernelINS1_37wrapped_merge_sort_block_merge_configINS0_14default_configEsN2at4cuda3cub6detail10OpaqueTypeILi8EEEEEPsSC_PSA_SD_jNS1_19radix_merge_compareILb0ELb1EsNS0_19identity_decomposerEEEEEvT0_T1_T2_T3_T4_SL_T5_.num_agpr, 0
	.set _ZN7rocprim17ROCPRIM_304000_NS6detail33device_block_merge_oddeven_kernelINS1_37wrapped_merge_sort_block_merge_configINS0_14default_configEsN2at4cuda3cub6detail10OpaqueTypeILi8EEEEEPsSC_PSA_SD_jNS1_19radix_merge_compareILb0ELb1EsNS0_19identity_decomposerEEEEEvT0_T1_T2_T3_T4_SL_T5_.numbered_sgpr, 24
	.set _ZN7rocprim17ROCPRIM_304000_NS6detail33device_block_merge_oddeven_kernelINS1_37wrapped_merge_sort_block_merge_configINS0_14default_configEsN2at4cuda3cub6detail10OpaqueTypeILi8EEEEEPsSC_PSA_SD_jNS1_19radix_merge_compareILb0ELb1EsNS0_19identity_decomposerEEEEEvT0_T1_T2_T3_T4_SL_T5_.num_named_barrier, 0
	.set _ZN7rocprim17ROCPRIM_304000_NS6detail33device_block_merge_oddeven_kernelINS1_37wrapped_merge_sort_block_merge_configINS0_14default_configEsN2at4cuda3cub6detail10OpaqueTypeILi8EEEEEPsSC_PSA_SD_jNS1_19radix_merge_compareILb0ELb1EsNS0_19identity_decomposerEEEEEvT0_T1_T2_T3_T4_SL_T5_.private_seg_size, 0
	.set _ZN7rocprim17ROCPRIM_304000_NS6detail33device_block_merge_oddeven_kernelINS1_37wrapped_merge_sort_block_merge_configINS0_14default_configEsN2at4cuda3cub6detail10OpaqueTypeILi8EEEEEPsSC_PSA_SD_jNS1_19radix_merge_compareILb0ELb1EsNS0_19identity_decomposerEEEEEvT0_T1_T2_T3_T4_SL_T5_.uses_vcc, 1
	.set _ZN7rocprim17ROCPRIM_304000_NS6detail33device_block_merge_oddeven_kernelINS1_37wrapped_merge_sort_block_merge_configINS0_14default_configEsN2at4cuda3cub6detail10OpaqueTypeILi8EEEEEPsSC_PSA_SD_jNS1_19radix_merge_compareILb0ELb1EsNS0_19identity_decomposerEEEEEvT0_T1_T2_T3_T4_SL_T5_.uses_flat_scratch, 0
	.set _ZN7rocprim17ROCPRIM_304000_NS6detail33device_block_merge_oddeven_kernelINS1_37wrapped_merge_sort_block_merge_configINS0_14default_configEsN2at4cuda3cub6detail10OpaqueTypeILi8EEEEEPsSC_PSA_SD_jNS1_19radix_merge_compareILb0ELb1EsNS0_19identity_decomposerEEEEEvT0_T1_T2_T3_T4_SL_T5_.has_dyn_sized_stack, 0
	.set _ZN7rocprim17ROCPRIM_304000_NS6detail33device_block_merge_oddeven_kernelINS1_37wrapped_merge_sort_block_merge_configINS0_14default_configEsN2at4cuda3cub6detail10OpaqueTypeILi8EEEEEPsSC_PSA_SD_jNS1_19radix_merge_compareILb0ELb1EsNS0_19identity_decomposerEEEEEvT0_T1_T2_T3_T4_SL_T5_.has_recursion, 0
	.set _ZN7rocprim17ROCPRIM_304000_NS6detail33device_block_merge_oddeven_kernelINS1_37wrapped_merge_sort_block_merge_configINS0_14default_configEsN2at4cuda3cub6detail10OpaqueTypeILi8EEEEEPsSC_PSA_SD_jNS1_19radix_merge_compareILb0ELb1EsNS0_19identity_decomposerEEEEEvT0_T1_T2_T3_T4_SL_T5_.has_indirect_call, 0
	.section	.AMDGPU.csdata,"",@progbits
; Kernel info:
; codeLenInByte = 740
; TotalNumSgprs: 30
; NumVgprs: 11
; NumAgprs: 0
; TotalNumVgprs: 11
; ScratchSize: 0
; MemoryBound: 0
; FloatMode: 240
; IeeeMode: 1
; LDSByteSize: 0 bytes/workgroup (compile time only)
; SGPRBlocks: 3
; VGPRBlocks: 1
; NumSGPRsForWavesPerEU: 30
; NumVGPRsForWavesPerEU: 11
; AccumOffset: 12
; Occupancy: 8
; WaveLimiterHint : 0
; COMPUTE_PGM_RSRC2:SCRATCH_EN: 0
; COMPUTE_PGM_RSRC2:USER_SGPR: 2
; COMPUTE_PGM_RSRC2:TRAP_HANDLER: 0
; COMPUTE_PGM_RSRC2:TGID_X_EN: 1
; COMPUTE_PGM_RSRC2:TGID_Y_EN: 0
; COMPUTE_PGM_RSRC2:TGID_Z_EN: 0
; COMPUTE_PGM_RSRC2:TIDIG_COMP_CNT: 0
; COMPUTE_PGM_RSRC3_GFX90A:ACCUM_OFFSET: 2
; COMPUTE_PGM_RSRC3_GFX90A:TG_SPLIT: 0
	.section	.text._ZN7rocprim17ROCPRIM_304000_NS6detail26onesweep_histograms_kernelINS1_34wrapped_radix_sort_onesweep_configINS0_14default_configEsN2at4cuda3cub6detail10OpaqueTypeILi8EEEEELb0EPKsmNS0_19identity_decomposerEEEvT1_PT2_SG_SG_T3_jj,"axG",@progbits,_ZN7rocprim17ROCPRIM_304000_NS6detail26onesweep_histograms_kernelINS1_34wrapped_radix_sort_onesweep_configINS0_14default_configEsN2at4cuda3cub6detail10OpaqueTypeILi8EEEEELb0EPKsmNS0_19identity_decomposerEEEvT1_PT2_SG_SG_T3_jj,comdat
	.protected	_ZN7rocprim17ROCPRIM_304000_NS6detail26onesweep_histograms_kernelINS1_34wrapped_radix_sort_onesweep_configINS0_14default_configEsN2at4cuda3cub6detail10OpaqueTypeILi8EEEEELb0EPKsmNS0_19identity_decomposerEEEvT1_PT2_SG_SG_T3_jj ; -- Begin function _ZN7rocprim17ROCPRIM_304000_NS6detail26onesweep_histograms_kernelINS1_34wrapped_radix_sort_onesweep_configINS0_14default_configEsN2at4cuda3cub6detail10OpaqueTypeILi8EEEEELb0EPKsmNS0_19identity_decomposerEEEvT1_PT2_SG_SG_T3_jj
	.globl	_ZN7rocprim17ROCPRIM_304000_NS6detail26onesweep_histograms_kernelINS1_34wrapped_radix_sort_onesweep_configINS0_14default_configEsN2at4cuda3cub6detail10OpaqueTypeILi8EEEEELb0EPKsmNS0_19identity_decomposerEEEvT1_PT2_SG_SG_T3_jj
	.p2align	8
	.type	_ZN7rocprim17ROCPRIM_304000_NS6detail26onesweep_histograms_kernelINS1_34wrapped_radix_sort_onesweep_configINS0_14default_configEsN2at4cuda3cub6detail10OpaqueTypeILi8EEEEELb0EPKsmNS0_19identity_decomposerEEEvT1_PT2_SG_SG_T3_jj,@function
_ZN7rocprim17ROCPRIM_304000_NS6detail26onesweep_histograms_kernelINS1_34wrapped_radix_sort_onesweep_configINS0_14default_configEsN2at4cuda3cub6detail10OpaqueTypeILi8EEEEELb0EPKsmNS0_19identity_decomposerEEEvT1_PT2_SG_SG_T3_jj: ; @_ZN7rocprim17ROCPRIM_304000_NS6detail26onesweep_histograms_kernelINS1_34wrapped_radix_sort_onesweep_configINS0_14default_configEsN2at4cuda3cub6detail10OpaqueTypeILi8EEEEELb0EPKsmNS0_19identity_decomposerEEEvT1_PT2_SG_SG_T3_jj
; %bb.0:
	s_load_dwordx8 s[36:43], s[0:1], 0x0
	s_load_dwordx2 s[44:45], s[0:1], 0x24
	v_mov_b32_e32 v2, s2
	v_mov_b32_e32 v3, 0
	s_mul_hi_u32 s0, s2, 0x2400
	s_mulk_i32 s2, 0x2400
	s_waitcnt lgkmcnt(0)
	v_cmp_le_u64_e32 vcc, s[42:43], v[2:3]
	s_add_u32 s46, s36, s2
	s_addc_u32 s47, s37, s0
	s_mov_b64 s[0:1], -1
	v_lshlrev_b32_e32 v2, 1, v0
	s_cbranch_vccz .LBB71_122
; %bb.1:
	s_mul_i32 s33, s42, 0xffffee00
	s_add_i32 s33, s33, s40
	v_lshl_add_u64 v[4:5], s[46:47], 0, v[2:3]
	v_cmp_gt_u32_e64 s[36:37], s33, v0
	v_mov_b32_e32 v21, 0
	s_and_saveexec_b64 s[0:1], s[36:37]
	s_cbranch_execz .LBB71_3
; %bb.2:
	global_load_ushort v1, v[4:5], off
	s_waitcnt vmcnt(0)
	v_xor_b32_e32 v1, 0xffff8000, v1
	v_and_b32_e32 v21, 0xffff, v1
.LBB71_3:
	s_or_b64 exec, exec, s[0:1]
	v_or_b32_e32 v1, 0x100, v0
	v_cmp_gt_u32_e64 s[34:35], s33, v1
	s_and_saveexec_b64 s[0:1], s[34:35]
	s_cbranch_execz .LBB71_5
; %bb.4:
	global_load_ushort v1, v[4:5], off offset:512
	s_waitcnt vmcnt(0)
	v_xor_b32_e32 v1, 0xffff8000, v1
	v_and_b32_e32 v3, 0xffff, v1
.LBB71_5:
	s_or_b64 exec, exec, s[0:1]
	v_or_b32_e32 v1, 0x200, v0
	v_cmp_gt_u32_e64 s[30:31], s33, v1
	v_mov_b32_e32 v18, 0
	v_mov_b32_e32 v20, 0
	s_and_saveexec_b64 s[0:1], s[30:31]
	s_cbranch_execz .LBB71_7
; %bb.6:
	global_load_ushort v1, v[4:5], off offset:1024
	s_waitcnt vmcnt(0)
	v_xor_b32_e32 v1, 0xffff8000, v1
	v_and_b32_e32 v20, 0xffff, v1
.LBB71_7:
	s_or_b64 exec, exec, s[0:1]
	v_or_b32_e32 v1, 0x300, v0
	v_cmp_gt_u32_e64 s[28:29], s33, v1
	s_and_saveexec_b64 s[0:1], s[28:29]
	s_cbranch_execz .LBB71_9
; %bb.8:
	global_load_ushort v1, v[4:5], off offset:1536
	s_waitcnt vmcnt(0)
	v_xor_b32_e32 v1, 0xffff8000, v1
	v_and_b32_e32 v18, 0xffff, v1
.LBB71_9:
	s_or_b64 exec, exec, s[0:1]
	v_or_b32_e32 v1, 0x400, v0
	v_cmp_gt_u32_e64 s[26:27], s33, v1
	v_mov_b32_e32 v16, 0
	v_mov_b32_e32 v19, 0
	s_and_saveexec_b64 s[0:1], s[26:27]
	s_cbranch_execz .LBB71_11
; %bb.10:
	global_load_ushort v1, v[4:5], off offset:2048
	s_waitcnt vmcnt(0)
	v_xor_b32_e32 v1, 0xffff8000, v1
	v_and_b32_e32 v19, 0xffff, v1
.LBB71_11:
	;; [unrolled: 24-line block ×3, first 2 shown]
	s_or_b64 exec, exec, s[0:1]
	v_or_b32_e32 v1, 0x700, v0
	v_cmp_gt_u32_e64 s[20:21], s33, v1
	s_and_saveexec_b64 s[0:1], s[20:21]
	s_cbranch_execz .LBB71_17
; %bb.16:
	global_load_ushort v1, v[4:5], off offset:3584
	s_waitcnt vmcnt(0)
	v_xor_b32_e32 v1, 0xffff8000, v1
	v_and_b32_e32 v14, 0xffff, v1
.LBB71_17:
	s_or_b64 exec, exec, s[0:1]
	v_or_b32_e32 v1, 0x800, v0
	v_cmp_gt_u32_e64 s[18:19], s33, v1
	v_mov_b32_e32 v12, 0
	v_mov_b32_e32 v15, 0
	s_and_saveexec_b64 s[0:1], s[18:19]
	s_cbranch_execz .LBB71_19
; %bb.18:
	v_add_co_u32_e32 v6, vcc, 0x1000, v4
	s_nop 1
	v_addc_co_u32_e32 v7, vcc, 0, v5, vcc
	global_load_ushort v1, v[6:7], off
	s_waitcnt vmcnt(0)
	v_xor_b32_e32 v1, 0xffff8000, v1
	v_and_b32_e32 v15, 0xffff, v1
.LBB71_19:
	s_or_b64 exec, exec, s[0:1]
	v_or_b32_e32 v1, 0x900, v0
	v_cmp_gt_u32_e64 s[16:17], s33, v1
	s_and_saveexec_b64 s[0:1], s[16:17]
	s_cbranch_execz .LBB71_21
; %bb.20:
	v_add_co_u32_e32 v6, vcc, 0x1000, v4
	s_nop 1
	v_addc_co_u32_e32 v7, vcc, 0, v5, vcc
	global_load_ushort v1, v[6:7], off offset:512
	s_waitcnt vmcnt(0)
	v_xor_b32_e32 v1, 0xffff8000, v1
	v_and_b32_e32 v12, 0xffff, v1
.LBB71_21:
	s_or_b64 exec, exec, s[0:1]
	v_or_b32_e32 v1, 0xa00, v0
	v_cmp_gt_u32_e64 s[14:15], s33, v1
	v_mov_b32_e32 v10, 0
	v_mov_b32_e32 v13, 0
	s_and_saveexec_b64 s[0:1], s[14:15]
	s_cbranch_execz .LBB71_23
; %bb.22:
	v_add_co_u32_e32 v6, vcc, 0x1000, v4
	s_nop 1
	v_addc_co_u32_e32 v7, vcc, 0, v5, vcc
	global_load_ushort v1, v[6:7], off offset:1024
	s_waitcnt vmcnt(0)
	v_xor_b32_e32 v1, 0xffff8000, v1
	v_and_b32_e32 v13, 0xffff, v1
.LBB71_23:
	s_or_b64 exec, exec, s[0:1]
	v_or_b32_e32 v1, 0xb00, v0
	v_cmp_gt_u32_e64 s[12:13], s33, v1
	s_and_saveexec_b64 s[0:1], s[12:13]
	s_cbranch_execz .LBB71_25
; %bb.24:
	v_add_co_u32_e32 v6, vcc, 0x1000, v4
	s_nop 1
	v_addc_co_u32_e32 v7, vcc, 0, v5, vcc
	global_load_ushort v1, v[6:7], off offset:1536
	s_waitcnt vmcnt(0)
	v_xor_b32_e32 v1, 0xffff8000, v1
	v_and_b32_e32 v10, 0xffff, v1
.LBB71_25:
	s_or_b64 exec, exec, s[0:1]
	v_or_b32_e32 v1, 0xc00, v0
	v_cmp_gt_u32_e64 s[10:11], s33, v1
	v_mov_b32_e32 v8, 0
	v_mov_b32_e32 v11, 0
	s_and_saveexec_b64 s[0:1], s[10:11]
	s_cbranch_execz .LBB71_27
; %bb.26:
	v_add_co_u32_e32 v6, vcc, 0x1000, v4
	s_nop 1
	v_addc_co_u32_e32 v7, vcc, 0, v5, vcc
	global_load_ushort v1, v[6:7], off offset:2048
	s_waitcnt vmcnt(0)
	v_xor_b32_e32 v1, 0xffff8000, v1
	v_and_b32_e32 v11, 0xffff, v1
.LBB71_27:
	;; [unrolled: 30-line block ×3, first 2 shown]
	s_or_b64 exec, exec, s[0:1]
	v_or_b32_e32 v1, 0xf00, v0
	v_cmp_gt_u32_e64 s[4:5], s33, v1
	s_and_saveexec_b64 s[0:1], s[4:5]
	s_cbranch_execz .LBB71_33
; %bb.32:
	v_add_co_u32_e32 v6, vcc, 0x1000, v4
	s_nop 1
	v_addc_co_u32_e32 v7, vcc, 0, v5, vcc
	global_load_ushort v1, v[6:7], off offset:3584
	s_waitcnt vmcnt(0)
	v_xor_b32_e32 v1, 0xffff8000, v1
	v_and_b32_e32 v6, 0xffff, v1
.LBB71_33:
	s_or_b64 exec, exec, s[0:1]
	v_or_b32_e32 v1, 0x1000, v0
	v_cmp_gt_u32_e64 s[2:3], s33, v1
	v_mov_b32_e32 v1, 0
	v_mov_b32_e32 v7, 0
	s_and_saveexec_b64 s[0:1], s[2:3]
	s_cbranch_execz .LBB71_35
; %bb.34:
	v_add_co_u32_e32 v22, vcc, 0x2000, v4
	s_nop 1
	v_addc_co_u32_e32 v23, vcc, 0, v5, vcc
	global_load_ushort v7, v[22:23], off
	s_waitcnt vmcnt(0)
	v_xor_b32_e32 v7, 0xffff8000, v7
	v_and_b32_e32 v7, 0xffff, v7
.LBB71_35:
	s_or_b64 exec, exec, s[0:1]
	v_or_b32_e32 v22, 0x1100, v0
	v_cmp_gt_u32_e64 s[0:1], s33, v22
	s_and_saveexec_b64 s[40:41], s[0:1]
	s_cbranch_execz .LBB71_37
; %bb.36:
	v_add_co_u32_e32 v4, vcc, 0x2000, v4
	s_nop 1
	v_addc_co_u32_e32 v5, vcc, 0, v5, vcc
	global_load_ushort v1, v[4:5], off offset:512
	s_waitcnt vmcnt(0)
	v_xor_b32_e32 v1, 0xffff8000, v1
	v_and_b32_e32 v1, 0xffff, v1
.LBB71_37:
	s_or_b64 exec, exec, s[40:41]
	s_mov_b32 s40, 0
	v_lshlrev_b32_e32 v4, 2, v0
	s_mov_b32 s41, 1
	s_mov_b64 s[42:43], 0
	v_mov_b32_e32 v5, 0
	s_mov_b32 s48, s40
	s_branch .LBB71_39
.LBB71_38:                              ;   in Loop: Header=BB71_39 Depth=1
	s_or_b64 exec, exec, s[52:53]
	s_add_i32 s48, s48, 2
	v_cmp_eq_u32_e64 s[50:51], 8, s48
	s_or_b64 s[42:43], s[50:51], s[42:43]
	v_add_u32_e32 v4, 0x800, v4
	s_andn2_b64 exec, exec, s[42:43]
	s_cbranch_execz .LBB71_43
.LBB71_39:                              ; =>This Inner Loop Header: Depth=1
	s_mov_b32 s49, s48
	s_or_b64 s[52:53], s[48:49], s[40:41]
	v_cmp_le_u32_e64 s[50:51], s53, 7
	v_cmp_le_u32_e64 s[54:55], s52, 7
	s_and_saveexec_b64 s[52:53], s[54:55]
; %bb.40:                               ;   in Loop: Header=BB71_39 Depth=1
	ds_write_b32 v4, v5
; %bb.41:                               ;   in Loop: Header=BB71_39 Depth=1
	s_or_b64 exec, exec, s[52:53]
	s_and_saveexec_b64 s[52:53], s[50:51]
	s_cbranch_execz .LBB71_38
; %bb.42:                               ;   in Loop: Header=BB71_39 Depth=1
	ds_write_b32 v4, v5 offset:1024
	s_branch .LBB71_38
.LBB71_43:
	s_or_b64 exec, exec, s[42:43]
	s_cmp_gt_u32 s45, s44
	s_cselect_b64 s[40:41], -1, 0
	s_cmp_le_u32 s45, s44
	s_waitcnt lgkmcnt(0)
	s_barrier
	s_cbranch_scc1 .LBB71_116
; %bb.44:
	v_and_b32_e32 v4, 3, v0
	v_lshlrev_b32_e32 v4, 2, v4
	s_sub_i32 s33, s45, s44
	v_mov_b32_e32 v5, 1
	s_mov_b32 s48, s33
	v_mov_b32_e32 v22, v4
	s_mov_b32 s49, s44
	s_branch .LBB71_46
.LBB71_45:                              ;   in Loop: Header=BB71_46 Depth=1
	s_or_b64 exec, exec, s[42:43]
	s_add_i32 s49, s49, 8
	s_add_i32 s48, s48, -8
	s_cmp_lt_u32 s49, s45
	v_add_u32_e32 v22, 0x1000, v22
	s_cbranch_scc0 .LBB71_48
.LBB71_46:                              ; =>This Inner Loop Header: Depth=1
	s_and_saveexec_b64 s[42:43], s[36:37]
	s_cbranch_execz .LBB71_45
; %bb.47:                               ;   in Loop: Header=BB71_46 Depth=1
	s_min_u32 s50, s48, 8
	v_lshrrev_b32_e32 v23, s49, v21
	v_bfe_u32 v23, v23, 0, s50
	v_lshl_add_u32 v23, v23, 4, v22
	ds_add_u32 v23, v5
	s_branch .LBB71_45
.LBB71_48:
	v_mov_b32_e32 v5, 1
	s_mov_b32 s42, s33
	v_mov_b32_e32 v21, v4
	s_mov_b32 s43, s44
	s_branch .LBB71_50
.LBB71_49:                              ;   in Loop: Header=BB71_50 Depth=1
	s_or_b64 exec, exec, s[36:37]
	s_add_i32 s43, s43, 8
	s_add_i32 s42, s42, -8
	s_cmp_lt_u32 s43, s45
	v_add_u32_e32 v21, 0x1000, v21
	s_cbranch_scc0 .LBB71_52
.LBB71_50:                              ; =>This Inner Loop Header: Depth=1
	s_and_saveexec_b64 s[36:37], s[34:35]
	s_cbranch_execz .LBB71_49
; %bb.51:                               ;   in Loop: Header=BB71_50 Depth=1
	s_min_u32 s48, s42, 8
	v_lshrrev_b32_e32 v22, s43, v3
	v_bfe_u32 v22, v22, 0, s48
	v_lshl_add_u32 v22, v22, 4, v21
	ds_add_u32 v22, v5
	s_branch .LBB71_49
.LBB71_52:
	;; [unrolled: 23-line block ×14, first 2 shown]
	v_mov_b32_e32 v3, 1
	s_mov_b32 s10, s33
	v_mov_b32_e32 v5, v4
	s_mov_b32 s11, s44
	s_branch .LBB71_102
.LBB71_101:                             ;   in Loop: Header=BB71_102 Depth=1
	s_or_b64 exec, exec, s[8:9]
	s_add_i32 s11, s11, 8
	s_add_i32 s10, s10, -8
	s_cmp_lt_u32 s11, s45
	v_add_u32_e32 v5, 0x1000, v5
	s_cbranch_scc0 .LBB71_104
.LBB71_102:                             ; =>This Inner Loop Header: Depth=1
	s_and_saveexec_b64 s[8:9], s[6:7]
	s_cbranch_execz .LBB71_101
; %bb.103:                              ;   in Loop: Header=BB71_102 Depth=1
	s_min_u32 s12, s10, 8
	v_lshrrev_b32_e32 v8, s11, v9
	v_bfe_u32 v8, v8, 0, s12
	v_lshl_add_u32 v8, v8, 4, v5
	ds_add_u32 v8, v3
	s_branch .LBB71_101
.LBB71_104:
	v_mov_b32_e32 v3, 1
	s_mov_b32 s8, s33
	v_mov_b32_e32 v5, v4
	s_mov_b32 s9, s44
	s_branch .LBB71_106
.LBB71_105:                             ;   in Loop: Header=BB71_106 Depth=1
	s_or_b64 exec, exec, s[6:7]
	s_add_i32 s9, s9, 8
	s_add_i32 s8, s8, -8
	s_cmp_lt_u32 s9, s45
	v_add_u32_e32 v5, 0x1000, v5
	s_cbranch_scc0 .LBB71_108
.LBB71_106:                             ; =>This Inner Loop Header: Depth=1
	s_and_saveexec_b64 s[6:7], s[4:5]
	s_cbranch_execz .LBB71_105
; %bb.107:                              ;   in Loop: Header=BB71_106 Depth=1
	s_min_u32 s10, s8, 8
	v_lshrrev_b32_e32 v8, s9, v6
	v_bfe_u32 v8, v8, 0, s10
	v_lshl_add_u32 v8, v8, 4, v5
	ds_add_u32 v8, v3
	s_branch .LBB71_105
.LBB71_108:
	;; [unrolled: 23-line block ×3, first 2 shown]
	v_mov_b32_e32 v3, 1
	s_mov_b32 s4, s44
	s_branch .LBB71_114
.LBB71_113:                             ;   in Loop: Header=BB71_114 Depth=1
	s_or_b64 exec, exec, s[2:3]
	s_add_i32 s4, s4, 8
	s_add_i32 s33, s33, -8
	s_cmp_lt_u32 s4, s45
	v_add_u32_e32 v4, 0x1000, v4
	s_cbranch_scc0 .LBB71_116
.LBB71_114:                             ; =>This Inner Loop Header: Depth=1
	s_and_saveexec_b64 s[2:3], s[0:1]
	s_cbranch_execz .LBB71_113
; %bb.115:                              ;   in Loop: Header=BB71_114 Depth=1
	s_min_u32 s5, s33, 8
	v_lshrrev_b32_e32 v5, s4, v1
	v_bfe_u32 v5, v5, 0, s5
	v_lshl_add_u32 v5, v5, 4, v4
	ds_add_u32 v5, v3
	s_branch .LBB71_113
.LBB71_116:
	s_and_b64 vcc, exec, s[40:41]
	s_waitcnt lgkmcnt(0)
	s_barrier
	s_cbranch_vccz .LBB71_121
; %bb.117:
	s_movk_i32 s0, 0x100
	v_cmp_gt_u32_e32 vcc, s0, v0
	v_lshlrev_b32_e32 v1, 4, v0
	v_mov_b32_e32 v5, 0
	v_mov_b32_e32 v4, v0
	s_mov_b32 s2, s44
	s_branch .LBB71_119
.LBB71_118:                             ;   in Loop: Header=BB71_119 Depth=1
	s_or_b64 exec, exec, s[0:1]
	s_add_i32 s2, s2, 8
	v_add_u32_e32 v4, 0x100, v4
	s_cmp_lt_u32 s2, s45
	v_add_u32_e32 v1, 0x1000, v1
	s_cbranch_scc0 .LBB71_121
.LBB71_119:                             ; =>This Inner Loop Header: Depth=1
	s_and_saveexec_b64 s[0:1], vcc
	s_cbranch_execz .LBB71_118
; %bb.120:                              ;   in Loop: Header=BB71_119 Depth=1
	ds_read2_b32 v[6:7], v1 offset1:1
	ds_read2_b32 v[8:9], v1 offset0:2 offset1:3
	v_lshl_add_u64 v[10:11], v[4:5], 3, s[38:39]
	s_waitcnt lgkmcnt(1)
	v_add_u32_e32 v3, v7, v6
	s_waitcnt lgkmcnt(0)
	v_add3_u32 v6, v3, v8, v9
	v_mov_b32_e32 v7, v5
	global_atomic_add_x2 v[10:11], v[6:7], off
	s_branch .LBB71_118
.LBB71_121:
	s_mov_b64 s[0:1], 0
.LBB71_122:
	s_and_b64 vcc, exec, s[0:1]
	s_cbranch_vccz .LBB71_182
; %bb.123:
	v_mov_b32_e32 v3, 0
	v_lshl_add_u64 v[20:21], s[46:47], 0, v[2:3]
	s_movk_i32 s0, 0x1000
	v_add_co_u32_e32 v22, vcc, s0, v20
	global_load_ushort v1, v2, s[46:47]
	global_load_ushort v4, v2, s[46:47] offset:512
	global_load_ushort v5, v2, s[46:47] offset:1024
	;; [unrolled: 1-line block ×7, first 2 shown]
	v_addc_co_u32_e32 v23, vcc, 0, v21, vcc
	global_load_ushort v11, v[22:23], off
	global_load_ushort v12, v[22:23], off offset:512
	global_load_ushort v13, v[22:23], off offset:1024
	;; [unrolled: 1-line block ×7, first 2 shown]
	v_add_co_u32_e32 v22, vcc, 0x2000, v20
	s_cmp_eq_u32 s44, 0
	s_nop 0
	v_addc_co_u32_e32 v23, vcc, 0, v21, vcc
	global_load_ushort v19, v[22:23], off
	global_load_ushort v20, v[22:23], off offset:512
	s_cselect_b64 s[2:3], -1, 0
	s_cmp_eq_u32 s45, 16
	s_cselect_b64 s[4:5], -1, 0
	s_mov_b32 s0, 0
	s_and_b64 s[4:5], s[2:3], s[4:5]
	s_mov_b32 s1, 1
	s_mov_b64 s[2:3], -1
	s_and_b64 vcc, exec, s[4:5]
	v_lshlrev_b32_e32 v21, 2, v0
	s_cbranch_vccnz .LBB71_173
; %bb.124:
	v_lshlrev_b32_e32 v2, 2, v0
	s_mov_b64 s[2:3], 0
	s_mov_b32 s4, s0
	s_branch .LBB71_126
.LBB71_125:                             ;   in Loop: Header=BB71_126 Depth=1
	s_or_b64 exec, exec, s[8:9]
	s_add_i32 s4, s4, 2
	v_cmp_eq_u32_e64 s[6:7], 8, s4
	s_or_b64 s[2:3], s[6:7], s[2:3]
	v_add_u32_e32 v2, 0x800, v2
	s_andn2_b64 exec, exec, s[2:3]
	s_cbranch_execz .LBB71_130
.LBB71_126:                             ; =>This Inner Loop Header: Depth=1
	s_mov_b32 s5, s4
	s_or_b64 s[8:9], s[4:5], s[0:1]
	v_cmp_le_u32_e64 s[6:7], s9, 7
	v_cmp_le_u32_e64 s[10:11], s8, 7
	s_and_saveexec_b64 s[8:9], s[10:11]
; %bb.127:                              ;   in Loop: Header=BB71_126 Depth=1
	ds_write_b32 v2, v3
; %bb.128:                              ;   in Loop: Header=BB71_126 Depth=1
	s_or_b64 exec, exec, s[8:9]
	s_and_saveexec_b64 s[8:9], s[6:7]
	s_cbranch_execz .LBB71_125
; %bb.129:                              ;   in Loop: Header=BB71_126 Depth=1
	ds_write_b32 v2, v3 offset:1024
	s_branch .LBB71_125
.LBB71_130:
	s_or_b64 exec, exec, s[2:3]
	s_cmp_gt_u32 s45, s44
	s_cselect_b64 s[0:1], -1, 0
	s_cmp_le_u32 s45, s44
	s_waitcnt lgkmcnt(0)
	s_barrier
	s_cbranch_scc1 .LBB71_167
; %bb.131:
	v_and_b32_e32 v2, 3, v0
	v_lshlrev_b32_e32 v2, 2, v2
	s_sub_i32 s2, s45, s44
	s_waitcnt vmcnt(17)
	v_xor_b32_e32 v3, 0xffff8000, v1
	v_mov_b32_e32 v22, 1
	s_mov_b32 s3, s2
	v_mov_b32_e32 v23, v2
	s_mov_b32 s4, s44
.LBB71_132:                             ; =>This Inner Loop Header: Depth=1
	s_min_u32 s5, s3, 8
	v_lshrrev_b32_sdwa v24, s4, v3 dst_sel:DWORD dst_unused:UNUSED_PAD src0_sel:DWORD src1_sel:WORD_0
	v_bfe_u32 v24, v24, 0, s5
	v_lshl_add_u32 v24, v24, 4, v23
	ds_add_u32 v24, v22
	s_add_i32 s4, s4, 8
	s_add_i32 s3, s3, -8
	s_cmp_ge_u32 s4, s45
	v_add_u32_e32 v23, 0x1000, v23
	s_cbranch_scc0 .LBB71_132
; %bb.133:
	s_waitcnt vmcnt(16)
	v_xor_b32_e32 v3, 0xffff8000, v4
	v_mov_b32_e32 v22, 1
	s_mov_b32 s3, s2
	v_mov_b32_e32 v23, v2
	s_mov_b32 s4, s44
.LBB71_134:                             ; =>This Inner Loop Header: Depth=1
	s_min_u32 s5, s3, 8
	v_lshrrev_b32_sdwa v24, s4, v3 dst_sel:DWORD dst_unused:UNUSED_PAD src0_sel:DWORD src1_sel:WORD_0
	v_bfe_u32 v24, v24, 0, s5
	v_lshl_add_u32 v24, v24, 4, v23
	ds_add_u32 v24, v22
	s_add_i32 s4, s4, 8
	s_add_i32 s3, s3, -8
	s_cmp_lt_u32 s4, s45
	v_add_u32_e32 v23, 0x1000, v23
	s_cbranch_scc1 .LBB71_134
; %bb.135:
	s_waitcnt vmcnt(15)
	v_xor_b32_e32 v3, 0xffff8000, v5
	v_mov_b32_e32 v22, 1
	s_mov_b32 s3, s2
	v_mov_b32_e32 v23, v2
	s_mov_b32 s4, s44
.LBB71_136:                             ; =>This Inner Loop Header: Depth=1
	s_min_u32 s5, s3, 8
	v_lshrrev_b32_sdwa v24, s4, v3 dst_sel:DWORD dst_unused:UNUSED_PAD src0_sel:DWORD src1_sel:WORD_0
	v_bfe_u32 v24, v24, 0, s5
	v_lshl_add_u32 v24, v24, 4, v23
	ds_add_u32 v24, v22
	s_add_i32 s4, s4, 8
	s_add_i32 s3, s3, -8
	s_cmp_lt_u32 s4, s45
	v_add_u32_e32 v23, 0x1000, v23
	s_cbranch_scc1 .LBB71_136
	;; [unrolled: 18-line block ×16, first 2 shown]
; %bb.165:
	s_waitcnt vmcnt(0)
	v_xor_b32_e32 v3, 0xffff8000, v20
	v_mov_b32_e32 v22, 1
	s_mov_b32 s3, s44
.LBB71_166:                             ; =>This Inner Loop Header: Depth=1
	s_min_u32 s4, s2, 8
	v_lshrrev_b32_sdwa v23, s3, v3 dst_sel:DWORD dst_unused:UNUSED_PAD src0_sel:DWORD src1_sel:WORD_0
	v_bfe_u32 v23, v23, 0, s4
	v_lshl_add_u32 v23, v23, 4, v2
	ds_add_u32 v23, v22
	s_add_i32 s3, s3, 8
	s_add_i32 s2, s2, -8
	s_cmp_lt_u32 s3, s45
	v_add_u32_e32 v2, 0x1000, v2
	s_cbranch_scc1 .LBB71_166
.LBB71_167:
	s_and_b64 vcc, exec, s[0:1]
	s_waitcnt lgkmcnt(0)
	s_barrier
	s_cbranch_vccz .LBB71_172
; %bb.168:
	s_movk_i32 s0, 0x100
	v_cmp_gt_u32_e32 vcc, s0, v0
	v_lshlrev_b32_e32 v22, 4, v0
	v_mov_b32_e32 v3, 0
	v_mov_b32_e32 v2, v0
	s_branch .LBB71_170
.LBB71_169:                             ;   in Loop: Header=BB71_170 Depth=1
	s_or_b64 exec, exec, s[0:1]
	s_add_i32 s44, s44, 8
	v_add_u32_e32 v2, 0x100, v2
	s_cmp_ge_u32 s44, s45
	v_add_u32_e32 v22, 0x1000, v22
	s_cbranch_scc1 .LBB71_172
.LBB71_170:                             ; =>This Inner Loop Header: Depth=1
	s_and_saveexec_b64 s[0:1], vcc
	s_cbranch_execz .LBB71_169
; %bb.171:                              ;   in Loop: Header=BB71_170 Depth=1
	ds_read2_b32 v[24:25], v22 offset1:1
	ds_read2_b32 v[26:27], v22 offset0:2 offset1:3
	v_lshl_add_u64 v[28:29], v[2:3], 3, s[38:39]
	s_waitcnt lgkmcnt(1)
	v_add_u32_e32 v23, v25, v24
	s_waitcnt lgkmcnt(0)
	v_add3_u32 v24, v23, v26, v27
	v_mov_b32_e32 v25, v3
	global_atomic_add_x2 v[28:29], v[24:25], off
	s_branch .LBB71_169
.LBB71_172:
	s_mov_b64 s[2:3], 0
.LBB71_173:
	s_and_b64 vcc, exec, s[2:3]
	s_cbranch_vccz .LBB71_182
; %bb.174:
	s_mov_b32 s0, 0
	s_mov_b32 s1, 1
	s_mov_b64 s[2:3], 0
	v_mov_b32_e32 v2, 0
	s_mov_b32 s4, s0
	s_branch .LBB71_176
.LBB71_175:                             ;   in Loop: Header=BB71_176 Depth=1
	s_or_b64 exec, exec, s[8:9]
	s_add_i32 s4, s4, 2
	v_cmp_eq_u32_e64 s[6:7], 8, s4
	s_or_b64 s[2:3], s[6:7], s[2:3]
	v_add_u32_e32 v21, 0x800, v21
	s_andn2_b64 exec, exec, s[2:3]
	s_cbranch_execz .LBB71_180
.LBB71_176:                             ; =>This Inner Loop Header: Depth=1
	s_mov_b32 s5, s4
	s_or_b64 s[8:9], s[4:5], s[0:1]
	v_cmp_le_u32_e64 s[6:7], s9, 7
	v_cmp_le_u32_e64 s[10:11], s8, 7
	s_and_saveexec_b64 s[8:9], s[10:11]
; %bb.177:                              ;   in Loop: Header=BB71_176 Depth=1
	ds_write_b32 v21, v2
; %bb.178:                              ;   in Loop: Header=BB71_176 Depth=1
	s_or_b64 exec, exec, s[8:9]
	s_and_saveexec_b64 s[8:9], s[6:7]
	s_cbranch_execz .LBB71_175
; %bb.179:                              ;   in Loop: Header=BB71_176 Depth=1
	ds_write_b32 v21, v2 offset:1024
	s_branch .LBB71_175
.LBB71_180:
	s_or_b64 exec, exec, s[2:3]
	s_waitcnt vmcnt(17)
	v_xor_b32_e32 v1, 0xffff8000, v1
	s_waitcnt vmcnt(15)
	v_xor_b32_e32 v3, 0xffff8000, v5
	;; [unrolled: 2-line block ×9, first 2 shown]
	v_and_b32_e32 v19, 3, v0
	v_and_b32_e32 v1, 0xffff, v1
	v_xor_b32_e32 v2, 0xffff8000, v4
	v_xor_b32_e32 v4, 0xffff8000, v6
	;; [unrolled: 1-line block ×8, first 2 shown]
	s_waitcnt vmcnt(0)
	v_xor_b32_e32 v18, 0xffff8000, v20
	v_lshlrev_b32_e32 v20, 4, v1
	v_lshlrev_b32_e32 v19, 2, v19
	s_movk_i32 s0, 0xff0
	v_and_or_b32 v20, v20, s0, v19
	v_mov_b32_e32 v21, 1
	v_bfe_u32 v1, v1, 8, 8
	s_waitcnt lgkmcnt(0)
	s_barrier
	ds_add_u32 v20, v21
	v_lshl_or_b32 v1, v1, 4, v19
	ds_add_u32 v1, v21 offset:4096
	v_and_b32_e32 v1, 0xffff, v2
	v_lshlrev_b32_e32 v2, 4, v1
	v_and_or_b32 v2, v2, s0, v19
	v_bfe_u32 v1, v1, 8, 8
	ds_add_u32 v2, v21
	v_lshl_or_b32 v1, v1, 4, v19
	ds_add_u32 v1, v21 offset:4096
	v_and_b32_e32 v1, 0xffff, v3
	v_lshlrev_b32_e32 v2, 4, v1
	v_and_or_b32 v2, v2, s0, v19
	v_bfe_u32 v1, v1, 8, 8
	;; [unrolled: 7-line block ×17, first 2 shown]
	ds_add_u32 v2, v21
	v_lshl_or_b32 v1, v1, 4, v19
	ds_add_u32 v1, v21 offset:4096
	s_movk_i32 s0, 0x100
	v_cmp_gt_u32_e32 vcc, s0, v0
	s_waitcnt lgkmcnt(0)
	s_barrier
	s_and_saveexec_b64 s[0:1], vcc
	s_cbranch_execz .LBB71_182
; %bb.181:
	v_lshlrev_b32_e32 v6, 4, v0
	ds_read2_b32 v[2:3], v6 offset1:1
	ds_read2_b32 v[4:5], v6 offset0:2 offset1:3
	v_lshlrev_b32_e32 v7, 3, v0
	v_mov_b32_e32 v1, 0
	v_or_b32_e32 v8, 0x1000, v6
	s_waitcnt lgkmcnt(1)
	v_add_u32_e32 v0, v3, v2
	s_waitcnt lgkmcnt(0)
	v_add3_u32 v0, v0, v4, v5
	global_atomic_add_x2 v7, v[0:1], s[38:39]
	v_or_b32_e32 v0, 0x1008, v6
	ds_read2_b32 v[2:3], v8 offset1:1
	ds_read2_b32 v[4:5], v0 offset1:1
	s_waitcnt lgkmcnt(1)
	v_add_u32_e32 v0, v3, v2
	s_waitcnt lgkmcnt(0)
	v_add3_u32 v0, v0, v4, v5
	global_atomic_add_x2 v7, v[0:1], s[38:39] offset:2048
.LBB71_182:
	s_endpgm
	.section	.rodata,"a",@progbits
	.p2align	6, 0x0
	.amdhsa_kernel _ZN7rocprim17ROCPRIM_304000_NS6detail26onesweep_histograms_kernelINS1_34wrapped_radix_sort_onesweep_configINS0_14default_configEsN2at4cuda3cub6detail10OpaqueTypeILi8EEEEELb0EPKsmNS0_19identity_decomposerEEEvT1_PT2_SG_SG_T3_jj
		.amdhsa_group_segment_fixed_size 8192
		.amdhsa_private_segment_fixed_size 0
		.amdhsa_kernarg_size 44
		.amdhsa_user_sgpr_count 2
		.amdhsa_user_sgpr_dispatch_ptr 0
		.amdhsa_user_sgpr_queue_ptr 0
		.amdhsa_user_sgpr_kernarg_segment_ptr 1
		.amdhsa_user_sgpr_dispatch_id 0
		.amdhsa_user_sgpr_kernarg_preload_length 0
		.amdhsa_user_sgpr_kernarg_preload_offset 0
		.amdhsa_user_sgpr_private_segment_size 0
		.amdhsa_uses_dynamic_stack 0
		.amdhsa_enable_private_segment 0
		.amdhsa_system_sgpr_workgroup_id_x 1
		.amdhsa_system_sgpr_workgroup_id_y 0
		.amdhsa_system_sgpr_workgroup_id_z 0
		.amdhsa_system_sgpr_workgroup_info 0
		.amdhsa_system_vgpr_workitem_id 0
		.amdhsa_next_free_vgpr 30
		.amdhsa_next_free_sgpr 56
		.amdhsa_accum_offset 32
		.amdhsa_reserve_vcc 1
		.amdhsa_float_round_mode_32 0
		.amdhsa_float_round_mode_16_64 0
		.amdhsa_float_denorm_mode_32 3
		.amdhsa_float_denorm_mode_16_64 3
		.amdhsa_dx10_clamp 1
		.amdhsa_ieee_mode 1
		.amdhsa_fp16_overflow 0
		.amdhsa_tg_split 0
		.amdhsa_exception_fp_ieee_invalid_op 0
		.amdhsa_exception_fp_denorm_src 0
		.amdhsa_exception_fp_ieee_div_zero 0
		.amdhsa_exception_fp_ieee_overflow 0
		.amdhsa_exception_fp_ieee_underflow 0
		.amdhsa_exception_fp_ieee_inexact 0
		.amdhsa_exception_int_div_zero 0
	.end_amdhsa_kernel
	.section	.text._ZN7rocprim17ROCPRIM_304000_NS6detail26onesweep_histograms_kernelINS1_34wrapped_radix_sort_onesweep_configINS0_14default_configEsN2at4cuda3cub6detail10OpaqueTypeILi8EEEEELb0EPKsmNS0_19identity_decomposerEEEvT1_PT2_SG_SG_T3_jj,"axG",@progbits,_ZN7rocprim17ROCPRIM_304000_NS6detail26onesweep_histograms_kernelINS1_34wrapped_radix_sort_onesweep_configINS0_14default_configEsN2at4cuda3cub6detail10OpaqueTypeILi8EEEEELb0EPKsmNS0_19identity_decomposerEEEvT1_PT2_SG_SG_T3_jj,comdat
.Lfunc_end71:
	.size	_ZN7rocprim17ROCPRIM_304000_NS6detail26onesweep_histograms_kernelINS1_34wrapped_radix_sort_onesweep_configINS0_14default_configEsN2at4cuda3cub6detail10OpaqueTypeILi8EEEEELb0EPKsmNS0_19identity_decomposerEEEvT1_PT2_SG_SG_T3_jj, .Lfunc_end71-_ZN7rocprim17ROCPRIM_304000_NS6detail26onesweep_histograms_kernelINS1_34wrapped_radix_sort_onesweep_configINS0_14default_configEsN2at4cuda3cub6detail10OpaqueTypeILi8EEEEELb0EPKsmNS0_19identity_decomposerEEEvT1_PT2_SG_SG_T3_jj
                                        ; -- End function
	.set _ZN7rocprim17ROCPRIM_304000_NS6detail26onesweep_histograms_kernelINS1_34wrapped_radix_sort_onesweep_configINS0_14default_configEsN2at4cuda3cub6detail10OpaqueTypeILi8EEEEELb0EPKsmNS0_19identity_decomposerEEEvT1_PT2_SG_SG_T3_jj.num_vgpr, 30
	.set _ZN7rocprim17ROCPRIM_304000_NS6detail26onesweep_histograms_kernelINS1_34wrapped_radix_sort_onesweep_configINS0_14default_configEsN2at4cuda3cub6detail10OpaqueTypeILi8EEEEELb0EPKsmNS0_19identity_decomposerEEEvT1_PT2_SG_SG_T3_jj.num_agpr, 0
	.set _ZN7rocprim17ROCPRIM_304000_NS6detail26onesweep_histograms_kernelINS1_34wrapped_radix_sort_onesweep_configINS0_14default_configEsN2at4cuda3cub6detail10OpaqueTypeILi8EEEEELb0EPKsmNS0_19identity_decomposerEEEvT1_PT2_SG_SG_T3_jj.numbered_sgpr, 56
	.set _ZN7rocprim17ROCPRIM_304000_NS6detail26onesweep_histograms_kernelINS1_34wrapped_radix_sort_onesweep_configINS0_14default_configEsN2at4cuda3cub6detail10OpaqueTypeILi8EEEEELb0EPKsmNS0_19identity_decomposerEEEvT1_PT2_SG_SG_T3_jj.num_named_barrier, 0
	.set _ZN7rocprim17ROCPRIM_304000_NS6detail26onesweep_histograms_kernelINS1_34wrapped_radix_sort_onesweep_configINS0_14default_configEsN2at4cuda3cub6detail10OpaqueTypeILi8EEEEELb0EPKsmNS0_19identity_decomposerEEEvT1_PT2_SG_SG_T3_jj.private_seg_size, 0
	.set _ZN7rocprim17ROCPRIM_304000_NS6detail26onesweep_histograms_kernelINS1_34wrapped_radix_sort_onesweep_configINS0_14default_configEsN2at4cuda3cub6detail10OpaqueTypeILi8EEEEELb0EPKsmNS0_19identity_decomposerEEEvT1_PT2_SG_SG_T3_jj.uses_vcc, 1
	.set _ZN7rocprim17ROCPRIM_304000_NS6detail26onesweep_histograms_kernelINS1_34wrapped_radix_sort_onesweep_configINS0_14default_configEsN2at4cuda3cub6detail10OpaqueTypeILi8EEEEELb0EPKsmNS0_19identity_decomposerEEEvT1_PT2_SG_SG_T3_jj.uses_flat_scratch, 0
	.set _ZN7rocprim17ROCPRIM_304000_NS6detail26onesweep_histograms_kernelINS1_34wrapped_radix_sort_onesweep_configINS0_14default_configEsN2at4cuda3cub6detail10OpaqueTypeILi8EEEEELb0EPKsmNS0_19identity_decomposerEEEvT1_PT2_SG_SG_T3_jj.has_dyn_sized_stack, 0
	.set _ZN7rocprim17ROCPRIM_304000_NS6detail26onesweep_histograms_kernelINS1_34wrapped_radix_sort_onesweep_configINS0_14default_configEsN2at4cuda3cub6detail10OpaqueTypeILi8EEEEELb0EPKsmNS0_19identity_decomposerEEEvT1_PT2_SG_SG_T3_jj.has_recursion, 0
	.set _ZN7rocprim17ROCPRIM_304000_NS6detail26onesweep_histograms_kernelINS1_34wrapped_radix_sort_onesweep_configINS0_14default_configEsN2at4cuda3cub6detail10OpaqueTypeILi8EEEEELb0EPKsmNS0_19identity_decomposerEEEvT1_PT2_SG_SG_T3_jj.has_indirect_call, 0
	.section	.AMDGPU.csdata,"",@progbits
; Kernel info:
; codeLenInByte = 6800
; TotalNumSgprs: 62
; NumVgprs: 30
; NumAgprs: 0
; TotalNumVgprs: 30
; ScratchSize: 0
; MemoryBound: 0
; FloatMode: 240
; IeeeMode: 1
; LDSByteSize: 8192 bytes/workgroup (compile time only)
; SGPRBlocks: 7
; VGPRBlocks: 3
; NumSGPRsForWavesPerEU: 62
; NumVGPRsForWavesPerEU: 30
; AccumOffset: 32
; Occupancy: 8
; WaveLimiterHint : 1
; COMPUTE_PGM_RSRC2:SCRATCH_EN: 0
; COMPUTE_PGM_RSRC2:USER_SGPR: 2
; COMPUTE_PGM_RSRC2:TRAP_HANDLER: 0
; COMPUTE_PGM_RSRC2:TGID_X_EN: 1
; COMPUTE_PGM_RSRC2:TGID_Y_EN: 0
; COMPUTE_PGM_RSRC2:TGID_Z_EN: 0
; COMPUTE_PGM_RSRC2:TIDIG_COMP_CNT: 0
; COMPUTE_PGM_RSRC3_GFX90A:ACCUM_OFFSET: 7
; COMPUTE_PGM_RSRC3_GFX90A:TG_SPLIT: 0
	.section	.text._ZN7rocprim17ROCPRIM_304000_NS6detail25onesweep_iteration_kernelINS1_34wrapped_radix_sort_onesweep_configINS0_14default_configEsN2at4cuda3cub6detail10OpaqueTypeILi8EEEEELb0EPKsPsPKSA_PSA_mNS0_19identity_decomposerEEEvT1_T2_T3_T4_jPT5_SO_PNS1_23onesweep_lookback_stateET6_jjj,"axG",@progbits,_ZN7rocprim17ROCPRIM_304000_NS6detail25onesweep_iteration_kernelINS1_34wrapped_radix_sort_onesweep_configINS0_14default_configEsN2at4cuda3cub6detail10OpaqueTypeILi8EEEEELb0EPKsPsPKSA_PSA_mNS0_19identity_decomposerEEEvT1_T2_T3_T4_jPT5_SO_PNS1_23onesweep_lookback_stateET6_jjj,comdat
	.protected	_ZN7rocprim17ROCPRIM_304000_NS6detail25onesweep_iteration_kernelINS1_34wrapped_radix_sort_onesweep_configINS0_14default_configEsN2at4cuda3cub6detail10OpaqueTypeILi8EEEEELb0EPKsPsPKSA_PSA_mNS0_19identity_decomposerEEEvT1_T2_T3_T4_jPT5_SO_PNS1_23onesweep_lookback_stateET6_jjj ; -- Begin function _ZN7rocprim17ROCPRIM_304000_NS6detail25onesweep_iteration_kernelINS1_34wrapped_radix_sort_onesweep_configINS0_14default_configEsN2at4cuda3cub6detail10OpaqueTypeILi8EEEEELb0EPKsPsPKSA_PSA_mNS0_19identity_decomposerEEEvT1_T2_T3_T4_jPT5_SO_PNS1_23onesweep_lookback_stateET6_jjj
	.globl	_ZN7rocprim17ROCPRIM_304000_NS6detail25onesweep_iteration_kernelINS1_34wrapped_radix_sort_onesweep_configINS0_14default_configEsN2at4cuda3cub6detail10OpaqueTypeILi8EEEEELb0EPKsPsPKSA_PSA_mNS0_19identity_decomposerEEEvT1_T2_T3_T4_jPT5_SO_PNS1_23onesweep_lookback_stateET6_jjj
	.p2align	8
	.type	_ZN7rocprim17ROCPRIM_304000_NS6detail25onesweep_iteration_kernelINS1_34wrapped_radix_sort_onesweep_configINS0_14default_configEsN2at4cuda3cub6detail10OpaqueTypeILi8EEEEELb0EPKsPsPKSA_PSA_mNS0_19identity_decomposerEEEvT1_T2_T3_T4_jPT5_SO_PNS1_23onesweep_lookback_stateET6_jjj,@function
_ZN7rocprim17ROCPRIM_304000_NS6detail25onesweep_iteration_kernelINS1_34wrapped_radix_sort_onesweep_configINS0_14default_configEsN2at4cuda3cub6detail10OpaqueTypeILi8EEEEELb0EPKsPsPKSA_PSA_mNS0_19identity_decomposerEEEvT1_T2_T3_T4_jPT5_SO_PNS1_23onesweep_lookback_stateET6_jjj: ; @_ZN7rocprim17ROCPRIM_304000_NS6detail25onesweep_iteration_kernelINS1_34wrapped_radix_sort_onesweep_configINS0_14default_configEsN2at4cuda3cub6detail10OpaqueTypeILi8EEEEELb0EPKsPsPKSA_PSA_mNS0_19identity_decomposerEEEvT1_T2_T3_T4_jPT5_SO_PNS1_23onesweep_lookback_stateET6_jjj
; %bb.0:
	s_load_dwordx8 s[76:83], s[0:1], 0x0
	s_load_dwordx4 s[88:91], s[0:1], 0x44
	s_load_dwordx4 s[84:87], s[0:1], 0x28
	s_load_dwordx2 s[94:95], s[0:1], 0x38
	s_mov_b32 s3, s2
	s_mov_b64 s[4:5], -1
	s_waitcnt lgkmcnt(0)
	s_cmp_ge_u32 s2, s90
	s_mul_i32 s92, s2, 0x1200
	v_mbcnt_lo_u32_b32 v1, -1, 0
	s_cbranch_scc0 .LBB72_218
; %bb.1:
	s_load_dword s6, s[0:1], 0x20
	s_mulk_i32 s90, 0xee00
	s_mov_b32 s93, 0
	s_lshl_b64 s[4:5], s[92:93], 1
	v_mbcnt_hi_u32_b32 v3, -1, v1
	s_waitcnt lgkmcnt(0)
	s_add_i32 s90, s90, s6
	s_add_u32 s4, s76, s4
	v_and_b32_e32 v19, 0xc0, v0
	s_addc_u32 s5, s77, s5
	v_mul_u32_u24_e32 v14, 18, v19
	v_mov_b32_e32 v5, 0
	v_lshlrev_b32_e32 v4, 1, v3
	v_lshl_add_u64 v[6:7], s[4:5], 0, v[4:5]
	v_lshlrev_b32_e32 v4, 1, v14
	v_lshl_add_u64 v[4:5], v[6:7], 0, v[4:5]
	v_or_b32_e32 v6, v3, v14
	v_cmp_gt_u32_e32 vcc, s90, v6
	v_mov_b32_e32 v8, -1
	v_mov_b32_e32 v9, -1
	s_and_saveexec_b64 s[4:5], vcc
	s_cbranch_execz .LBB72_3
; %bb.2:
	global_load_ushort v2, v[4:5], off
	s_waitcnt vmcnt(0)
	v_xor_b32_e32 v9, 0xffff8000, v2
.LBB72_3:
	s_or_b64 exec, exec, s[4:5]
	v_add_u32_e32 v2, 64, v6
	v_cmp_gt_u32_e64 s[74:75], s90, v2
	s_and_saveexec_b64 s[4:5], s[74:75]
	s_cbranch_execz .LBB72_5
; %bb.4:
	global_load_ushort v2, v[4:5], off offset:128
	s_waitcnt vmcnt(0)
	v_xor_b32_e32 v8, 0xffff8000, v2
.LBB72_5:
	s_or_b64 exec, exec, s[4:5]
	v_add_u32_e32 v2, 0x80, v6
	v_cmp_gt_u32_e64 s[4:5], s90, v2
	v_mov_b32_e32 v10, -1
	v_mov_b32_e32 v11, -1
	s_and_saveexec_b64 s[6:7], s[4:5]
	s_cbranch_execz .LBB72_7
; %bb.6:
	global_load_ushort v2, v[4:5], off offset:256
	s_waitcnt vmcnt(0)
	v_xor_b32_e32 v11, 0xffff8000, v2
.LBB72_7:
	s_or_b64 exec, exec, s[6:7]
	v_add_u32_e32 v2, 0xc0, v6
	v_cmp_gt_u32_e64 s[10:11], s90, v2
	s_and_saveexec_b64 s[6:7], s[10:11]
	s_cbranch_execz .LBB72_9
; %bb.8:
	global_load_ushort v2, v[4:5], off offset:384
	s_waitcnt vmcnt(0)
	v_xor_b32_e32 v10, 0xffff8000, v2
.LBB72_9:
	s_or_b64 exec, exec, s[6:7]
	v_add_u32_e32 v2, 0x100, v6
	v_cmp_gt_u32_e64 s[16:17], s90, v2
	v_mov_b32_e32 v12, -1
	v_mov_b32_e32 v13, -1
	s_and_saveexec_b64 s[6:7], s[16:17]
	s_cbranch_execz .LBB72_11
; %bb.10:
	global_load_ushort v2, v[4:5], off offset:512
	s_waitcnt vmcnt(0)
	v_xor_b32_e32 v13, 0xffff8000, v2
.LBB72_11:
	;; [unrolled: 22-line block ×8, first 2 shown]
	s_or_b64 exec, exec, s[6:7]
	v_add_u32_e32 v6, 0x440, v6
	v_and_b32_e32 v2, 0x3ff, v0
	v_cmp_gt_u32_e64 s[6:7], s90, v6
	s_and_saveexec_b64 s[38:39], s[6:7]
	s_cbranch_execz .LBB72_37
; %bb.36:
	global_load_ushort v4, v[4:5], off offset:2176
	s_waitcnt vmcnt(0)
	v_xor_b32_e32 v26, 0xffff8000, v4
.LBB72_37:
	s_or_b64 exec, exec, s[38:39]
	s_load_dword s38, s[0:1], 0x5c
	s_load_dword s33, s[0:1], 0x50
	s_add_u32 s39, s0, 0x50
	s_addc_u32 s40, s1, 0
	v_mov_b32_e32 v5, 0
	s_waitcnt lgkmcnt(0)
	s_lshr_b32 s41, s38, 16
	s_cmp_lt_u32 s2, s33
	s_cselect_b32 s38, 12, 18
	s_add_u32 s38, s39, s38
	s_addc_u32 s39, s40, 0
	global_load_ushort v29, v5, s[38:39]
	v_lshrrev_b32_sdwa v31, s88, v9 dst_sel:DWORD dst_unused:UNUSED_PAD src0_sel:DWORD src1_sel:WORD_0
	s_lshl_b32 s38, -1, s89
	v_bfe_u32 v4, v0, 10, 10
	v_bfe_u32 v7, v0, 20, 10
	v_bitop3_b32 v45, v31, s38, v31 bitop3:0x30
	v_mad_u32_u24 v44, v7, s41, v4
	v_and_b32_e32 v4, 1, v45
	v_lshlrev_b32_e32 v7, 30, v45
	v_mov_b32_e32 v6, v5
	v_mov_b32_e32 v32, v5
	s_not_b32 s96, s38
	v_lshlrev_b32_e32 v31, 29, v45
	v_lshlrev_b32_e32 v33, 28, v45
	v_lshl_add_u64 v[42:43], v[4:5], 0, -1
	v_cmp_ne_u32_e64 s[38:39], 0, v4
	v_not_b32_e32 v4, v7
	v_mov_b32_e32 v30, v5
	v_mov_b32_e32 v34, v5
	v_lshlrev_b32_e32 v35, 27, v45
	v_cmp_gt_i64_e64 s[40:41], 0, v[6:7]
	v_not_b32_e32 v6, v31
	v_cmp_gt_i64_e64 s[44:45], 0, v[32:33]
	v_not_b32_e32 v7, v33
	v_xor_b32_e32 v33, s39, v43
	v_ashrrev_i32_e32 v4, 31, v4
	v_mov_b32_e32 v36, v5
	v_lshlrev_b32_e32 v37, 26, v45
	v_cmp_gt_i64_e64 s[42:43], 0, v[30:31]
	v_cmp_gt_i64_e64 s[46:47], 0, v[34:35]
	v_not_b32_e32 v30, v35
	v_xor_b32_e32 v34, s38, v42
	v_ashrrev_i32_e32 v6, 31, v6
	v_and_b32_e32 v33, exec_hi, v33
	v_xor_b32_e32 v35, s41, v4
	v_cmp_gt_i64_e64 s[48:49], 0, v[36:37]
	v_ashrrev_i32_e32 v7, 31, v7
	v_and_b32_e32 v34, exec_lo, v34
	v_xor_b32_e32 v4, s40, v4
	v_xor_b32_e32 v36, s43, v6
	v_and_b32_e32 v33, v33, v35
	v_mov_b32_e32 v38, v5
	v_lshlrev_b32_e32 v39, 25, v45
	v_not_b32_e32 v31, v37
	v_ashrrev_i32_e32 v30, 31, v30
	v_xor_b32_e32 v6, s42, v6
	v_xor_b32_e32 v37, s45, v7
	v_and_b32_e32 v4, v34, v4
	v_and_b32_e32 v33, v33, v36
	v_cmp_gt_i64_e64 s[50:51], 0, v[38:39]
	v_not_b32_e32 v32, v39
	v_ashrrev_i32_e32 v31, 31, v31
	v_xor_b32_e32 v7, s44, v7
	v_xor_b32_e32 v38, s47, v30
	v_and_b32_e32 v4, v4, v6
	v_and_b32_e32 v6, v33, v37
	v_mov_b32_e32 v40, v5
	v_lshlrev_b32_e32 v41, 24, v45
	v_ashrrev_i32_e32 v32, 31, v32
	v_xor_b32_e32 v30, s46, v30
	v_xor_b32_e32 v39, s49, v31
	v_and_b32_e32 v4, v4, v7
	v_and_b32_e32 v6, v6, v38
	v_cmp_gt_i64_e64 s[52:53], 0, v[40:41]
	v_xor_b32_e32 v31, s48, v31
	v_xor_b32_e32 v40, s51, v32
	v_and_b32_e32 v4, v4, v30
	v_and_b32_e32 v6, v6, v39
	;; [unrolled: 1-line block ×4, first 2 shown]
	v_xor_b32_e32 v32, s50, v32
	v_and_b32_e32 v4, v4, v32
	v_mul_u32_u24_e32 v28, 20, v2
	ds_write2_b32 v28, v5, v5 offset0:4 offset1:5
	ds_write2_b32 v28, v5, v5 offset0:6 offset1:7
	ds_write_b32 v28, v5 offset:32
	s_waitcnt lgkmcnt(0)
	s_barrier
	s_waitcnt vmcnt(0)
	; wave barrier
	v_mad_u64_u32 v[6:7], s[38:39], v44, v29, v[2:3]
	v_lshrrev_b32_e32 v6, 6, v6
	v_lshlrev_b32_e32 v38, 2, v6
	v_not_b32_e32 v6, v41
	v_ashrrev_i32_e32 v6, 31, v6
	v_xor_b32_e32 v7, s53, v6
	v_xor_b32_e32 v6, s52, v6
	v_and_b32_e32 v6, v4, v6
	v_and_b32_e32 v7, v31, v7
	v_mbcnt_lo_u32_b32 v4, v6, 0
	v_mbcnt_hi_u32_b32 v29, v7, v4
	v_cmp_eq_u32_e64 s[38:39], 0, v29
	v_cmp_ne_u64_e64 s[40:41], 0, v[6:7]
	v_mad_u32_u24 v30, v45, 20, v38
	s_and_b64 s[40:41], s[40:41], s[38:39]
	s_and_saveexec_b64 s[38:39], s[40:41]
; %bb.38:
	v_bcnt_u32_b32 v4, v6, 0
	v_bcnt_u32_b32 v4, v7, v4
	ds_write_b32 v30, v4 offset:16
; %bb.39:
	s_or_b64 exec, exec, s[38:39]
	v_lshrrev_b32_sdwa v4, s88, v8 dst_sel:DWORD dst_unused:UNUSED_PAD src0_sel:DWORD src1_sel:WORD_0
	v_and_b32_e32 v33, s96, v4
	v_and_b32_e32 v4, 1, v33
	v_lshl_add_u64 v[6:7], v[4:5], 0, -1
	v_cmp_ne_u32_e64 s[38:39], 0, v4
	v_mad_u32_u24 v32, v33, 20, v38
	s_nop 0
	v_xor_b32_e32 v6, s38, v6
	v_xor_b32_e32 v4, s39, v7
	v_and_b32_e32 v34, exec_lo, v6
	v_lshlrev_b32_e32 v7, 30, v33
	v_mov_b32_e32 v6, v5
	v_cmp_gt_i64_e64 s[38:39], 0, v[6:7]
	v_not_b32_e32 v6, v7
	v_ashrrev_i32_e32 v6, 31, v6
	v_and_b32_e32 v4, exec_hi, v4
	v_xor_b32_e32 v7, s39, v6
	v_xor_b32_e32 v6, s38, v6
	v_and_b32_e32 v4, v4, v7
	v_and_b32_e32 v34, v34, v6
	v_lshlrev_b32_e32 v7, 29, v33
	v_mov_b32_e32 v6, v5
	v_cmp_gt_i64_e64 s[38:39], 0, v[6:7]
	v_not_b32_e32 v6, v7
	v_ashrrev_i32_e32 v6, 31, v6
	v_xor_b32_e32 v7, s39, v6
	v_xor_b32_e32 v6, s38, v6
	v_and_b32_e32 v4, v4, v7
	v_and_b32_e32 v34, v34, v6
	v_lshlrev_b32_e32 v7, 28, v33
	v_mov_b32_e32 v6, v5
	v_cmp_gt_i64_e64 s[38:39], 0, v[6:7]
	v_not_b32_e32 v6, v7
	v_ashrrev_i32_e32 v6, 31, v6
	;; [unrolled: 9-line block ×5, first 2 shown]
	v_xor_b32_e32 v7, s39, v6
	v_xor_b32_e32 v6, s38, v6
	v_and_b32_e32 v4, v4, v7
	v_lshlrev_b32_e32 v7, 24, v33
	v_and_b32_e32 v34, v34, v6
	v_mov_b32_e32 v6, v5
	v_not_b32_e32 v5, v7
	v_cmp_gt_i64_e64 s[38:39], 0, v[6:7]
	v_ashrrev_i32_e32 v5, 31, v5
	; wave barrier
	s_nop 0
	v_xor_b32_e32 v6, s39, v5
	v_xor_b32_e32 v7, s38, v5
	ds_read_b32 v31, v32 offset:16
	v_and_b32_e32 v5, v4, v6
	v_and_b32_e32 v4, v34, v7
	v_mbcnt_lo_u32_b32 v6, v4, 0
	v_mbcnt_hi_u32_b32 v33, v5, v6
	v_cmp_eq_u32_e64 s[38:39], 0, v33
	v_cmp_ne_u64_e64 s[40:41], 0, v[4:5]
	s_and_b64 s[40:41], s[40:41], s[38:39]
	; wave barrier
	s_and_saveexec_b64 s[38:39], s[40:41]
	s_cbranch_execz .LBB72_41
; %bb.40:
	v_bcnt_u32_b32 v4, v4, 0
	v_bcnt_u32_b32 v4, v5, v4
	s_waitcnt lgkmcnt(0)
	v_add_u32_e32 v4, v31, v4
	ds_write_b32 v32, v4 offset:16
.LBB72_41:
	s_or_b64 exec, exec, s[38:39]
	v_lshrrev_b32_sdwa v4, s88, v11 dst_sel:DWORD dst_unused:UNUSED_PAD src0_sel:DWORD src1_sel:WORD_0
	v_and_b32_e32 v36, s96, v4
	v_and_b32_e32 v4, 1, v36
	v_mov_b32_e32 v5, 0
	v_lshl_add_u64 v[6:7], v[4:5], 0, -1
	v_cmp_ne_u32_e64 s[38:39], 0, v4
	v_mad_u32_u24 v35, v36, 20, v38
	s_nop 0
	v_xor_b32_e32 v6, s38, v6
	v_xor_b32_e32 v4, s39, v7
	v_and_b32_e32 v37, exec_lo, v6
	v_lshlrev_b32_e32 v7, 30, v36
	v_mov_b32_e32 v6, v5
	v_cmp_gt_i64_e64 s[38:39], 0, v[6:7]
	v_not_b32_e32 v6, v7
	v_ashrrev_i32_e32 v6, 31, v6
	v_and_b32_e32 v4, exec_hi, v4
	v_xor_b32_e32 v7, s39, v6
	v_xor_b32_e32 v6, s38, v6
	v_and_b32_e32 v4, v4, v7
	v_and_b32_e32 v37, v37, v6
	v_lshlrev_b32_e32 v7, 29, v36
	v_mov_b32_e32 v6, v5
	v_cmp_gt_i64_e64 s[38:39], 0, v[6:7]
	v_not_b32_e32 v6, v7
	v_ashrrev_i32_e32 v6, 31, v6
	v_xor_b32_e32 v7, s39, v6
	v_xor_b32_e32 v6, s38, v6
	v_and_b32_e32 v4, v4, v7
	v_and_b32_e32 v37, v37, v6
	v_lshlrev_b32_e32 v7, 28, v36
	v_mov_b32_e32 v6, v5
	v_cmp_gt_i64_e64 s[38:39], 0, v[6:7]
	v_not_b32_e32 v6, v7
	v_ashrrev_i32_e32 v6, 31, v6
	;; [unrolled: 9-line block ×6, first 2 shown]
	v_xor_b32_e32 v7, s39, v6
	v_xor_b32_e32 v6, s38, v6
	; wave barrier
	ds_read_b32 v34, v35 offset:16
	v_and_b32_e32 v6, v37, v6
	v_and_b32_e32 v7, v4, v7
	v_mbcnt_lo_u32_b32 v4, v6, 0
	v_mbcnt_hi_u32_b32 v36, v7, v4
	v_cmp_eq_u32_e64 s[38:39], 0, v36
	v_cmp_ne_u64_e64 s[40:41], 0, v[6:7]
	s_and_b64 s[40:41], s[40:41], s[38:39]
	; wave barrier
	s_and_saveexec_b64 s[38:39], s[40:41]
	s_cbranch_execz .LBB72_43
; %bb.42:
	v_bcnt_u32_b32 v4, v6, 0
	v_bcnt_u32_b32 v4, v7, v4
	s_waitcnt lgkmcnt(0)
	v_add_u32_e32 v4, v34, v4
	ds_write_b32 v35, v4 offset:16
.LBB72_43:
	s_or_b64 exec, exec, s[38:39]
	v_lshrrev_b32_sdwa v4, s88, v10 dst_sel:DWORD dst_unused:UNUSED_PAD src0_sel:DWORD src1_sel:WORD_0
	v_and_b32_e32 v40, s96, v4
	v_and_b32_e32 v4, 1, v40
	v_lshl_add_u64 v[6:7], v[4:5], 0, -1
	v_cmp_ne_u32_e64 s[38:39], 0, v4
	v_mad_u32_u24 v39, v40, 20, v38
	s_nop 0
	v_xor_b32_e32 v6, s38, v6
	v_xor_b32_e32 v4, s39, v7
	v_and_b32_e32 v41, exec_lo, v6
	v_lshlrev_b32_e32 v7, 30, v40
	v_mov_b32_e32 v6, v5
	v_cmp_gt_i64_e64 s[38:39], 0, v[6:7]
	v_not_b32_e32 v6, v7
	v_ashrrev_i32_e32 v6, 31, v6
	v_and_b32_e32 v4, exec_hi, v4
	v_xor_b32_e32 v7, s39, v6
	v_xor_b32_e32 v6, s38, v6
	v_and_b32_e32 v4, v4, v7
	v_and_b32_e32 v41, v41, v6
	v_lshlrev_b32_e32 v7, 29, v40
	v_mov_b32_e32 v6, v5
	v_cmp_gt_i64_e64 s[38:39], 0, v[6:7]
	v_not_b32_e32 v6, v7
	v_ashrrev_i32_e32 v6, 31, v6
	v_xor_b32_e32 v7, s39, v6
	v_xor_b32_e32 v6, s38, v6
	v_and_b32_e32 v4, v4, v7
	v_and_b32_e32 v41, v41, v6
	v_lshlrev_b32_e32 v7, 28, v40
	v_mov_b32_e32 v6, v5
	v_cmp_gt_i64_e64 s[38:39], 0, v[6:7]
	v_not_b32_e32 v6, v7
	v_ashrrev_i32_e32 v6, 31, v6
	;; [unrolled: 9-line block ×5, first 2 shown]
	v_xor_b32_e32 v7, s39, v6
	v_xor_b32_e32 v6, s38, v6
	v_and_b32_e32 v4, v4, v7
	v_lshlrev_b32_e32 v7, 24, v40
	v_and_b32_e32 v41, v41, v6
	v_mov_b32_e32 v6, v5
	v_not_b32_e32 v5, v7
	v_cmp_gt_i64_e64 s[38:39], 0, v[6:7]
	v_ashrrev_i32_e32 v5, 31, v5
	; wave barrier
	s_nop 0
	v_xor_b32_e32 v6, s39, v5
	v_xor_b32_e32 v7, s38, v5
	ds_read_b32 v37, v39 offset:16
	v_and_b32_e32 v5, v4, v6
	v_and_b32_e32 v4, v41, v7
	v_mbcnt_lo_u32_b32 v6, v4, 0
	v_mbcnt_hi_u32_b32 v40, v5, v6
	v_cmp_eq_u32_e64 s[38:39], 0, v40
	v_cmp_ne_u64_e64 s[40:41], 0, v[4:5]
	s_and_b64 s[40:41], s[40:41], s[38:39]
	; wave barrier
	s_and_saveexec_b64 s[38:39], s[40:41]
	s_cbranch_execz .LBB72_45
; %bb.44:
	v_bcnt_u32_b32 v4, v4, 0
	v_bcnt_u32_b32 v4, v5, v4
	s_waitcnt lgkmcnt(0)
	v_add_u32_e32 v4, v37, v4
	ds_write_b32 v39, v4 offset:16
.LBB72_45:
	s_or_b64 exec, exec, s[38:39]
	v_lshrrev_b32_sdwa v4, s88, v13 dst_sel:DWORD dst_unused:UNUSED_PAD src0_sel:DWORD src1_sel:WORD_0
	v_and_b32_e32 v43, s96, v4
	v_and_b32_e32 v4, 1, v43
	v_mov_b32_e32 v5, 0
	v_lshl_add_u64 v[6:7], v[4:5], 0, -1
	v_cmp_ne_u32_e64 s[38:39], 0, v4
	v_mad_u32_u24 v42, v43, 20, v38
	s_nop 0
	v_xor_b32_e32 v6, s38, v6
	v_xor_b32_e32 v4, s39, v7
	v_and_b32_e32 v44, exec_lo, v6
	v_lshlrev_b32_e32 v7, 30, v43
	v_mov_b32_e32 v6, v5
	v_cmp_gt_i64_e64 s[38:39], 0, v[6:7]
	v_not_b32_e32 v6, v7
	v_ashrrev_i32_e32 v6, 31, v6
	v_and_b32_e32 v4, exec_hi, v4
	v_xor_b32_e32 v7, s39, v6
	v_xor_b32_e32 v6, s38, v6
	v_and_b32_e32 v4, v4, v7
	v_and_b32_e32 v44, v44, v6
	v_lshlrev_b32_e32 v7, 29, v43
	v_mov_b32_e32 v6, v5
	v_cmp_gt_i64_e64 s[38:39], 0, v[6:7]
	v_not_b32_e32 v6, v7
	v_ashrrev_i32_e32 v6, 31, v6
	v_xor_b32_e32 v7, s39, v6
	v_xor_b32_e32 v6, s38, v6
	v_and_b32_e32 v4, v4, v7
	v_and_b32_e32 v44, v44, v6
	v_lshlrev_b32_e32 v7, 28, v43
	v_mov_b32_e32 v6, v5
	v_cmp_gt_i64_e64 s[38:39], 0, v[6:7]
	v_not_b32_e32 v6, v7
	v_ashrrev_i32_e32 v6, 31, v6
	v_xor_b32_e32 v7, s39, v6
	v_xor_b32_e32 v6, s38, v6
	v_and_b32_e32 v4, v4, v7
	v_and_b32_e32 v44, v44, v6
	v_lshlrev_b32_e32 v7, 27, v43
	v_mov_b32_e32 v6, v5
	v_cmp_gt_i64_e64 s[38:39], 0, v[6:7]
	v_not_b32_e32 v6, v7
	v_ashrrev_i32_e32 v6, 31, v6
	v_xor_b32_e32 v7, s39, v6
	v_xor_b32_e32 v6, s38, v6
	v_and_b32_e32 v4, v4, v7
	v_and_b32_e32 v44, v44, v6
	v_lshlrev_b32_e32 v7, 26, v43
	v_mov_b32_e32 v6, v5
	v_cmp_gt_i64_e64 s[38:39], 0, v[6:7]
	v_not_b32_e32 v6, v7
	v_ashrrev_i32_e32 v6, 31, v6
	v_xor_b32_e32 v7, s39, v6
	v_xor_b32_e32 v6, s38, v6
	v_and_b32_e32 v4, v4, v7
	v_and_b32_e32 v44, v44, v6
	v_lshlrev_b32_e32 v7, 25, v43
	v_mov_b32_e32 v6, v5
	v_cmp_gt_i64_e64 s[38:39], 0, v[6:7]
	v_not_b32_e32 v6, v7
	v_ashrrev_i32_e32 v6, 31, v6
	v_xor_b32_e32 v7, s39, v6
	v_xor_b32_e32 v6, s38, v6
	v_and_b32_e32 v4, v4, v7
	v_and_b32_e32 v44, v44, v6
	v_lshlrev_b32_e32 v7, 24, v43
	v_mov_b32_e32 v6, v5
	v_cmp_gt_i64_e64 s[38:39], 0, v[6:7]
	v_not_b32_e32 v6, v7
	v_ashrrev_i32_e32 v6, 31, v6
	v_xor_b32_e32 v7, s39, v6
	v_xor_b32_e32 v6, s38, v6
	; wave barrier
	ds_read_b32 v41, v42 offset:16
	v_and_b32_e32 v6, v44, v6
	v_and_b32_e32 v7, v4, v7
	v_mbcnt_lo_u32_b32 v4, v6, 0
	v_mbcnt_hi_u32_b32 v43, v7, v4
	v_cmp_eq_u32_e64 s[38:39], 0, v43
	v_cmp_ne_u64_e64 s[40:41], 0, v[6:7]
	s_and_b64 s[40:41], s[40:41], s[38:39]
	; wave barrier
	s_and_saveexec_b64 s[38:39], s[40:41]
	s_cbranch_execz .LBB72_47
; %bb.46:
	v_bcnt_u32_b32 v4, v6, 0
	v_bcnt_u32_b32 v4, v7, v4
	s_waitcnt lgkmcnt(0)
	v_add_u32_e32 v4, v41, v4
	ds_write_b32 v42, v4 offset:16
.LBB72_47:
	s_or_b64 exec, exec, s[38:39]
	v_lshrrev_b32_sdwa v4, s88, v12 dst_sel:DWORD dst_unused:UNUSED_PAD src0_sel:DWORD src1_sel:WORD_0
	v_and_b32_e32 v46, s96, v4
	v_and_b32_e32 v4, 1, v46
	v_lshl_add_u64 v[6:7], v[4:5], 0, -1
	v_cmp_ne_u32_e64 s[38:39], 0, v4
	v_mad_u32_u24 v45, v46, 20, v38
	s_nop 0
	v_xor_b32_e32 v6, s38, v6
	v_xor_b32_e32 v4, s39, v7
	v_and_b32_e32 v47, exec_lo, v6
	v_lshlrev_b32_e32 v7, 30, v46
	v_mov_b32_e32 v6, v5
	v_cmp_gt_i64_e64 s[38:39], 0, v[6:7]
	v_not_b32_e32 v6, v7
	v_ashrrev_i32_e32 v6, 31, v6
	v_and_b32_e32 v4, exec_hi, v4
	v_xor_b32_e32 v7, s39, v6
	v_xor_b32_e32 v6, s38, v6
	v_and_b32_e32 v4, v4, v7
	v_and_b32_e32 v47, v47, v6
	v_lshlrev_b32_e32 v7, 29, v46
	v_mov_b32_e32 v6, v5
	v_cmp_gt_i64_e64 s[38:39], 0, v[6:7]
	v_not_b32_e32 v6, v7
	v_ashrrev_i32_e32 v6, 31, v6
	v_xor_b32_e32 v7, s39, v6
	v_xor_b32_e32 v6, s38, v6
	v_and_b32_e32 v4, v4, v7
	v_and_b32_e32 v47, v47, v6
	v_lshlrev_b32_e32 v7, 28, v46
	v_mov_b32_e32 v6, v5
	v_cmp_gt_i64_e64 s[38:39], 0, v[6:7]
	v_not_b32_e32 v6, v7
	v_ashrrev_i32_e32 v6, 31, v6
	;; [unrolled: 9-line block ×5, first 2 shown]
	v_xor_b32_e32 v7, s39, v6
	v_xor_b32_e32 v6, s38, v6
	v_and_b32_e32 v4, v4, v7
	v_lshlrev_b32_e32 v7, 24, v46
	v_and_b32_e32 v47, v47, v6
	v_mov_b32_e32 v6, v5
	v_not_b32_e32 v5, v7
	v_cmp_gt_i64_e64 s[38:39], 0, v[6:7]
	v_ashrrev_i32_e32 v5, 31, v5
	; wave barrier
	s_nop 0
	v_xor_b32_e32 v6, s39, v5
	v_xor_b32_e32 v7, s38, v5
	ds_read_b32 v44, v45 offset:16
	v_and_b32_e32 v5, v4, v6
	v_and_b32_e32 v4, v47, v7
	v_mbcnt_lo_u32_b32 v6, v4, 0
	v_mbcnt_hi_u32_b32 v46, v5, v6
	v_cmp_eq_u32_e64 s[38:39], 0, v46
	v_cmp_ne_u64_e64 s[40:41], 0, v[4:5]
	s_and_b64 s[40:41], s[40:41], s[38:39]
	; wave barrier
	s_and_saveexec_b64 s[38:39], s[40:41]
	s_cbranch_execz .LBB72_49
; %bb.48:
	v_bcnt_u32_b32 v4, v4, 0
	v_bcnt_u32_b32 v4, v5, v4
	s_waitcnt lgkmcnt(0)
	v_add_u32_e32 v4, v44, v4
	ds_write_b32 v45, v4 offset:16
.LBB72_49:
	s_or_b64 exec, exec, s[38:39]
	v_lshrrev_b32_sdwa v4, s88, v16 dst_sel:DWORD dst_unused:UNUSED_PAD src0_sel:DWORD src1_sel:WORD_0
	v_and_b32_e32 v49, s96, v4
	v_and_b32_e32 v4, 1, v49
	v_mov_b32_e32 v5, 0
	v_lshl_add_u64 v[6:7], v[4:5], 0, -1
	v_cmp_ne_u32_e64 s[38:39], 0, v4
	v_mad_u32_u24 v48, v49, 20, v38
	s_nop 0
	v_xor_b32_e32 v6, s38, v6
	v_xor_b32_e32 v4, s39, v7
	v_and_b32_e32 v50, exec_lo, v6
	v_lshlrev_b32_e32 v7, 30, v49
	v_mov_b32_e32 v6, v5
	v_cmp_gt_i64_e64 s[38:39], 0, v[6:7]
	v_not_b32_e32 v6, v7
	v_ashrrev_i32_e32 v6, 31, v6
	v_and_b32_e32 v4, exec_hi, v4
	v_xor_b32_e32 v7, s39, v6
	v_xor_b32_e32 v6, s38, v6
	v_and_b32_e32 v4, v4, v7
	v_and_b32_e32 v50, v50, v6
	v_lshlrev_b32_e32 v7, 29, v49
	v_mov_b32_e32 v6, v5
	v_cmp_gt_i64_e64 s[38:39], 0, v[6:7]
	v_not_b32_e32 v6, v7
	v_ashrrev_i32_e32 v6, 31, v6
	v_xor_b32_e32 v7, s39, v6
	v_xor_b32_e32 v6, s38, v6
	v_and_b32_e32 v4, v4, v7
	v_and_b32_e32 v50, v50, v6
	v_lshlrev_b32_e32 v7, 28, v49
	v_mov_b32_e32 v6, v5
	v_cmp_gt_i64_e64 s[38:39], 0, v[6:7]
	v_not_b32_e32 v6, v7
	v_ashrrev_i32_e32 v6, 31, v6
	;; [unrolled: 9-line block ×6, first 2 shown]
	v_xor_b32_e32 v7, s39, v6
	v_xor_b32_e32 v6, s38, v6
	; wave barrier
	ds_read_b32 v47, v48 offset:16
	v_and_b32_e32 v6, v50, v6
	v_and_b32_e32 v7, v4, v7
	v_mbcnt_lo_u32_b32 v4, v6, 0
	v_mbcnt_hi_u32_b32 v49, v7, v4
	v_cmp_eq_u32_e64 s[38:39], 0, v49
	v_cmp_ne_u64_e64 s[40:41], 0, v[6:7]
	s_and_b64 s[40:41], s[40:41], s[38:39]
	; wave barrier
	s_and_saveexec_b64 s[38:39], s[40:41]
	s_cbranch_execz .LBB72_51
; %bb.50:
	v_bcnt_u32_b32 v4, v6, 0
	v_bcnt_u32_b32 v4, v7, v4
	s_waitcnt lgkmcnt(0)
	v_add_u32_e32 v4, v47, v4
	ds_write_b32 v48, v4 offset:16
.LBB72_51:
	s_or_b64 exec, exec, s[38:39]
	v_lshrrev_b32_sdwa v4, s88, v15 dst_sel:DWORD dst_unused:UNUSED_PAD src0_sel:DWORD src1_sel:WORD_0
	v_and_b32_e32 v52, s96, v4
	v_and_b32_e32 v4, 1, v52
	v_lshl_add_u64 v[6:7], v[4:5], 0, -1
	v_cmp_ne_u32_e64 s[38:39], 0, v4
	v_mad_u32_u24 v51, v52, 20, v38
	s_nop 0
	v_xor_b32_e32 v6, s38, v6
	v_xor_b32_e32 v4, s39, v7
	v_and_b32_e32 v53, exec_lo, v6
	v_lshlrev_b32_e32 v7, 30, v52
	v_mov_b32_e32 v6, v5
	v_cmp_gt_i64_e64 s[38:39], 0, v[6:7]
	v_not_b32_e32 v6, v7
	v_ashrrev_i32_e32 v6, 31, v6
	v_and_b32_e32 v4, exec_hi, v4
	v_xor_b32_e32 v7, s39, v6
	v_xor_b32_e32 v6, s38, v6
	v_and_b32_e32 v4, v4, v7
	v_and_b32_e32 v53, v53, v6
	v_lshlrev_b32_e32 v7, 29, v52
	v_mov_b32_e32 v6, v5
	v_cmp_gt_i64_e64 s[38:39], 0, v[6:7]
	v_not_b32_e32 v6, v7
	v_ashrrev_i32_e32 v6, 31, v6
	v_xor_b32_e32 v7, s39, v6
	v_xor_b32_e32 v6, s38, v6
	v_and_b32_e32 v4, v4, v7
	v_and_b32_e32 v53, v53, v6
	v_lshlrev_b32_e32 v7, 28, v52
	v_mov_b32_e32 v6, v5
	v_cmp_gt_i64_e64 s[38:39], 0, v[6:7]
	v_not_b32_e32 v6, v7
	v_ashrrev_i32_e32 v6, 31, v6
	;; [unrolled: 9-line block ×5, first 2 shown]
	v_xor_b32_e32 v7, s39, v6
	v_xor_b32_e32 v6, s38, v6
	v_and_b32_e32 v4, v4, v7
	v_lshlrev_b32_e32 v7, 24, v52
	v_and_b32_e32 v53, v53, v6
	v_mov_b32_e32 v6, v5
	v_not_b32_e32 v5, v7
	v_cmp_gt_i64_e64 s[38:39], 0, v[6:7]
	v_ashrrev_i32_e32 v5, 31, v5
	; wave barrier
	s_nop 0
	v_xor_b32_e32 v6, s39, v5
	v_xor_b32_e32 v7, s38, v5
	ds_read_b32 v50, v51 offset:16
	v_and_b32_e32 v5, v4, v6
	v_and_b32_e32 v4, v53, v7
	v_mbcnt_lo_u32_b32 v6, v4, 0
	v_mbcnt_hi_u32_b32 v52, v5, v6
	v_cmp_eq_u32_e64 s[38:39], 0, v52
	v_cmp_ne_u64_e64 s[40:41], 0, v[4:5]
	s_and_b64 s[40:41], s[40:41], s[38:39]
	; wave barrier
	s_and_saveexec_b64 s[38:39], s[40:41]
	s_cbranch_execz .LBB72_53
; %bb.52:
	v_bcnt_u32_b32 v4, v4, 0
	v_bcnt_u32_b32 v4, v5, v4
	s_waitcnt lgkmcnt(0)
	v_add_u32_e32 v4, v50, v4
	ds_write_b32 v51, v4 offset:16
.LBB72_53:
	s_or_b64 exec, exec, s[38:39]
	v_lshrrev_b32_sdwa v4, s88, v18 dst_sel:DWORD dst_unused:UNUSED_PAD src0_sel:DWORD src1_sel:WORD_0
	v_and_b32_e32 v55, s96, v4
	v_and_b32_e32 v4, 1, v55
	v_mov_b32_e32 v5, 0
	v_lshl_add_u64 v[6:7], v[4:5], 0, -1
	v_cmp_ne_u32_e64 s[38:39], 0, v4
	v_mad_u32_u24 v54, v55, 20, v38
	s_nop 0
	v_xor_b32_e32 v6, s38, v6
	v_xor_b32_e32 v4, s39, v7
	v_and_b32_e32 v56, exec_lo, v6
	v_lshlrev_b32_e32 v7, 30, v55
	v_mov_b32_e32 v6, v5
	v_cmp_gt_i64_e64 s[38:39], 0, v[6:7]
	v_not_b32_e32 v6, v7
	v_ashrrev_i32_e32 v6, 31, v6
	v_and_b32_e32 v4, exec_hi, v4
	v_xor_b32_e32 v7, s39, v6
	v_xor_b32_e32 v6, s38, v6
	v_and_b32_e32 v4, v4, v7
	v_and_b32_e32 v56, v56, v6
	v_lshlrev_b32_e32 v7, 29, v55
	v_mov_b32_e32 v6, v5
	v_cmp_gt_i64_e64 s[38:39], 0, v[6:7]
	v_not_b32_e32 v6, v7
	v_ashrrev_i32_e32 v6, 31, v6
	v_xor_b32_e32 v7, s39, v6
	v_xor_b32_e32 v6, s38, v6
	v_and_b32_e32 v4, v4, v7
	v_and_b32_e32 v56, v56, v6
	v_lshlrev_b32_e32 v7, 28, v55
	v_mov_b32_e32 v6, v5
	v_cmp_gt_i64_e64 s[38:39], 0, v[6:7]
	v_not_b32_e32 v6, v7
	v_ashrrev_i32_e32 v6, 31, v6
	;; [unrolled: 9-line block ×6, first 2 shown]
	v_xor_b32_e32 v7, s39, v6
	v_xor_b32_e32 v6, s38, v6
	; wave barrier
	ds_read_b32 v53, v54 offset:16
	v_and_b32_e32 v6, v56, v6
	v_and_b32_e32 v7, v4, v7
	v_mbcnt_lo_u32_b32 v4, v6, 0
	v_mbcnt_hi_u32_b32 v55, v7, v4
	v_cmp_eq_u32_e64 s[38:39], 0, v55
	v_cmp_ne_u64_e64 s[40:41], 0, v[6:7]
	s_and_b64 s[40:41], s[40:41], s[38:39]
	; wave barrier
	s_and_saveexec_b64 s[38:39], s[40:41]
	s_cbranch_execz .LBB72_55
; %bb.54:
	v_bcnt_u32_b32 v4, v6, 0
	v_bcnt_u32_b32 v4, v7, v4
	s_waitcnt lgkmcnt(0)
	v_add_u32_e32 v4, v53, v4
	ds_write_b32 v54, v4 offset:16
.LBB72_55:
	s_or_b64 exec, exec, s[38:39]
	v_lshrrev_b32_sdwa v4, s88, v17 dst_sel:DWORD dst_unused:UNUSED_PAD src0_sel:DWORD src1_sel:WORD_0
	v_and_b32_e32 v58, s96, v4
	v_and_b32_e32 v4, 1, v58
	v_lshl_add_u64 v[6:7], v[4:5], 0, -1
	v_cmp_ne_u32_e64 s[38:39], 0, v4
	v_mad_u32_u24 v57, v58, 20, v38
	s_nop 0
	v_xor_b32_e32 v6, s38, v6
	v_xor_b32_e32 v4, s39, v7
	v_and_b32_e32 v59, exec_lo, v6
	v_lshlrev_b32_e32 v7, 30, v58
	v_mov_b32_e32 v6, v5
	v_cmp_gt_i64_e64 s[38:39], 0, v[6:7]
	v_not_b32_e32 v6, v7
	v_ashrrev_i32_e32 v6, 31, v6
	v_and_b32_e32 v4, exec_hi, v4
	v_xor_b32_e32 v7, s39, v6
	v_xor_b32_e32 v6, s38, v6
	v_and_b32_e32 v4, v4, v7
	v_and_b32_e32 v59, v59, v6
	v_lshlrev_b32_e32 v7, 29, v58
	v_mov_b32_e32 v6, v5
	v_cmp_gt_i64_e64 s[38:39], 0, v[6:7]
	v_not_b32_e32 v6, v7
	v_ashrrev_i32_e32 v6, 31, v6
	v_xor_b32_e32 v7, s39, v6
	v_xor_b32_e32 v6, s38, v6
	v_and_b32_e32 v4, v4, v7
	v_and_b32_e32 v59, v59, v6
	v_lshlrev_b32_e32 v7, 28, v58
	v_mov_b32_e32 v6, v5
	v_cmp_gt_i64_e64 s[38:39], 0, v[6:7]
	v_not_b32_e32 v6, v7
	v_ashrrev_i32_e32 v6, 31, v6
	;; [unrolled: 9-line block ×5, first 2 shown]
	v_xor_b32_e32 v7, s39, v6
	v_xor_b32_e32 v6, s38, v6
	v_and_b32_e32 v4, v4, v7
	v_lshlrev_b32_e32 v7, 24, v58
	v_and_b32_e32 v59, v59, v6
	v_mov_b32_e32 v6, v5
	v_not_b32_e32 v5, v7
	v_cmp_gt_i64_e64 s[38:39], 0, v[6:7]
	v_ashrrev_i32_e32 v5, 31, v5
	; wave barrier
	s_nop 0
	v_xor_b32_e32 v6, s39, v5
	v_xor_b32_e32 v7, s38, v5
	ds_read_b32 v56, v57 offset:16
	v_and_b32_e32 v5, v4, v6
	v_and_b32_e32 v4, v59, v7
	v_mbcnt_lo_u32_b32 v6, v4, 0
	v_mbcnt_hi_u32_b32 v58, v5, v6
	v_cmp_eq_u32_e64 s[38:39], 0, v58
	v_cmp_ne_u64_e64 s[40:41], 0, v[4:5]
	s_and_b64 s[40:41], s[40:41], s[38:39]
	; wave barrier
	s_and_saveexec_b64 s[38:39], s[40:41]
	s_cbranch_execz .LBB72_57
; %bb.56:
	v_bcnt_u32_b32 v4, v4, 0
	v_bcnt_u32_b32 v4, v5, v4
	s_waitcnt lgkmcnt(0)
	v_add_u32_e32 v4, v56, v4
	ds_write_b32 v57, v4 offset:16
.LBB72_57:
	s_or_b64 exec, exec, s[38:39]
	v_lshrrev_b32_sdwa v4, s88, v21 dst_sel:DWORD dst_unused:UNUSED_PAD src0_sel:DWORD src1_sel:WORD_0
	v_and_b32_e32 v61, s96, v4
	v_and_b32_e32 v4, 1, v61
	v_mov_b32_e32 v5, 0
	v_lshl_add_u64 v[6:7], v[4:5], 0, -1
	v_cmp_ne_u32_e64 s[38:39], 0, v4
	v_mad_u32_u24 v60, v61, 20, v38
	s_nop 0
	v_xor_b32_e32 v6, s38, v6
	v_xor_b32_e32 v4, s39, v7
	v_and_b32_e32 v62, exec_lo, v6
	v_lshlrev_b32_e32 v7, 30, v61
	v_mov_b32_e32 v6, v5
	v_cmp_gt_i64_e64 s[38:39], 0, v[6:7]
	v_not_b32_e32 v6, v7
	v_ashrrev_i32_e32 v6, 31, v6
	v_and_b32_e32 v4, exec_hi, v4
	v_xor_b32_e32 v7, s39, v6
	v_xor_b32_e32 v6, s38, v6
	v_and_b32_e32 v4, v4, v7
	v_and_b32_e32 v62, v62, v6
	v_lshlrev_b32_e32 v7, 29, v61
	v_mov_b32_e32 v6, v5
	v_cmp_gt_i64_e64 s[38:39], 0, v[6:7]
	v_not_b32_e32 v6, v7
	v_ashrrev_i32_e32 v6, 31, v6
	v_xor_b32_e32 v7, s39, v6
	v_xor_b32_e32 v6, s38, v6
	v_and_b32_e32 v4, v4, v7
	v_and_b32_e32 v62, v62, v6
	v_lshlrev_b32_e32 v7, 28, v61
	v_mov_b32_e32 v6, v5
	v_cmp_gt_i64_e64 s[38:39], 0, v[6:7]
	v_not_b32_e32 v6, v7
	v_ashrrev_i32_e32 v6, 31, v6
	;; [unrolled: 9-line block ×6, first 2 shown]
	v_xor_b32_e32 v7, s39, v6
	v_xor_b32_e32 v6, s38, v6
	; wave barrier
	ds_read_b32 v59, v60 offset:16
	v_and_b32_e32 v6, v62, v6
	v_and_b32_e32 v7, v4, v7
	v_mbcnt_lo_u32_b32 v4, v6, 0
	v_mbcnt_hi_u32_b32 v61, v7, v4
	v_cmp_eq_u32_e64 s[38:39], 0, v61
	v_cmp_ne_u64_e64 s[40:41], 0, v[6:7]
	s_and_b64 s[40:41], s[40:41], s[38:39]
	; wave barrier
	s_and_saveexec_b64 s[38:39], s[40:41]
	s_cbranch_execz .LBB72_59
; %bb.58:
	v_bcnt_u32_b32 v4, v6, 0
	v_bcnt_u32_b32 v4, v7, v4
	s_waitcnt lgkmcnt(0)
	v_add_u32_e32 v4, v59, v4
	ds_write_b32 v60, v4 offset:16
.LBB72_59:
	s_or_b64 exec, exec, s[38:39]
	v_lshrrev_b32_sdwa v4, s88, v20 dst_sel:DWORD dst_unused:UNUSED_PAD src0_sel:DWORD src1_sel:WORD_0
	v_and_b32_e32 v64, s96, v4
	v_and_b32_e32 v4, 1, v64
	v_lshl_add_u64 v[6:7], v[4:5], 0, -1
	v_cmp_ne_u32_e64 s[38:39], 0, v4
	v_mad_u32_u24 v63, v64, 20, v38
	s_nop 0
	v_xor_b32_e32 v6, s38, v6
	v_xor_b32_e32 v4, s39, v7
	v_and_b32_e32 v65, exec_lo, v6
	v_lshlrev_b32_e32 v7, 30, v64
	v_mov_b32_e32 v6, v5
	v_cmp_gt_i64_e64 s[38:39], 0, v[6:7]
	v_not_b32_e32 v6, v7
	v_ashrrev_i32_e32 v6, 31, v6
	v_and_b32_e32 v4, exec_hi, v4
	v_xor_b32_e32 v7, s39, v6
	v_xor_b32_e32 v6, s38, v6
	v_and_b32_e32 v4, v4, v7
	v_and_b32_e32 v65, v65, v6
	v_lshlrev_b32_e32 v7, 29, v64
	v_mov_b32_e32 v6, v5
	v_cmp_gt_i64_e64 s[38:39], 0, v[6:7]
	v_not_b32_e32 v6, v7
	v_ashrrev_i32_e32 v6, 31, v6
	v_xor_b32_e32 v7, s39, v6
	v_xor_b32_e32 v6, s38, v6
	v_and_b32_e32 v4, v4, v7
	v_and_b32_e32 v65, v65, v6
	v_lshlrev_b32_e32 v7, 28, v64
	v_mov_b32_e32 v6, v5
	v_cmp_gt_i64_e64 s[38:39], 0, v[6:7]
	v_not_b32_e32 v6, v7
	v_ashrrev_i32_e32 v6, 31, v6
	;; [unrolled: 9-line block ×5, first 2 shown]
	v_xor_b32_e32 v7, s39, v6
	v_xor_b32_e32 v6, s38, v6
	v_and_b32_e32 v4, v4, v7
	v_lshlrev_b32_e32 v7, 24, v64
	v_and_b32_e32 v65, v65, v6
	v_mov_b32_e32 v6, v5
	v_not_b32_e32 v5, v7
	v_cmp_gt_i64_e64 s[38:39], 0, v[6:7]
	v_ashrrev_i32_e32 v5, 31, v5
	; wave barrier
	s_nop 0
	v_xor_b32_e32 v6, s39, v5
	v_xor_b32_e32 v7, s38, v5
	ds_read_b32 v62, v63 offset:16
	v_and_b32_e32 v5, v4, v6
	v_and_b32_e32 v4, v65, v7
	v_mbcnt_lo_u32_b32 v6, v4, 0
	v_mbcnt_hi_u32_b32 v64, v5, v6
	v_cmp_eq_u32_e64 s[38:39], 0, v64
	v_cmp_ne_u64_e64 s[40:41], 0, v[4:5]
	s_and_b64 s[40:41], s[40:41], s[38:39]
	; wave barrier
	s_and_saveexec_b64 s[38:39], s[40:41]
	s_cbranch_execz .LBB72_61
; %bb.60:
	v_bcnt_u32_b32 v4, v4, 0
	v_bcnt_u32_b32 v4, v5, v4
	s_waitcnt lgkmcnt(0)
	v_add_u32_e32 v4, v62, v4
	ds_write_b32 v63, v4 offset:16
.LBB72_61:
	s_or_b64 exec, exec, s[38:39]
	v_lshrrev_b32_sdwa v4, s88, v23 dst_sel:DWORD dst_unused:UNUSED_PAD src0_sel:DWORD src1_sel:WORD_0
	v_and_b32_e32 v67, s96, v4
	v_and_b32_e32 v4, 1, v67
	v_mov_b32_e32 v5, 0
	v_lshl_add_u64 v[6:7], v[4:5], 0, -1
	v_cmp_ne_u32_e64 s[38:39], 0, v4
	v_mad_u32_u24 v66, v67, 20, v38
	s_nop 0
	v_xor_b32_e32 v6, s38, v6
	v_xor_b32_e32 v4, s39, v7
	v_and_b32_e32 v68, exec_lo, v6
	v_lshlrev_b32_e32 v7, 30, v67
	v_mov_b32_e32 v6, v5
	v_cmp_gt_i64_e64 s[38:39], 0, v[6:7]
	v_not_b32_e32 v6, v7
	v_ashrrev_i32_e32 v6, 31, v6
	v_and_b32_e32 v4, exec_hi, v4
	v_xor_b32_e32 v7, s39, v6
	v_xor_b32_e32 v6, s38, v6
	v_and_b32_e32 v4, v4, v7
	v_and_b32_e32 v68, v68, v6
	v_lshlrev_b32_e32 v7, 29, v67
	v_mov_b32_e32 v6, v5
	v_cmp_gt_i64_e64 s[38:39], 0, v[6:7]
	v_not_b32_e32 v6, v7
	v_ashrrev_i32_e32 v6, 31, v6
	v_xor_b32_e32 v7, s39, v6
	v_xor_b32_e32 v6, s38, v6
	v_and_b32_e32 v4, v4, v7
	v_and_b32_e32 v68, v68, v6
	v_lshlrev_b32_e32 v7, 28, v67
	v_mov_b32_e32 v6, v5
	v_cmp_gt_i64_e64 s[38:39], 0, v[6:7]
	v_not_b32_e32 v6, v7
	v_ashrrev_i32_e32 v6, 31, v6
	;; [unrolled: 9-line block ×6, first 2 shown]
	v_xor_b32_e32 v7, s39, v6
	v_xor_b32_e32 v6, s38, v6
	; wave barrier
	ds_read_b32 v65, v66 offset:16
	v_and_b32_e32 v6, v68, v6
	v_and_b32_e32 v7, v4, v7
	v_mbcnt_lo_u32_b32 v4, v6, 0
	v_mbcnt_hi_u32_b32 v67, v7, v4
	v_cmp_eq_u32_e64 s[38:39], 0, v67
	v_cmp_ne_u64_e64 s[40:41], 0, v[6:7]
	s_and_b64 s[40:41], s[40:41], s[38:39]
	; wave barrier
	s_and_saveexec_b64 s[38:39], s[40:41]
	s_cbranch_execz .LBB72_63
; %bb.62:
	v_bcnt_u32_b32 v4, v6, 0
	v_bcnt_u32_b32 v4, v7, v4
	s_waitcnt lgkmcnt(0)
	v_add_u32_e32 v4, v65, v4
	ds_write_b32 v66, v4 offset:16
.LBB72_63:
	s_or_b64 exec, exec, s[38:39]
	v_lshrrev_b32_sdwa v4, s88, v22 dst_sel:DWORD dst_unused:UNUSED_PAD src0_sel:DWORD src1_sel:WORD_0
	v_and_b32_e32 v70, s96, v4
	v_and_b32_e32 v4, 1, v70
	v_lshl_add_u64 v[6:7], v[4:5], 0, -1
	v_cmp_ne_u32_e64 s[38:39], 0, v4
	v_mad_u32_u24 v69, v70, 20, v38
	s_nop 0
	v_xor_b32_e32 v6, s38, v6
	v_xor_b32_e32 v4, s39, v7
	v_and_b32_e32 v71, exec_lo, v6
	v_lshlrev_b32_e32 v7, 30, v70
	v_mov_b32_e32 v6, v5
	v_cmp_gt_i64_e64 s[38:39], 0, v[6:7]
	v_not_b32_e32 v6, v7
	v_ashrrev_i32_e32 v6, 31, v6
	v_and_b32_e32 v4, exec_hi, v4
	v_xor_b32_e32 v7, s39, v6
	v_xor_b32_e32 v6, s38, v6
	v_and_b32_e32 v4, v4, v7
	v_and_b32_e32 v71, v71, v6
	v_lshlrev_b32_e32 v7, 29, v70
	v_mov_b32_e32 v6, v5
	v_cmp_gt_i64_e64 s[38:39], 0, v[6:7]
	v_not_b32_e32 v6, v7
	v_ashrrev_i32_e32 v6, 31, v6
	v_xor_b32_e32 v7, s39, v6
	v_xor_b32_e32 v6, s38, v6
	v_and_b32_e32 v4, v4, v7
	v_and_b32_e32 v71, v71, v6
	v_lshlrev_b32_e32 v7, 28, v70
	v_mov_b32_e32 v6, v5
	v_cmp_gt_i64_e64 s[38:39], 0, v[6:7]
	v_not_b32_e32 v6, v7
	v_ashrrev_i32_e32 v6, 31, v6
	;; [unrolled: 9-line block ×5, first 2 shown]
	v_xor_b32_e32 v7, s39, v6
	v_xor_b32_e32 v6, s38, v6
	v_and_b32_e32 v4, v4, v7
	v_lshlrev_b32_e32 v7, 24, v70
	v_and_b32_e32 v71, v71, v6
	v_mov_b32_e32 v6, v5
	v_not_b32_e32 v5, v7
	v_cmp_gt_i64_e64 s[38:39], 0, v[6:7]
	v_ashrrev_i32_e32 v5, 31, v5
	; wave barrier
	s_nop 0
	v_xor_b32_e32 v6, s39, v5
	v_xor_b32_e32 v7, s38, v5
	ds_read_b32 v68, v69 offset:16
	v_and_b32_e32 v5, v4, v6
	v_and_b32_e32 v4, v71, v7
	v_mbcnt_lo_u32_b32 v6, v4, 0
	v_mbcnt_hi_u32_b32 v70, v5, v6
	v_cmp_eq_u32_e64 s[38:39], 0, v70
	v_cmp_ne_u64_e64 s[40:41], 0, v[4:5]
	s_and_b64 s[40:41], s[40:41], s[38:39]
	; wave barrier
	s_and_saveexec_b64 s[38:39], s[40:41]
	s_cbranch_execz .LBB72_65
; %bb.64:
	v_bcnt_u32_b32 v4, v4, 0
	v_bcnt_u32_b32 v4, v5, v4
	s_waitcnt lgkmcnt(0)
	v_add_u32_e32 v4, v68, v4
	ds_write_b32 v69, v4 offset:16
.LBB72_65:
	s_or_b64 exec, exec, s[38:39]
	v_lshrrev_b32_sdwa v4, s88, v25 dst_sel:DWORD dst_unused:UNUSED_PAD src0_sel:DWORD src1_sel:WORD_0
	v_and_b32_e32 v73, s96, v4
	v_and_b32_e32 v4, 1, v73
	v_mov_b32_e32 v5, 0
	v_lshl_add_u64 v[6:7], v[4:5], 0, -1
	v_cmp_ne_u32_e64 s[38:39], 0, v4
	v_mad_u32_u24 v72, v73, 20, v38
	s_nop 0
	v_xor_b32_e32 v6, s38, v6
	v_xor_b32_e32 v4, s39, v7
	v_and_b32_e32 v74, exec_lo, v6
	v_lshlrev_b32_e32 v7, 30, v73
	v_mov_b32_e32 v6, v5
	v_cmp_gt_i64_e64 s[38:39], 0, v[6:7]
	v_not_b32_e32 v6, v7
	v_ashrrev_i32_e32 v6, 31, v6
	v_and_b32_e32 v4, exec_hi, v4
	v_xor_b32_e32 v7, s39, v6
	v_xor_b32_e32 v6, s38, v6
	v_and_b32_e32 v4, v4, v7
	v_and_b32_e32 v74, v74, v6
	v_lshlrev_b32_e32 v7, 29, v73
	v_mov_b32_e32 v6, v5
	v_cmp_gt_i64_e64 s[38:39], 0, v[6:7]
	v_not_b32_e32 v6, v7
	v_ashrrev_i32_e32 v6, 31, v6
	v_xor_b32_e32 v7, s39, v6
	v_xor_b32_e32 v6, s38, v6
	v_and_b32_e32 v4, v4, v7
	v_and_b32_e32 v74, v74, v6
	v_lshlrev_b32_e32 v7, 28, v73
	v_mov_b32_e32 v6, v5
	v_cmp_gt_i64_e64 s[38:39], 0, v[6:7]
	v_not_b32_e32 v6, v7
	v_ashrrev_i32_e32 v6, 31, v6
	;; [unrolled: 9-line block ×6, first 2 shown]
	v_xor_b32_e32 v7, s39, v6
	v_xor_b32_e32 v6, s38, v6
	; wave barrier
	ds_read_b32 v71, v72 offset:16
	v_and_b32_e32 v6, v74, v6
	v_and_b32_e32 v7, v4, v7
	v_mbcnt_lo_u32_b32 v4, v6, 0
	v_mbcnt_hi_u32_b32 v73, v7, v4
	v_cmp_eq_u32_e64 s[38:39], 0, v73
	v_cmp_ne_u64_e64 s[40:41], 0, v[6:7]
	s_and_b64 s[40:41], s[40:41], s[38:39]
	; wave barrier
	s_and_saveexec_b64 s[38:39], s[40:41]
	s_cbranch_execz .LBB72_67
; %bb.66:
	v_bcnt_u32_b32 v4, v6, 0
	v_bcnt_u32_b32 v4, v7, v4
	s_waitcnt lgkmcnt(0)
	v_add_u32_e32 v4, v71, v4
	ds_write_b32 v72, v4 offset:16
.LBB72_67:
	s_or_b64 exec, exec, s[38:39]
	v_lshrrev_b32_sdwa v4, s88, v24 dst_sel:DWORD dst_unused:UNUSED_PAD src0_sel:DWORD src1_sel:WORD_0
	v_and_b32_e32 v76, s96, v4
	v_and_b32_e32 v4, 1, v76
	v_lshl_add_u64 v[6:7], v[4:5], 0, -1
	v_cmp_ne_u32_e64 s[38:39], 0, v4
	v_mad_u32_u24 v75, v76, 20, v38
	s_nop 0
	v_xor_b32_e32 v6, s38, v6
	v_xor_b32_e32 v4, s39, v7
	v_and_b32_e32 v77, exec_lo, v6
	v_lshlrev_b32_e32 v7, 30, v76
	v_mov_b32_e32 v6, v5
	v_cmp_gt_i64_e64 s[38:39], 0, v[6:7]
	v_not_b32_e32 v6, v7
	v_ashrrev_i32_e32 v6, 31, v6
	v_and_b32_e32 v4, exec_hi, v4
	v_xor_b32_e32 v7, s39, v6
	v_xor_b32_e32 v6, s38, v6
	v_and_b32_e32 v4, v4, v7
	v_and_b32_e32 v77, v77, v6
	v_lshlrev_b32_e32 v7, 29, v76
	v_mov_b32_e32 v6, v5
	v_cmp_gt_i64_e64 s[38:39], 0, v[6:7]
	v_not_b32_e32 v6, v7
	v_ashrrev_i32_e32 v6, 31, v6
	v_xor_b32_e32 v7, s39, v6
	v_xor_b32_e32 v6, s38, v6
	v_and_b32_e32 v4, v4, v7
	v_and_b32_e32 v77, v77, v6
	v_lshlrev_b32_e32 v7, 28, v76
	v_mov_b32_e32 v6, v5
	v_cmp_gt_i64_e64 s[38:39], 0, v[6:7]
	v_not_b32_e32 v6, v7
	v_ashrrev_i32_e32 v6, 31, v6
	;; [unrolled: 9-line block ×5, first 2 shown]
	v_xor_b32_e32 v7, s39, v6
	v_xor_b32_e32 v6, s38, v6
	v_and_b32_e32 v4, v4, v7
	v_lshlrev_b32_e32 v7, 24, v76
	v_and_b32_e32 v77, v77, v6
	v_mov_b32_e32 v6, v5
	v_not_b32_e32 v5, v7
	v_cmp_gt_i64_e64 s[38:39], 0, v[6:7]
	v_ashrrev_i32_e32 v5, 31, v5
	; wave barrier
	s_nop 0
	v_xor_b32_e32 v6, s39, v5
	v_xor_b32_e32 v7, s38, v5
	ds_read_b32 v74, v75 offset:16
	v_and_b32_e32 v5, v4, v6
	v_and_b32_e32 v4, v77, v7
	v_mbcnt_lo_u32_b32 v6, v4, 0
	v_mbcnt_hi_u32_b32 v76, v5, v6
	v_cmp_eq_u32_e64 s[38:39], 0, v76
	v_cmp_ne_u64_e64 s[40:41], 0, v[4:5]
	s_and_b64 s[40:41], s[40:41], s[38:39]
	; wave barrier
	s_and_saveexec_b64 s[38:39], s[40:41]
	s_cbranch_execz .LBB72_69
; %bb.68:
	v_bcnt_u32_b32 v4, v4, 0
	v_bcnt_u32_b32 v4, v5, v4
	s_waitcnt lgkmcnt(0)
	v_add_u32_e32 v4, v74, v4
	ds_write_b32 v75, v4 offset:16
.LBB72_69:
	s_or_b64 exec, exec, s[38:39]
	v_lshrrev_b32_sdwa v4, s88, v27 dst_sel:DWORD dst_unused:UNUSED_PAD src0_sel:DWORD src1_sel:WORD_0
	v_and_b32_e32 v79, s96, v4
	v_and_b32_e32 v4, 1, v79
	v_mov_b32_e32 v5, 0
	v_lshl_add_u64 v[6:7], v[4:5], 0, -1
	v_cmp_ne_u32_e64 s[38:39], 0, v4
	v_mad_u32_u24 v78, v79, 20, v38
	s_nop 0
	v_xor_b32_e32 v6, s38, v6
	v_xor_b32_e32 v4, s39, v7
	v_and_b32_e32 v80, exec_lo, v6
	v_lshlrev_b32_e32 v7, 30, v79
	v_mov_b32_e32 v6, v5
	v_cmp_gt_i64_e64 s[38:39], 0, v[6:7]
	v_not_b32_e32 v6, v7
	v_ashrrev_i32_e32 v6, 31, v6
	v_and_b32_e32 v4, exec_hi, v4
	v_xor_b32_e32 v7, s39, v6
	v_xor_b32_e32 v6, s38, v6
	v_and_b32_e32 v4, v4, v7
	v_and_b32_e32 v80, v80, v6
	v_lshlrev_b32_e32 v7, 29, v79
	v_mov_b32_e32 v6, v5
	v_cmp_gt_i64_e64 s[38:39], 0, v[6:7]
	v_not_b32_e32 v6, v7
	v_ashrrev_i32_e32 v6, 31, v6
	v_xor_b32_e32 v7, s39, v6
	v_xor_b32_e32 v6, s38, v6
	v_and_b32_e32 v4, v4, v7
	v_and_b32_e32 v80, v80, v6
	v_lshlrev_b32_e32 v7, 28, v79
	v_mov_b32_e32 v6, v5
	v_cmp_gt_i64_e64 s[38:39], 0, v[6:7]
	v_not_b32_e32 v6, v7
	v_ashrrev_i32_e32 v6, 31, v6
	;; [unrolled: 9-line block ×6, first 2 shown]
	v_xor_b32_e32 v7, s39, v6
	v_xor_b32_e32 v6, s38, v6
	; wave barrier
	ds_read_b32 v77, v78 offset:16
	v_and_b32_e32 v6, v80, v6
	v_and_b32_e32 v7, v4, v7
	v_mbcnt_lo_u32_b32 v4, v6, 0
	v_mbcnt_hi_u32_b32 v79, v7, v4
	v_cmp_eq_u32_e64 s[38:39], 0, v79
	v_cmp_ne_u64_e64 s[40:41], 0, v[6:7]
	s_and_b64 s[40:41], s[40:41], s[38:39]
	; wave barrier
	s_and_saveexec_b64 s[38:39], s[40:41]
	s_cbranch_execz .LBB72_71
; %bb.70:
	v_bcnt_u32_b32 v4, v6, 0
	v_bcnt_u32_b32 v4, v7, v4
	s_waitcnt lgkmcnt(0)
	v_add_u32_e32 v4, v77, v4
	ds_write_b32 v78, v4 offset:16
.LBB72_71:
	s_or_b64 exec, exec, s[38:39]
	v_lshrrev_b32_sdwa v4, s88, v26 dst_sel:DWORD dst_unused:UNUSED_PAD src0_sel:DWORD src1_sel:WORD_0
	v_and_b32_e32 v81, s96, v4
	v_and_b32_e32 v4, 1, v81
	v_lshl_add_u64 v[6:7], v[4:5], 0, -1
	v_cmp_ne_u32_e64 s[38:39], 0, v4
	v_mad_u32_u24 v38, v81, 20, v38
	s_nop 0
	v_xor_b32_e32 v6, s38, v6
	v_xor_b32_e32 v4, s39, v7
	v_and_b32_e32 v82, exec_lo, v6
	v_lshlrev_b32_e32 v7, 30, v81
	v_mov_b32_e32 v6, v5
	v_cmp_gt_i64_e64 s[38:39], 0, v[6:7]
	v_not_b32_e32 v6, v7
	v_ashrrev_i32_e32 v6, 31, v6
	v_and_b32_e32 v4, exec_hi, v4
	v_xor_b32_e32 v7, s39, v6
	v_xor_b32_e32 v6, s38, v6
	v_and_b32_e32 v4, v4, v7
	v_and_b32_e32 v82, v82, v6
	v_lshlrev_b32_e32 v7, 29, v81
	v_mov_b32_e32 v6, v5
	v_cmp_gt_i64_e64 s[38:39], 0, v[6:7]
	v_not_b32_e32 v6, v7
	v_ashrrev_i32_e32 v6, 31, v6
	v_xor_b32_e32 v7, s39, v6
	v_xor_b32_e32 v6, s38, v6
	v_and_b32_e32 v4, v4, v7
	v_and_b32_e32 v82, v82, v6
	v_lshlrev_b32_e32 v7, 28, v81
	v_mov_b32_e32 v6, v5
	v_cmp_gt_i64_e64 s[38:39], 0, v[6:7]
	v_not_b32_e32 v6, v7
	v_ashrrev_i32_e32 v6, 31, v6
	;; [unrolled: 9-line block ×5, first 2 shown]
	v_xor_b32_e32 v7, s39, v6
	v_xor_b32_e32 v6, s38, v6
	v_and_b32_e32 v4, v4, v7
	v_lshlrev_b32_e32 v7, 24, v81
	v_and_b32_e32 v82, v82, v6
	v_mov_b32_e32 v6, v5
	v_not_b32_e32 v5, v7
	v_cmp_gt_i64_e64 s[38:39], 0, v[6:7]
	v_ashrrev_i32_e32 v5, 31, v5
	; wave barrier
	s_nop 0
	v_xor_b32_e32 v6, s39, v5
	v_xor_b32_e32 v7, s38, v5
	ds_read_b32 v80, v38 offset:16
	v_and_b32_e32 v5, v4, v6
	v_and_b32_e32 v4, v82, v7
	v_mbcnt_lo_u32_b32 v6, v4, 0
	v_mbcnt_hi_u32_b32 v81, v5, v6
	v_cmp_eq_u32_e64 s[38:39], 0, v81
	v_cmp_ne_u64_e64 s[40:41], 0, v[4:5]
	s_and_b64 s[40:41], s[40:41], s[38:39]
	; wave barrier
	s_and_saveexec_b64 s[38:39], s[40:41]
	s_cbranch_execz .LBB72_73
; %bb.72:
	v_bcnt_u32_b32 v4, v4, 0
	v_bcnt_u32_b32 v4, v5, v4
	s_waitcnt lgkmcnt(0)
	v_add_u32_e32 v4, v80, v4
	ds_write_b32 v38, v4 offset:16
.LBB72_73:
	s_or_b64 exec, exec, s[38:39]
	; wave barrier
	s_waitcnt lgkmcnt(0)
	s_barrier
	ds_read2_b32 v[6:7], v28 offset0:4 offset1:5
	ds_read2_b32 v[4:5], v28 offset0:6 offset1:7
	ds_read_b32 v82, v28 offset:32
	v_min_u32_e32 v19, 0xc0, v19
	v_or_b32_e32 v19, 63, v19
	s_waitcnt lgkmcnt(1)
	v_add3_u32 v83, v7, v6, v4
	s_waitcnt lgkmcnt(0)
	v_add3_u32 v82, v83, v5, v82
	v_and_b32_e32 v83, 15, v3
	v_cmp_ne_u32_e64 s[38:39], 0, v83
	v_mov_b32_dpp v84, v82 row_shr:1 row_mask:0xf bank_mask:0xf
	s_nop 0
	v_cndmask_b32_e64 v84, 0, v84, s[38:39]
	v_add_u32_e32 v82, v84, v82
	v_cmp_lt_u32_e64 s[38:39], 1, v83
	s_nop 0
	v_mov_b32_dpp v84, v82 row_shr:2 row_mask:0xf bank_mask:0xf
	v_cndmask_b32_e64 v84, 0, v84, s[38:39]
	v_add_u32_e32 v82, v82, v84
	v_cmp_lt_u32_e64 s[38:39], 3, v83
	s_nop 0
	v_mov_b32_dpp v84, v82 row_shr:4 row_mask:0xf bank_mask:0xf
	;; [unrolled: 5-line block ×3, first 2 shown]
	v_cndmask_b32_e64 v83, 0, v84, s[38:39]
	v_add_u32_e32 v82, v82, v83
	v_bfe_i32 v84, v3, 4, 1
	v_cmp_lt_u32_e64 s[38:39], 31, v3
	v_mov_b32_dpp v83, v82 row_bcast:15 row_mask:0xf bank_mask:0xf
	v_and_b32_e32 v83, v84, v83
	v_add_u32_e32 v82, v82, v83
	s_nop 1
	v_mov_b32_dpp v83, v82 row_bcast:31 row_mask:0xf bank_mask:0xf
	v_cndmask_b32_e64 v83, 0, v83, s[38:39]
	v_add_u32_e32 v82, v82, v83
	v_lshrrev_b32_e32 v83, 6, v2
	v_cmp_eq_u32_e64 s[38:39], v2, v19
	s_and_saveexec_b64 s[40:41], s[38:39]
; %bb.74:
	v_lshlrev_b32_e32 v19, 2, v83
	ds_write_b32 v19, v82
; %bb.75:
	s_or_b64 exec, exec, s[40:41]
	v_cmp_gt_u32_e64 s[38:39], 4, v2
	s_waitcnt lgkmcnt(0)
	s_barrier
	s_and_saveexec_b64 s[40:41], s[38:39]
	s_cbranch_execz .LBB72_77
; %bb.76:
	v_lshlrev_b32_e32 v19, 2, v2
	ds_read_b32 v84, v19
	v_and_b32_e32 v85, 3, v3
	v_cmp_ne_u32_e64 s[38:39], 0, v85
	s_waitcnt lgkmcnt(0)
	v_mov_b32_dpp v86, v84 row_shr:1 row_mask:0xf bank_mask:0xf
	v_cndmask_b32_e64 v86, 0, v86, s[38:39]
	v_add_u32_e32 v84, v86, v84
	v_cmp_lt_u32_e64 s[38:39], 1, v85
	s_nop 0
	v_mov_b32_dpp v86, v84 row_shr:2 row_mask:0xf bank_mask:0xf
	v_cndmask_b32_e64 v85, 0, v86, s[38:39]
	v_add_u32_e32 v84, v84, v85
	ds_write_b32 v19, v84
.LBB72_77:
	s_or_b64 exec, exec, s[40:41]
	v_cmp_lt_u32_e64 s[38:39], 63, v2
	v_mov_b32_e32 v19, 0
	s_waitcnt lgkmcnt(0)
	s_barrier
	s_and_saveexec_b64 s[40:41], s[38:39]
; %bb.78:
	v_lshl_add_u32 v19, v83, 2, -4
	ds_read_b32 v19, v19
; %bb.79:
	s_or_b64 exec, exec, s[40:41]
	v_add_u32_e32 v83, -1, v3
	v_and_b32_e32 v84, 64, v3
	v_cmp_lt_i32_e64 s[38:39], v83, v84
	s_waitcnt lgkmcnt(0)
	v_add_u32_e32 v82, v19, v82
	v_cndmask_b32_e64 v83, v83, v3, s[38:39]
	v_lshlrev_b32_e32 v83, 2, v83
	ds_bpermute_b32 v82, v83, v82
	v_cmp_eq_u32_e64 s[38:39], 0, v3
	s_waitcnt lgkmcnt(0)
	s_nop 0
	v_cndmask_b32_e64 v19, v82, v19, s[38:39]
	v_cmp_ne_u32_e64 s[38:39], 0, v2
	s_nop 1
	v_cndmask_b32_e64 v19, 0, v19, s[38:39]
	v_add_u32_e32 v6, v19, v6
	v_add_u32_e32 v7, v6, v7
	;; [unrolled: 1-line block ×4, first 2 shown]
	ds_write2_b32 v28, v19, v6 offset0:4 offset1:5
	ds_write2_b32 v28, v7, v4 offset0:6 offset1:7
	ds_write_b32 v28, v5 offset:32
	s_waitcnt lgkmcnt(0)
	s_barrier
	ds_read_b32 v6, v51 offset:16
	ds_read_b32 v7, v54 offset:16
	ds_read_b32 v19, v57 offset:16
	ds_read_b32 v51, v60 offset:16
	ds_read_b32 v54, v63 offset:16
	ds_read_b32 v57, v66 offset:16
	ds_read_b32 v60, v69 offset:16
	ds_read_b32 v63, v72 offset:16
	ds_read_b32 v66, v75 offset:16
	ds_read_b32 v69, v78 offset:16
	ds_read_b32 v72, v38 offset:16
	ds_read_b32 v30, v30 offset:16
	ds_read_b32 v32, v32 offset:16
	ds_read_b32 v35, v35 offset:16
	ds_read_b32 v38, v39 offset:16
	ds_read_b32 v39, v42 offset:16
	ds_read_b32 v75, v45 offset:16
	ds_read_b32 v78, v48 offset:16
	ds_read_b32 v4, v28 offset:16
	v_add_u32_e32 v28, 1, v2
	s_movk_i32 s38, 0x100
	v_cmp_ne_u32_e64 s[38:39], s38, v28
	v_mov_b32_e32 v5, 0x1200
	s_and_saveexec_b64 s[40:41], s[38:39]
; %bb.80:
	v_mul_u32_u24_e32 v5, 20, v28
	ds_read_b32 v5, v5 offset:16
; %bb.81:
	s_or_b64 exec, exec, s[40:41]
	s_waitcnt lgkmcnt(7)
	v_add_u32_e32 v48, v30, v29
	s_waitcnt lgkmcnt(6)
	v_add3_u32 v45, v33, v31, v32
	s_waitcnt lgkmcnt(5)
	v_add3_u32 v42, v36, v34, v35
	v_add3_u32 v36, v52, v50, v6
	v_lshlrev_b32_e32 v6, 1, v48
	s_waitcnt lgkmcnt(0)
	s_barrier
	ds_write_b16 v6, v9 offset:2048
	v_lshlrev_b32_e32 v6, 1, v45
	v_add3_u32 v40, v40, v37, v38
	ds_write_b16 v6, v8 offset:2048
	v_lshlrev_b32_e32 v6, 1, v42
	v_add3_u32 v39, v43, v41, v39
	;; [unrolled: 3-line block ×4, first 2 shown]
	ds_write_b16 v6, v13 offset:2048
	v_lshlrev_b32_e32 v6, 1, v38
	ds_write_b16 v6, v12 offset:2048
	v_lshlrev_b32_e32 v6, 1, v37
	v_add3_u32 v35, v55, v53, v7
	ds_write_b16 v6, v16 offset:2048
	v_lshlrev_b32_e32 v6, 1, v36
	v_add3_u32 v34, v58, v56, v19
	;; [unrolled: 3-line block ×10, first 2 shown]
	ds_write_b16 v6, v24 offset:2048
	v_lshlrev_b32_e32 v6, 1, v19
	ds_write_b16 v6, v27 offset:2048
	v_lshlrev_b32_e32 v6, 1, v7
	ds_write_b16 v6, v26 offset:2048
	v_sub_u32_e32 v6, v5, v4
	v_lshl_add_u32 v8, s2, 8, v2
	v_mov_b32_e32 v9, 0
	v_lshl_add_u64 v[10:11], v[8:9], 2, s[94:95]
	v_or_b32_e32 v5, 2.0, v6
	s_mov_b64 s[40:41], 0
	s_brev_b32 s46, -4
	s_mov_b32 s47, s3
	v_mov_b32_e32 v15, 0
	s_waitcnt lgkmcnt(0)
	s_barrier
	global_store_dword v[10:11], v5, off sc1
                                        ; implicit-def: $sgpr38_sgpr39
	s_branch .LBB72_84
.LBB72_82:                              ;   in Loop: Header=BB72_84 Depth=1
	s_or_b64 exec, exec, s[44:45]
.LBB72_83:                              ;   in Loop: Header=BB72_84 Depth=1
	s_or_b64 exec, exec, s[42:43]
	v_and_b32_e32 v8, 0x3fffffff, v5
	v_add_u32_e32 v15, v8, v15
	v_cmp_gt_i32_e64 s[38:39], -2.0, v5
	s_and_b64 s[42:43], exec, s[38:39]
	s_or_b64 s[40:41], s[42:43], s[40:41]
	s_andn2_b64 exec, exec, s[40:41]
	s_cbranch_execz .LBB72_89
.LBB72_84:                              ; =>This Loop Header: Depth=1
                                        ;     Child Loop BB72_87 Depth 2
	s_or_b64 s[38:39], s[38:39], exec
	s_cmp_eq_u32 s47, 0
	s_cbranch_scc1 .LBB72_88
; %bb.85:                               ;   in Loop: Header=BB72_84 Depth=1
	s_add_i32 s47, s47, -1
	v_lshl_add_u32 v8, s47, 8, v2
	v_lshl_add_u64 v[12:13], v[8:9], 2, s[94:95]
	global_load_dword v5, v[12:13], off sc1
	s_waitcnt vmcnt(0)
	v_cmp_gt_u32_e64 s[38:39], 2.0, v5
	s_and_saveexec_b64 s[42:43], s[38:39]
	s_cbranch_execz .LBB72_83
; %bb.86:                               ;   in Loop: Header=BB72_84 Depth=1
	s_mov_b64 s[44:45], 0
.LBB72_87:                              ;   Parent Loop BB72_84 Depth=1
                                        ; =>  This Inner Loop Header: Depth=2
	global_load_dword v5, v[12:13], off sc1
	s_waitcnt vmcnt(0)
	v_cmp_lt_u32_e64 s[38:39], s46, v5
	s_or_b64 s[44:45], s[38:39], s[44:45]
	s_andn2_b64 exec, exec, s[44:45]
	s_cbranch_execnz .LBB72_87
	s_branch .LBB72_82
.LBB72_88:                              ;   in Loop: Header=BB72_84 Depth=1
                                        ; implicit-def: $sgpr47
	s_and_b64 s[42:43], exec, s[38:39]
	s_or_b64 s[40:41], s[42:43], s[40:41]
	s_andn2_b64 exec, exec, s[40:41]
	s_cbranch_execnz .LBB72_84
.LBB72_89:
	s_or_b64 exec, exec, s[40:41]
	v_add_u32_e32 v5, v15, v6
	v_or_b32_e32 v5, 0x80000000, v5
	v_lshlrev_b32_e32 v8, 3, v2
	global_store_dword v[10:11], v5, off sc1
	global_load_dwordx2 v[10:11], v8, s[84:85]
	v_sub_co_u32_e64 v12, s[38:39], v15, v4
	v_mov_b32_e32 v5, 0
	s_nop 0
	v_subb_co_u32_e64 v13, s[38:39], 0, 0, s[38:39]
	v_cmp_gt_u32_e64 s[38:39], s90, v2
	s_waitcnt vmcnt(0)
	v_lshl_add_u64 v[10:11], v[12:13], 0, v[10:11]
	ds_write_b64 v8, v[10:11]
	s_waitcnt lgkmcnt(0)
	s_barrier
	s_and_saveexec_b64 s[40:41], s[38:39]
	s_cbranch_execz .LBB72_91
; %bb.90:
	v_mad_i32_i24 v9, v2, -6, v8
	ds_read_u16 v9, v9 offset:2048
	v_lshlrev_b32_e32 v12, 1, v2
	v_mov_b32_e32 v13, v5
	s_waitcnt lgkmcnt(0)
	v_lshrrev_b32_sdwa v10, s88, v9 dst_sel:DWORD dst_unused:UNUSED_PAD src0_sel:DWORD src1_sel:WORD_0
	v_and_b32_e32 v10, s96, v10
	v_lshlrev_b32_e32 v10, 3, v10
	ds_read_b64 v[10:11], v10
	v_xor_b32_e32 v9, 0xffff8000, v9
	s_waitcnt lgkmcnt(0)
	v_lshl_add_u64 v[10:11], v[10:11], 1, s[78:79]
	v_lshl_add_u64 v[10:11], v[10:11], 0, v[12:13]
	global_store_short v[10:11], v9, off
.LBB72_91:
	s_or_b64 exec, exec, s[40:41]
	v_add_u32_e32 v9, 0x100, v2
	v_cmp_gt_u32_e64 s[40:41], s90, v9
	s_and_saveexec_b64 s[42:43], s[40:41]
	s_cbranch_execz .LBB72_93
; %bb.92:
	v_mad_i32_i24 v9, v2, -6, v8
	ds_read_u16 v9, v9 offset:2560
	v_lshlrev_b32_e32 v12, 1, v2
	v_mov_b32_e32 v13, 0
	s_waitcnt lgkmcnt(0)
	v_lshrrev_b32_sdwa v10, s88, v9 dst_sel:DWORD dst_unused:UNUSED_PAD src0_sel:DWORD src1_sel:WORD_0
	v_and_b32_e32 v10, s96, v10
	v_lshlrev_b32_e32 v10, 3, v10
	ds_read_b64 v[10:11], v10
	v_xor_b32_e32 v9, 0xffff8000, v9
	s_waitcnt lgkmcnt(0)
	v_lshl_add_u64 v[10:11], v[10:11], 1, s[78:79]
	v_lshl_add_u64 v[10:11], v[10:11], 0, v[12:13]
	global_store_short v[10:11], v9, off offset:512
.LBB72_93:
	s_or_b64 exec, exec, s[42:43]
	v_add_u32_e32 v12, 0x200, v2
	v_cmp_gt_u32_e64 s[42:43], s90, v12
	s_and_saveexec_b64 s[44:45], s[42:43]
	s_cbranch_execz .LBB72_95
; %bb.94:
	v_mad_i32_i24 v9, v2, -6, v8
	ds_read_u16 v9, v9 offset:3072
	v_lshlrev_b32_e32 v16, 1, v2
	v_mov_b32_e32 v17, 0
	s_waitcnt lgkmcnt(0)
	v_lshrrev_b32_sdwa v10, s88, v9 dst_sel:DWORD dst_unused:UNUSED_PAD src0_sel:DWORD src1_sel:WORD_0
	v_and_b32_e32 v10, s96, v10
	v_lshlrev_b32_e32 v10, 3, v10
	ds_read_b64 v[10:11], v10
	v_xor_b32_e32 v9, 0xffff8000, v9
	s_waitcnt lgkmcnt(0)
	v_lshl_add_u64 v[10:11], v[10:11], 1, s[78:79]
	v_lshl_add_u64 v[10:11], v[10:11], 0, v[16:17]
	global_store_short v[10:11], v9, off offset:1024
.LBB72_95:
	s_or_b64 exec, exec, s[44:45]
	v_add_u32_e32 v13, 0x300, v2
	v_cmp_gt_u32_e64 s[44:45], s90, v13
	s_and_saveexec_b64 s[46:47], s[44:45]
	s_cbranch_execz .LBB72_97
; %bb.96:
	v_mad_i32_i24 v9, v2, -6, v8
	ds_read_u16 v9, v9 offset:3584
	v_lshlrev_b32_e32 v16, 1, v2
	v_mov_b32_e32 v17, 0
	s_waitcnt lgkmcnt(0)
	v_lshrrev_b32_sdwa v10, s88, v9 dst_sel:DWORD dst_unused:UNUSED_PAD src0_sel:DWORD src1_sel:WORD_0
	v_and_b32_e32 v10, s96, v10
	v_lshlrev_b32_e32 v10, 3, v10
	ds_read_b64 v[10:11], v10
	v_xor_b32_e32 v9, 0xffff8000, v9
	s_waitcnt lgkmcnt(0)
	v_lshl_add_u64 v[10:11], v[10:11], 1, s[78:79]
	v_lshl_add_u64 v[10:11], v[10:11], 0, v[16:17]
	global_store_short v[10:11], v9, off offset:1536
.LBB72_97:
	s_or_b64 exec, exec, s[46:47]
	v_or_b32_e32 v15, 0x400, v2
	v_cmp_gt_u32_e64 s[46:47], s90, v15
	s_and_saveexec_b64 s[48:49], s[46:47]
	s_cbranch_execz .LBB72_99
; %bb.98:
	v_mad_i32_i24 v9, v2, -6, v8
	ds_read_u16 v9, v9 offset:4096
	v_lshlrev_b32_e32 v16, 1, v2
	v_mov_b32_e32 v17, 0
	s_waitcnt lgkmcnt(0)
	v_lshrrev_b32_sdwa v10, s88, v9 dst_sel:DWORD dst_unused:UNUSED_PAD src0_sel:DWORD src1_sel:WORD_0
	v_and_b32_e32 v10, s96, v10
	v_lshlrev_b32_e32 v10, 3, v10
	ds_read_b64 v[10:11], v10
	v_xor_b32_e32 v9, 0xffff8000, v9
	s_waitcnt lgkmcnt(0)
	v_lshl_add_u64 v[10:11], v[10:11], 1, s[78:79]
	v_lshl_add_u64 v[10:11], v[10:11], 0, v[16:17]
	global_store_short v[10:11], v9, off offset:2048
.LBB72_99:
	s_or_b64 exec, exec, s[48:49]
	v_add_u32_e32 v16, 0x500, v2
	v_cmp_gt_u32_e64 s[48:49], s90, v16
	s_and_saveexec_b64 s[50:51], s[48:49]
	s_cbranch_execz .LBB72_101
; %bb.100:
	v_mad_i32_i24 v9, v2, -6, v8
	ds_read_u16 v9, v9 offset:4608
	v_lshlrev_b32_e32 v20, 1, v2
	v_mov_b32_e32 v21, 0
	s_waitcnt lgkmcnt(0)
	v_lshrrev_b32_sdwa v10, s88, v9 dst_sel:DWORD dst_unused:UNUSED_PAD src0_sel:DWORD src1_sel:WORD_0
	v_and_b32_e32 v10, s96, v10
	v_lshlrev_b32_e32 v10, 3, v10
	ds_read_b64 v[10:11], v10
	v_xor_b32_e32 v9, 0xffff8000, v9
	s_waitcnt lgkmcnt(0)
	v_lshl_add_u64 v[10:11], v[10:11], 1, s[78:79]
	v_lshl_add_u64 v[10:11], v[10:11], 0, v[20:21]
	global_store_short v[10:11], v9, off offset:2560
.LBB72_101:
	s_or_b64 exec, exec, s[50:51]
	v_add_u32_e32 v17, 0x600, v2
	;; [unrolled: 21-line block ×3, first 2 shown]
	v_cmp_gt_u32_e64 s[52:53], s90, v18
	s_and_saveexec_b64 s[54:55], s[52:53]
	s_cbranch_execz .LBB72_105
; %bb.104:
	v_lshlrev_b32_e32 v10, 1, v2
	ds_read_u16 v9, v10 offset:5632
	s_waitcnt lgkmcnt(0)
	v_lshrrev_b32_sdwa v11, s88, v9 dst_sel:DWORD dst_unused:UNUSED_PAD src0_sel:DWORD src1_sel:WORD_0
	v_and_b32_e32 v11, s96, v11
	v_lshlrev_b32_e32 v11, 3, v11
	ds_read_b64 v[20:21], v11
	v_mov_b32_e32 v11, 0
	v_xor_b32_e32 v9, 0xffff8000, v9
	s_waitcnt lgkmcnt(0)
	v_lshl_add_u64 v[20:21], v[20:21], 1, s[78:79]
	v_lshl_add_u64 v[10:11], v[20:21], 0, v[10:11]
	global_store_short v[10:11], v9, off offset:3584
.LBB72_105:
	s_or_b64 exec, exec, s[54:55]
	v_or_b32_e32 v20, 0x800, v2
	v_cmp_gt_u32_e64 s[54:55], s90, v20
	s_and_saveexec_b64 s[56:57], s[54:55]
	s_cbranch_execz .LBB72_107
; %bb.106:
	v_lshlrev_b32_e32 v9, 1, v2
	ds_read_u16 v9, v9 offset:6144
	v_lshlrev_b32_e32 v22, 1, v20
	v_mov_b32_e32 v23, 0
	s_waitcnt lgkmcnt(0)
	v_lshrrev_b32_sdwa v10, s88, v9 dst_sel:DWORD dst_unused:UNUSED_PAD src0_sel:DWORD src1_sel:WORD_0
	v_and_b32_e32 v10, s96, v10
	v_lshlrev_b32_e32 v10, 3, v10
	ds_read_b64 v[10:11], v10
	v_xor_b32_e32 v9, 0xffff8000, v9
	s_waitcnt lgkmcnt(0)
	v_lshl_add_u64 v[10:11], v[10:11], 1, s[78:79]
	v_lshl_add_u64 v[10:11], v[10:11], 0, v[22:23]
	global_store_short v[10:11], v9, off
.LBB72_107:
	s_or_b64 exec, exec, s[56:57]
	v_add_u32_e32 v21, 0x900, v2
	v_cmp_gt_u32_e64 s[56:57], s90, v21
	s_and_saveexec_b64 s[58:59], s[56:57]
	s_cbranch_execz .LBB72_109
; %bb.108:
	v_lshlrev_b32_e32 v9, 1, v2
	ds_read_u16 v9, v9 offset:6656
	v_lshlrev_b32_e32 v22, 1, v21
	v_mov_b32_e32 v23, 0
	s_waitcnt lgkmcnt(0)
	v_lshrrev_b32_sdwa v10, s88, v9 dst_sel:DWORD dst_unused:UNUSED_PAD src0_sel:DWORD src1_sel:WORD_0
	v_and_b32_e32 v10, s96, v10
	v_lshlrev_b32_e32 v10, 3, v10
	ds_read_b64 v[10:11], v10
	v_xor_b32_e32 v9, 0xffff8000, v9
	s_waitcnt lgkmcnt(0)
	v_lshl_add_u64 v[10:11], v[10:11], 1, s[78:79]
	v_lshl_add_u64 v[10:11], v[10:11], 0, v[22:23]
	global_store_short v[10:11], v9, off
.LBB72_109:
	s_or_b64 exec, exec, s[58:59]
	v_add_u32_e32 v22, 0xa00, v2
	;; [unrolled: 21-line block ×3, first 2 shown]
	v_cmp_gt_u32_e64 s[60:61], s90, v23
	s_and_saveexec_b64 s[62:63], s[60:61]
	s_cbranch_execz .LBB72_113
; %bb.112:
	v_lshlrev_b32_e32 v9, 1, v2
	ds_read_u16 v9, v9 offset:7680
	v_lshlrev_b32_e32 v24, 1, v23
	v_mov_b32_e32 v25, 0
	s_waitcnt lgkmcnt(0)
	v_lshrrev_b32_sdwa v10, s88, v9 dst_sel:DWORD dst_unused:UNUSED_PAD src0_sel:DWORD src1_sel:WORD_0
	v_and_b32_e32 v10, s96, v10
	v_lshlrev_b32_e32 v10, 3, v10
	ds_read_b64 v[10:11], v10
	v_xor_b32_e32 v9, 0xffff8000, v9
	s_waitcnt lgkmcnt(0)
	v_lshl_add_u64 v[10:11], v[10:11], 1, s[78:79]
	v_lshl_add_u64 v[10:11], v[10:11], 0, v[24:25]
	global_store_short v[10:11], v9, off
.LBB72_113:
	s_or_b64 exec, exec, s[62:63]
	v_or_b32_e32 v24, 0xc00, v2
	v_cmp_gt_u32_e64 s[62:63], s90, v24
	s_and_saveexec_b64 s[64:65], s[62:63]
	s_cbranch_execz .LBB72_115
; %bb.114:
	v_lshlrev_b32_e32 v9, 1, v2
	ds_read_u16 v9, v9 offset:8192
	v_lshlrev_b32_e32 v26, 1, v24
	v_mov_b32_e32 v27, 0
	s_waitcnt lgkmcnt(0)
	v_lshrrev_b32_sdwa v10, s88, v9 dst_sel:DWORD dst_unused:UNUSED_PAD src0_sel:DWORD src1_sel:WORD_0
	v_and_b32_e32 v10, s96, v10
	v_lshlrev_b32_e32 v10, 3, v10
	ds_read_b64 v[10:11], v10
	v_xor_b32_e32 v9, 0xffff8000, v9
	s_waitcnt lgkmcnt(0)
	v_lshl_add_u64 v[10:11], v[10:11], 1, s[78:79]
	v_lshl_add_u64 v[10:11], v[10:11], 0, v[26:27]
	global_store_short v[10:11], v9, off
.LBB72_115:
	s_or_b64 exec, exec, s[64:65]
	v_add_u32_e32 v25, 0xd00, v2
	v_cmp_gt_u32_e64 s[64:65], s90, v25
	s_and_saveexec_b64 s[66:67], s[64:65]
	s_cbranch_execz .LBB72_117
; %bb.116:
	v_lshlrev_b32_e32 v9, 1, v2
	ds_read_u16 v9, v9 offset:8704
	v_lshlrev_b32_e32 v26, 1, v25
	v_mov_b32_e32 v27, 0
	s_waitcnt lgkmcnt(0)
	v_lshrrev_b32_sdwa v10, s88, v9 dst_sel:DWORD dst_unused:UNUSED_PAD src0_sel:DWORD src1_sel:WORD_0
	v_and_b32_e32 v10, s96, v10
	v_lshlrev_b32_e32 v10, 3, v10
	ds_read_b64 v[10:11], v10
	v_xor_b32_e32 v9, 0xffff8000, v9
	s_waitcnt lgkmcnt(0)
	v_lshl_add_u64 v[10:11], v[10:11], 1, s[78:79]
	v_lshl_add_u64 v[10:11], v[10:11], 0, v[26:27]
	global_store_short v[10:11], v9, off
.LBB72_117:
	s_or_b64 exec, exec, s[66:67]
	v_add_u32_e32 v26, 0xe00, v2
	;; [unrolled: 21-line block ×3, first 2 shown]
	v_cmp_gt_u32_e64 s[68:69], s90, v27
	s_and_saveexec_b64 s[70:71], s[68:69]
	s_cbranch_execz .LBB72_121
; %bb.120:
	v_lshlrev_b32_e32 v9, 1, v2
	ds_read_u16 v9, v9 offset:9728
	v_lshlrev_b32_e32 v46, 1, v27
	v_mov_b32_e32 v47, 0
	s_waitcnt lgkmcnt(0)
	v_lshrrev_b32_sdwa v10, s88, v9 dst_sel:DWORD dst_unused:UNUSED_PAD src0_sel:DWORD src1_sel:WORD_0
	v_and_b32_e32 v10, s96, v10
	v_lshlrev_b32_e32 v10, 3, v10
	ds_read_b64 v[10:11], v10
	v_xor_b32_e32 v9, 0xffff8000, v9
	s_waitcnt lgkmcnt(0)
	v_lshl_add_u64 v[10:11], v[10:11], 1, s[78:79]
	v_lshl_add_u64 v[10:11], v[10:11], 0, v[46:47]
	global_store_short v[10:11], v9, off
.LBB72_121:
	s_or_b64 exec, exec, s[70:71]
	v_or_b32_e32 v41, 0x1000, v2
	v_cmp_gt_u32_e64 s[70:71], s90, v41
	s_and_saveexec_b64 s[72:73], s[70:71]
	s_cbranch_execz .LBB72_123
; %bb.122:
	v_lshlrev_b32_e32 v9, 1, v2
	ds_read_u16 v9, v9 offset:10240
	v_lshlrev_b32_e32 v46, 1, v41
	v_mov_b32_e32 v47, 0
	s_waitcnt lgkmcnt(0)
	v_lshrrev_b32_sdwa v10, s88, v9 dst_sel:DWORD dst_unused:UNUSED_PAD src0_sel:DWORD src1_sel:WORD_0
	v_and_b32_e32 v10, s96, v10
	v_lshlrev_b32_e32 v10, 3, v10
	ds_read_b64 v[10:11], v10
	v_xor_b32_e32 v9, 0xffff8000, v9
	s_waitcnt lgkmcnt(0)
	v_lshl_add_u64 v[10:11], v[10:11], 1, s[78:79]
	v_lshl_add_u64 v[10:11], v[10:11], 0, v[46:47]
	global_store_short v[10:11], v9, off
.LBB72_123:
	s_or_b64 exec, exec, s[72:73]
	v_add_u32_e32 v43, 0x1100, v2
	v_cmp_gt_u32_e64 s[72:73], s90, v43
	s_and_saveexec_b64 s[90:91], s[72:73]
	s_cbranch_execz .LBB72_125
; %bb.124:
	v_lshlrev_b32_e32 v9, 1, v2
	ds_read_u16 v9, v9 offset:10752
	v_lshlrev_b32_e32 v46, 1, v43
	v_mov_b32_e32 v47, 0
	s_waitcnt lgkmcnt(0)
	v_lshrrev_b32_sdwa v10, s88, v9 dst_sel:DWORD dst_unused:UNUSED_PAD src0_sel:DWORD src1_sel:WORD_0
	v_and_b32_e32 v10, s96, v10
	v_lshlrev_b32_e32 v10, 3, v10
	ds_read_b64 v[10:11], v10
	v_xor_b32_e32 v9, 0xffff8000, v9
	s_waitcnt lgkmcnt(0)
	v_lshl_add_u64 v[10:11], v[10:11], 1, s[78:79]
	v_lshl_add_u64 v[10:11], v[10:11], 0, v[46:47]
	global_store_short v[10:11], v9, off
.LBB72_125:
	s_or_b64 exec, exec, s[90:91]
	s_lshl_b64 s[90:91], s[92:93], 3
	s_add_u32 s90, s80, s90
	s_addc_u32 s91, s81, s91
	v_lshlrev_b32_e32 v10, 3, v3
	v_mov_b32_e32 v11, 0
	v_lshl_add_u64 v[46:47], s[90:91], 0, v[10:11]
	v_lshlrev_b32_e32 v10, 3, v14
	v_lshl_add_u64 v[10:11], v[46:47], 0, v[10:11]
                                        ; implicit-def: $vgpr60_vgpr61
	s_and_saveexec_b64 s[90:91], vcc
	s_xor_b64 s[90:91], exec, s[90:91]
	s_cbranch_execz .LBB72_143
; %bb.126:
	global_load_dwordx2 v[60:61], v[10:11], off
	s_or_b64 exec, exec, s[90:91]
                                        ; implicit-def: $vgpr62_vgpr63
	s_and_saveexec_b64 s[90:91], s[74:75]
	s_cbranch_execnz .LBB72_144
.LBB72_127:
	s_or_b64 exec, exec, s[90:91]
                                        ; implicit-def: $vgpr64_vgpr65
	s_and_saveexec_b64 s[74:75], s[4:5]
	s_cbranch_execz .LBB72_145
.LBB72_128:
	global_load_dwordx2 v[64:65], v[10:11], off offset:1024
	s_or_b64 exec, exec, s[74:75]
                                        ; implicit-def: $vgpr66_vgpr67
	s_and_saveexec_b64 s[4:5], s[10:11]
	s_cbranch_execnz .LBB72_146
.LBB72_129:
	s_or_b64 exec, exec, s[4:5]
                                        ; implicit-def: $vgpr68_vgpr69
	s_and_saveexec_b64 s[4:5], s[16:17]
	s_cbranch_execz .LBB72_147
.LBB72_130:
	global_load_dwordx2 v[68:69], v[10:11], off offset:2048
	s_or_b64 exec, exec, s[4:5]
                                        ; implicit-def: $vgpr70_vgpr71
	s_and_saveexec_b64 s[4:5], s[20:21]
	s_cbranch_execnz .LBB72_148
.LBB72_131:
	s_or_b64 exec, exec, s[4:5]
                                        ; implicit-def: $vgpr72_vgpr73
	s_and_saveexec_b64 s[4:5], s[24:25]
	s_cbranch_execz .LBB72_149
.LBB72_132:
	global_load_dwordx2 v[72:73], v[10:11], off offset:3072
	s_or_b64 exec, exec, s[4:5]
                                        ; implicit-def: $vgpr74_vgpr75
	s_and_saveexec_b64 s[4:5], s[30:31]
	s_cbranch_execnz .LBB72_150
.LBB72_133:
	s_or_b64 exec, exec, s[4:5]
                                        ; implicit-def: $vgpr76_vgpr77
	s_and_saveexec_b64 s[4:5], s[36:37]
	s_cbranch_execz .LBB72_151
.LBB72_134:
	v_add_co_u32_e32 v46, vcc, 0x1000, v10
	s_nop 1
	v_addc_co_u32_e32 v47, vcc, 0, v11, vcc
	global_load_dwordx2 v[76:77], v[46:47], off
	s_or_b64 exec, exec, s[4:5]
                                        ; implicit-def: $vgpr78_vgpr79
	s_and_saveexec_b64 s[4:5], s[34:35]
	s_cbranch_execnz .LBB72_152
.LBB72_135:
	s_or_b64 exec, exec, s[4:5]
                                        ; implicit-def: $vgpr80_vgpr81
	s_and_saveexec_b64 s[4:5], s[28:29]
	s_cbranch_execz .LBB72_153
.LBB72_136:
	v_add_co_u32_e32 v46, vcc, 0x1000, v10
	s_nop 1
	v_addc_co_u32_e32 v47, vcc, 0, v11, vcc
	global_load_dwordx2 v[80:81], v[46:47], off offset:1024
	s_or_b64 exec, exec, s[4:5]
                                        ; implicit-def: $vgpr82_vgpr83
	s_and_saveexec_b64 s[4:5], s[26:27]
	s_cbranch_execnz .LBB72_154
.LBB72_137:
	s_or_b64 exec, exec, s[4:5]
                                        ; implicit-def: $vgpr84_vgpr85
	s_and_saveexec_b64 s[4:5], s[22:23]
	s_cbranch_execz .LBB72_155
.LBB72_138:
	v_add_co_u32_e32 v46, vcc, 0x1000, v10
	s_nop 1
	v_addc_co_u32_e32 v47, vcc, 0, v11, vcc
	global_load_dwordx2 v[84:85], v[46:47], off offset:2048
	s_or_b64 exec, exec, s[4:5]
                                        ; implicit-def: $vgpr86_vgpr87
	s_and_saveexec_b64 s[4:5], s[18:19]
	s_cbranch_execnz .LBB72_156
.LBB72_139:
	s_or_b64 exec, exec, s[4:5]
                                        ; implicit-def: $vgpr88_vgpr89
	s_and_saveexec_b64 s[4:5], s[14:15]
	s_cbranch_execz .LBB72_157
.LBB72_140:
	v_add_co_u32_e32 v46, vcc, 0x1000, v10
	s_nop 1
	v_addc_co_u32_e32 v47, vcc, 0, v11, vcc
	global_load_dwordx2 v[88:89], v[46:47], off offset:3072
	s_or_b64 exec, exec, s[4:5]
                                        ; implicit-def: $vgpr90_vgpr91
	s_and_saveexec_b64 s[4:5], s[12:13]
	s_cbranch_execnz .LBB72_158
.LBB72_141:
	s_or_b64 exec, exec, s[4:5]
                                        ; implicit-def: $vgpr92_vgpr93
	s_and_saveexec_b64 s[4:5], s[8:9]
	s_cbranch_execz .LBB72_159
.LBB72_142:
	v_add_co_u32_e32 v46, vcc, 0x2000, v10
	s_nop 1
	v_addc_co_u32_e32 v47, vcc, 0, v11, vcc
	global_load_dwordx2 v[92:93], v[46:47], off
	s_or_b64 exec, exec, s[4:5]
                                        ; implicit-def: $vgpr94_vgpr95
	s_and_saveexec_b64 s[4:5], s[6:7]
	s_cbranch_execnz .LBB72_160
	s_branch .LBB72_161
.LBB72_143:
	s_or_b64 exec, exec, s[90:91]
                                        ; implicit-def: $vgpr62_vgpr63
	s_and_saveexec_b64 s[90:91], s[74:75]
	s_cbranch_execz .LBB72_127
.LBB72_144:
	global_load_dwordx2 v[62:63], v[10:11], off offset:512
	s_or_b64 exec, exec, s[90:91]
                                        ; implicit-def: $vgpr64_vgpr65
	s_and_saveexec_b64 s[74:75], s[4:5]
	s_cbranch_execnz .LBB72_128
.LBB72_145:
	s_or_b64 exec, exec, s[74:75]
                                        ; implicit-def: $vgpr66_vgpr67
	s_and_saveexec_b64 s[4:5], s[10:11]
	s_cbranch_execz .LBB72_129
.LBB72_146:
	global_load_dwordx2 v[66:67], v[10:11], off offset:1536
	s_or_b64 exec, exec, s[4:5]
                                        ; implicit-def: $vgpr68_vgpr69
	s_and_saveexec_b64 s[4:5], s[16:17]
	s_cbranch_execnz .LBB72_130
.LBB72_147:
	s_or_b64 exec, exec, s[4:5]
                                        ; implicit-def: $vgpr70_vgpr71
	s_and_saveexec_b64 s[4:5], s[20:21]
	s_cbranch_execz .LBB72_131
.LBB72_148:
	global_load_dwordx2 v[70:71], v[10:11], off offset:2560
	s_or_b64 exec, exec, s[4:5]
                                        ; implicit-def: $vgpr72_vgpr73
	s_and_saveexec_b64 s[4:5], s[24:25]
	s_cbranch_execnz .LBB72_132
.LBB72_149:
	s_or_b64 exec, exec, s[4:5]
                                        ; implicit-def: $vgpr74_vgpr75
	s_and_saveexec_b64 s[4:5], s[30:31]
	s_cbranch_execz .LBB72_133
.LBB72_150:
	global_load_dwordx2 v[74:75], v[10:11], off offset:3584
	s_or_b64 exec, exec, s[4:5]
                                        ; implicit-def: $vgpr76_vgpr77
	s_and_saveexec_b64 s[4:5], s[36:37]
	s_cbranch_execnz .LBB72_134
.LBB72_151:
	s_or_b64 exec, exec, s[4:5]
                                        ; implicit-def: $vgpr78_vgpr79
	s_and_saveexec_b64 s[4:5], s[34:35]
	s_cbranch_execz .LBB72_135
.LBB72_152:
	v_add_co_u32_e32 v46, vcc, 0x1000, v10
	s_nop 1
	v_addc_co_u32_e32 v47, vcc, 0, v11, vcc
	global_load_dwordx2 v[78:79], v[46:47], off offset:512
	s_or_b64 exec, exec, s[4:5]
                                        ; implicit-def: $vgpr80_vgpr81
	s_and_saveexec_b64 s[4:5], s[28:29]
	s_cbranch_execnz .LBB72_136
.LBB72_153:
	s_or_b64 exec, exec, s[4:5]
                                        ; implicit-def: $vgpr82_vgpr83
	s_and_saveexec_b64 s[4:5], s[26:27]
	s_cbranch_execz .LBB72_137
.LBB72_154:
	v_add_co_u32_e32 v46, vcc, 0x1000, v10
	s_nop 1
	v_addc_co_u32_e32 v47, vcc, 0, v11, vcc
	global_load_dwordx2 v[82:83], v[46:47], off offset:1536
	s_or_b64 exec, exec, s[4:5]
                                        ; implicit-def: $vgpr84_vgpr85
	s_and_saveexec_b64 s[4:5], s[22:23]
	s_cbranch_execnz .LBB72_138
.LBB72_155:
	s_or_b64 exec, exec, s[4:5]
                                        ; implicit-def: $vgpr86_vgpr87
	s_and_saveexec_b64 s[4:5], s[18:19]
	s_cbranch_execz .LBB72_139
.LBB72_156:
	v_add_co_u32_e32 v46, vcc, 0x1000, v10
	s_nop 1
	v_addc_co_u32_e32 v47, vcc, 0, v11, vcc
	global_load_dwordx2 v[86:87], v[46:47], off offset:2560
	s_or_b64 exec, exec, s[4:5]
                                        ; implicit-def: $vgpr88_vgpr89
	s_and_saveexec_b64 s[4:5], s[14:15]
	s_cbranch_execnz .LBB72_140
.LBB72_157:
	s_or_b64 exec, exec, s[4:5]
                                        ; implicit-def: $vgpr90_vgpr91
	s_and_saveexec_b64 s[4:5], s[12:13]
	s_cbranch_execz .LBB72_141
.LBB72_158:
	v_add_co_u32_e32 v46, vcc, 0x1000, v10
	s_nop 1
	v_addc_co_u32_e32 v47, vcc, 0, v11, vcc
	global_load_dwordx2 v[90:91], v[46:47], off offset:3584
	s_or_b64 exec, exec, s[4:5]
                                        ; implicit-def: $vgpr92_vgpr93
	s_and_saveexec_b64 s[4:5], s[8:9]
	s_cbranch_execnz .LBB72_142
.LBB72_159:
	s_or_b64 exec, exec, s[4:5]
                                        ; implicit-def: $vgpr94_vgpr95
	s_and_saveexec_b64 s[4:5], s[6:7]
	s_cbranch_execz .LBB72_161
.LBB72_160:
	v_add_co_u32_e32 v10, vcc, 0x2000, v10
	s_nop 1
	v_addc_co_u32_e32 v11, vcc, 0, v11, vcc
	global_load_dwordx2 v[94:95], v[10:11], off offset:512
.LBB72_161:
	s_or_b64 exec, exec, s[4:5]
	v_mov_b32_e32 v56, 0
	v_mov_b32_e32 v9, 0
	s_and_saveexec_b64 s[4:5], s[38:39]
	s_cbranch_execz .LBB72_163
; %bb.162:
	v_lshlrev_b32_e32 v3, 1, v2
	ds_read_u16 v3, v3 offset:2048
	s_waitcnt lgkmcnt(0)
	v_lshrrev_b32_e32 v3, s88, v3
	v_and_b32_e32 v9, s96, v3
.LBB72_163:
	s_or_b64 exec, exec, s[4:5]
	s_and_saveexec_b64 s[4:5], s[40:41]
	s_cbranch_execz .LBB72_165
; %bb.164:
	v_lshlrev_b32_e32 v3, 1, v2
	ds_read_u16 v3, v3 offset:2560
	s_waitcnt lgkmcnt(0)
	v_lshrrev_b32_e32 v3, s88, v3
	v_and_b32_e32 v56, s96, v3
.LBB72_165:
	s_or_b64 exec, exec, s[4:5]
	v_mov_b32_e32 v54, 0
	v_mov_b32_e32 v58, 0
	s_and_saveexec_b64 s[4:5], s[42:43]
	s_cbranch_execz .LBB72_167
; %bb.166:
	v_lshlrev_b32_e32 v3, 1, v2
	ds_read_u16 v3, v3 offset:3072
	s_waitcnt lgkmcnt(0)
	v_lshrrev_b32_e32 v3, s88, v3
	v_and_b32_e32 v58, s96, v3
.LBB72_167:
	s_or_b64 exec, exec, s[4:5]
	s_and_saveexec_b64 s[4:5], s[44:45]
	s_cbranch_execz .LBB72_169
; %bb.168:
	v_lshlrev_b32_e32 v3, 1, v2
	ds_read_u16 v3, v3 offset:3584
	s_waitcnt lgkmcnt(0)
	v_lshrrev_b32_e32 v3, s88, v3
	v_and_b32_e32 v54, s96, v3
.LBB72_169:
	;; [unrolled: 22-line block ×9, first 2 shown]
	s_or_b64 exec, exec, s[4:5]
	v_lshlrev_b32_e32 v2, 3, v48
	s_barrier
	s_waitcnt vmcnt(0)
	ds_write_b64 v2, v[60:61] offset:2048
	v_lshlrev_b32_e32 v2, 3, v45
	ds_write_b64 v2, v[62:63] offset:2048
	v_lshlrev_b32_e32 v2, 3, v42
	;; [unrolled: 2-line block ×17, first 2 shown]
	ds_write_b64 v2, v[94:95] offset:2048
	s_waitcnt lgkmcnt(0)
	s_barrier
	s_and_saveexec_b64 s[4:5], s[38:39]
	s_cbranch_execz .LBB72_274
; %bb.198:
	v_lshlrev_b32_e32 v2, 3, v9
	ds_read_b64 v[28:29], v2
	ds_read_b64 v[30:31], v8 offset:2048
	v_mov_b32_e32 v9, 0
	s_waitcnt lgkmcnt(1)
	v_lshl_add_u64 v[28:29], v[28:29], 3, s[82:83]
	v_lshl_add_u64 v[28:29], v[28:29], 0, v[8:9]
	s_waitcnt lgkmcnt(0)
	global_store_dwordx2 v[28:29], v[30:31], off
	s_or_b64 exec, exec, s[4:5]
	s_and_saveexec_b64 s[4:5], s[40:41]
	s_cbranch_execnz .LBB72_275
.LBB72_199:
	s_or_b64 exec, exec, s[4:5]
	s_and_saveexec_b64 s[4:5], s[42:43]
	s_cbranch_execz .LBB72_276
.LBB72_200:
	v_lshlrev_b32_e32 v2, 3, v58
	ds_read_b64 v[28:29], v2
	ds_read_b64 v[30:31], v8 offset:6144
	v_lshlrev_b32_e32 v32, 3, v12
	v_mov_b32_e32 v33, 0
	s_waitcnt lgkmcnt(1)
	v_lshl_add_u64 v[28:29], v[28:29], 3, s[82:83]
	v_lshl_add_u64 v[28:29], v[28:29], 0, v[32:33]
	s_waitcnt lgkmcnt(0)
	global_store_dwordx2 v[28:29], v[30:31], off
	s_or_b64 exec, exec, s[4:5]
	s_and_saveexec_b64 s[4:5], s[44:45]
	s_cbranch_execnz .LBB72_277
.LBB72_201:
	s_or_b64 exec, exec, s[4:5]
	s_and_saveexec_b64 s[4:5], s[46:47]
	s_cbranch_execz .LBB72_278
.LBB72_202:
	v_lshlrev_b32_e32 v2, 3, v57
	ds_read_b64 v[12:13], v2
	ds_read_b64 v[28:29], v8 offset:10240
	v_lshlrev_b32_e32 v30, 3, v15
	v_mov_b32_e32 v31, 0
	s_waitcnt lgkmcnt(1)
	v_lshl_add_u64 v[12:13], v[12:13], 3, s[82:83]
	v_lshl_add_u64 v[12:13], v[12:13], 0, v[30:31]
	s_waitcnt lgkmcnt(0)
	global_store_dwordx2 v[12:13], v[28:29], off
	s_or_b64 exec, exec, s[4:5]
	s_and_saveexec_b64 s[4:5], s[48:49]
	s_cbranch_execnz .LBB72_279
.LBB72_203:
	s_or_b64 exec, exec, s[4:5]
	s_and_saveexec_b64 s[4:5], s[50:51]
	s_cbranch_execz .LBB72_280
.LBB72_204:
	v_lshlrev_b32_e32 v2, 3, v55
	ds_read_b64 v[12:13], v2
	ds_read_b64 v[28:29], v8 offset:14336
	v_lshlrev_b32_e32 v16, 3, v17
	v_mov_b32_e32 v17, 0
	s_waitcnt lgkmcnt(1)
	v_lshl_add_u64 v[12:13], v[12:13], 3, s[82:83]
	v_lshl_add_u64 v[12:13], v[12:13], 0, v[16:17]
	s_waitcnt lgkmcnt(0)
	global_store_dwordx2 v[12:13], v[28:29], off
	s_or_b64 exec, exec, s[4:5]
	s_and_saveexec_b64 s[4:5], s[52:53]
	s_cbranch_execnz .LBB72_281
.LBB72_205:
	s_or_b64 exec, exec, s[4:5]
	s_and_saveexec_b64 s[4:5], s[54:55]
	s_cbranch_execz .LBB72_282
.LBB72_206:
	v_lshlrev_b32_e32 v2, 3, v53
	ds_read_b64 v[12:13], v2
	ds_read_b64 v[16:17], v8 offset:18432
	v_lshlrev_b32_e32 v18, 3, v20
	v_mov_b32_e32 v19, 0
	s_waitcnt lgkmcnt(1)
	v_lshl_add_u64 v[12:13], v[12:13], 3, s[82:83]
	v_lshl_add_u64 v[12:13], v[12:13], 0, v[18:19]
	s_waitcnt lgkmcnt(0)
	global_store_dwordx2 v[12:13], v[16:17], off
	s_or_b64 exec, exec, s[4:5]
	s_and_saveexec_b64 s[4:5], s[56:57]
	s_cbranch_execnz .LBB72_283
.LBB72_207:
	s_or_b64 exec, exec, s[4:5]
	s_and_saveexec_b64 s[4:5], s[58:59]
	s_cbranch_execz .LBB72_284
.LBB72_208:
	v_lshlrev_b32_e32 v2, 3, v51
	ds_read_b64 v[12:13], v2
	ds_read_b64 v[16:17], v8 offset:22528
	v_lshlrev_b32_e32 v18, 3, v22
	v_mov_b32_e32 v19, 0
	s_waitcnt lgkmcnt(1)
	v_lshl_add_u64 v[12:13], v[12:13], 3, s[82:83]
	v_lshl_add_u64 v[12:13], v[12:13], 0, v[18:19]
	s_waitcnt lgkmcnt(0)
	global_store_dwordx2 v[12:13], v[16:17], off
	s_or_b64 exec, exec, s[4:5]
	s_and_saveexec_b64 s[4:5], s[60:61]
	s_cbranch_execnz .LBB72_285
.LBB72_209:
	s_or_b64 exec, exec, s[4:5]
	s_and_saveexec_b64 s[4:5], s[62:63]
	s_cbranch_execz .LBB72_286
.LBB72_210:
	v_lshlrev_b32_e32 v2, 3, v49
	ds_read_b64 v[12:13], v2
	ds_read_b64 v[16:17], v8 offset:26624
	v_lshlrev_b32_e32 v18, 3, v24
	v_mov_b32_e32 v19, 0
	s_waitcnt lgkmcnt(1)
	v_lshl_add_u64 v[12:13], v[12:13], 3, s[82:83]
	v_lshl_add_u64 v[12:13], v[12:13], 0, v[18:19]
	s_waitcnt lgkmcnt(0)
	global_store_dwordx2 v[12:13], v[16:17], off
	s_or_b64 exec, exec, s[4:5]
	s_and_saveexec_b64 s[4:5], s[64:65]
	s_cbranch_execnz .LBB72_287
.LBB72_211:
	s_or_b64 exec, exec, s[4:5]
	s_and_saveexec_b64 s[4:5], s[66:67]
	s_cbranch_execz .LBB72_288
.LBB72_212:
	v_lshlrev_b32_e32 v2, 3, v46
	ds_read_b64 v[12:13], v2
	ds_read_b64 v[16:17], v8 offset:30720
	v_lshlrev_b32_e32 v18, 3, v26
	v_mov_b32_e32 v19, 0
	s_waitcnt lgkmcnt(1)
	v_lshl_add_u64 v[12:13], v[12:13], 3, s[82:83]
	v_lshl_add_u64 v[12:13], v[12:13], 0, v[18:19]
	s_waitcnt lgkmcnt(0)
	global_store_dwordx2 v[12:13], v[16:17], off
	s_or_b64 exec, exec, s[4:5]
	s_and_saveexec_b64 s[4:5], s[68:69]
	s_cbranch_execnz .LBB72_289
.LBB72_213:
	s_or_b64 exec, exec, s[4:5]
	s_and_saveexec_b64 s[4:5], s[70:71]
	s_cbranch_execz .LBB72_290
.LBB72_214:
	v_lshlrev_b32_e32 v2, 3, v14
	ds_read_b64 v[10:11], v2
	ds_read_b64 v[12:13], v8 offset:34816
	v_lshlrev_b32_e32 v14, 3, v41
	v_mov_b32_e32 v15, 0
	s_waitcnt lgkmcnt(1)
	v_lshl_add_u64 v[10:11], v[10:11], 3, s[82:83]
	v_lshl_add_u64 v[10:11], v[10:11], 0, v[14:15]
	s_waitcnt lgkmcnt(0)
	global_store_dwordx2 v[10:11], v[12:13], off
	s_or_b64 exec, exec, s[4:5]
	s_and_saveexec_b64 s[4:5], s[72:73]
	s_cbranch_execnz .LBB72_291
.LBB72_215:
	s_or_b64 exec, exec, s[4:5]
	s_add_i32 s33, s33, -1
	s_cmp_eq_u32 s2, s33
	s_cbranch_scc0 .LBB72_217
.LBB72_216:
	ds_read_b64 v[2:3], v8
	v_mov_b32_e32 v7, 0
	v_lshl_add_u64 v[4:5], v[6:7], 0, v[4:5]
	s_waitcnt lgkmcnt(0)
	v_lshl_add_u64 v[2:3], v[4:5], 0, v[2:3]
	global_store_dwordx2 v8, v[2:3], s[86:87]
.LBB72_217:
	s_mov_b64 s[4:5], 0
.LBB72_218:
	s_and_b64 vcc, exec, s[4:5]
	s_cbranch_vccz .LBB72_273
; %bb.219:
	s_mov_b32 s93, 0
	s_lshl_b64 s[4:5], s[92:93], 1
	s_add_u32 s4, s76, s4
	v_mbcnt_hi_u32_b32 v12, -1, v1
	s_addc_u32 s5, s77, s5
	v_mov_b32_e32 v5, 0
	v_lshlrev_b32_e32 v4, 1, v12
	v_lshl_add_u64 v[6:7], s[4:5], 0, v[4:5]
	s_load_dword s8, s[0:1], 0x50
	s_load_dword s4, s[0:1], 0x5c
	v_and_b32_e32 v8, 0xc0, v0
	v_mul_u32_u24_e32 v3, 18, v8
	s_add_u32 s0, s0, 0x50
	v_lshlrev_b32_e32 v4, 1, v3
	s_addc_u32 s1, s1, 0
	s_waitcnt lgkmcnt(0)
	s_lshr_b32 s4, s4, 16
	v_lshl_add_u64 v[16:17], v[6:7], 0, v[4:5]
	s_cmp_lt_u32 s2, s8
	global_load_ushort v1, v[16:17], off
	s_cselect_b32 s5, 12, 18
	s_add_u32 s0, s0, s5
	s_addc_u32 s1, s1, 0
	global_load_ushort v9, v5, s[0:1]
	v_and_b32_e32 v2, 0x3ff, v0
	v_mul_u32_u24_e32 v6, 20, v2
	ds_write2_b32 v6, v5, v5 offset0:4 offset1:5
	ds_write2_b32 v6, v5, v5 offset0:6 offset1:7
	ds_write_b32 v6, v5 offset:32
	global_load_ushort v10, v[16:17], off offset:128
	global_load_ushort v15, v[16:17], off offset:256
	;; [unrolled: 1-line block ×17, first 2 shown]
	v_bfe_u32 v4, v0, 10, 10
	v_bfe_u32 v7, v0, 20, 10
	v_mad_u32_u24 v11, v7, s4, v4
	s_lshl_b32 s0, -1, s89
	v_mov_b32_e32 v0, v5
	s_not_b32 s9, s0
	v_mov_b32_e32 v22, v5
	v_mov_b32_e32 v28, v5
	s_waitcnt lgkmcnt(0)
	s_barrier
	s_waitcnt vmcnt(18)
	; wave barrier
	v_xor_b32_e32 v7, 0xffff8000, v1
	v_lshrrev_b32_sdwa v1, s88, v7 dst_sel:DWORD dst_unused:UNUSED_PAD src0_sel:DWORD src1_sel:WORD_0
	v_bitop3_b32 v13, v1, s0, v1 bitop3:0x30
	v_and_b32_e32 v4, 1, v13
	v_lshlrev_b32_e32 v1, 30, v13
	s_waitcnt vmcnt(17)
	v_mad_u64_u32 v[32:33], s[0:1], v11, v9, v[2:3]
	v_lshlrev_b32_e32 v23, 29, v13
	v_lshl_add_u64 v[38:39], v[4:5], 0, -1
	v_cmp_ne_u32_e32 vcc, 0, v4
	v_cmp_gt_i64_e64 s[0:1], 0, v[0:1]
	v_not_b32_e32 v0, v1
	v_lshlrev_b32_e32 v29, 28, v13
	v_not_b32_e32 v1, v23
	v_xor_b32_e32 v14, vcc_lo, v38
	v_ashrrev_i32_e32 v0, 31, v0
	v_cmp_gt_i64_e64 s[4:5], 0, v[22:23]
	v_not_b32_e32 v4, v29
	v_ashrrev_i32_e32 v1, 31, v1
	v_and_b32_e32 v14, exec_lo, v14
	v_xor_b32_e32 v16, s1, v0
	v_xor_b32_e32 v0, s0, v0
	v_cmp_gt_i64_e64 s[6:7], 0, v[28:29]
	v_xor_b32_e32 v11, vcc_hi, v39
	v_ashrrev_i32_e32 v4, 31, v4
	v_xor_b32_e32 v18, s5, v1
	v_xor_b32_e32 v1, s4, v1
	v_and_b32_e32 v0, v14, v0
	v_lshlrev_b32_e32 v17, 27, v13
	v_and_b32_e32 v11, exec_hi, v11
	v_xor_b32_e32 v22, s7, v4
	v_xor_b32_e32 v4, s6, v4
	v_and_b32_e32 v0, v0, v1
	v_and_b32_e32 v11, v11, v16
	;; [unrolled: 1-line block ×3, first 2 shown]
	v_mov_b32_e32 v16, v5
	v_not_b32_e32 v4, v17
	v_and_b32_e32 v11, v11, v18
	v_cmp_gt_i64_e32 vcc, 0, v[16:17]
	v_ashrrev_i32_e32 v4, 31, v4
	v_and_b32_e32 v1, v11, v22
	v_xor_b32_e32 v11, vcc_hi, v4
	v_xor_b32_e32 v4, vcc_lo, v4
	v_and_b32_e32 v11, v1, v11
	v_and_b32_e32 v4, v0, v4
	v_lshlrev_b32_e32 v1, 26, v13
	v_mov_b32_e32 v0, v5
	v_cmp_gt_i64_e32 vcc, 0, v[0:1]
	v_not_b32_e32 v0, v1
	v_ashrrev_i32_e32 v0, 31, v0
	v_xor_b32_e32 v1, vcc_hi, v0
	v_xor_b32_e32 v0, vcc_lo, v0
	v_and_b32_e32 v11, v11, v1
	v_and_b32_e32 v4, v4, v0
	v_lshlrev_b32_e32 v1, 25, v13
	v_mov_b32_e32 v0, v5
	v_cmp_gt_i64_e32 vcc, 0, v[0:1]
	v_not_b32_e32 v0, v1
	v_ashrrev_i32_e32 v0, 31, v0
	;; [unrolled: 9-line block ×3, first 2 shown]
	v_xor_b32_e32 v1, vcc_hi, v0
	v_xor_b32_e32 v0, vcc_lo, v0
	v_and_b32_e32 v0, v4, v0
	v_and_b32_e32 v1, v11, v1
	v_mbcnt_lo_u32_b32 v4, v0, 0
	v_lshrrev_b32_e32 v9, 6, v32
	v_mbcnt_hi_u32_b32 v11, v1, v4
	v_lshlrev_b32_e32 v20, 2, v9
	v_cmp_eq_u32_e32 vcc, 0, v11
	v_cmp_ne_u64_e64 s[0:1], 0, v[0:1]
	v_mad_u32_u24 v9, v13, 20, v20
	s_and_b64 s[4:5], s[0:1], vcc
	s_and_saveexec_b64 s[0:1], s[4:5]
; %bb.220:
	v_bcnt_u32_b32 v0, v0, 0
	v_bcnt_u32_b32 v0, v1, v0
	ds_write_b32 v9, v0 offset:16
; %bb.221:
	s_or_b64 exec, exec, s[0:1]
	s_waitcnt vmcnt(16)
	v_xor_b32_e32 v10, 0xffff8000, v10
	v_lshrrev_b32_sdwa v0, s88, v10 dst_sel:DWORD dst_unused:UNUSED_PAD src0_sel:DWORD src1_sel:WORD_0
	v_and_b32_e32 v16, s9, v0
	v_and_b32_e32 v4, 1, v16
	v_lshl_add_u64 v[0:1], v[4:5], 0, -1
	v_cmp_ne_u32_e32 vcc, 0, v4
	v_mad_u32_u24 v14, v16, 20, v20
	s_nop 0
	v_xor_b32_e32 v1, vcc_hi, v1
	v_xor_b32_e32 v0, vcc_lo, v0
	v_and_b32_e32 v4, exec_hi, v1
	v_and_b32_e32 v17, exec_lo, v0
	v_lshlrev_b32_e32 v1, 30, v16
	v_mov_b32_e32 v0, v5
	v_cmp_gt_i64_e32 vcc, 0, v[0:1]
	v_not_b32_e32 v0, v1
	v_ashrrev_i32_e32 v0, 31, v0
	v_xor_b32_e32 v1, vcc_hi, v0
	v_xor_b32_e32 v0, vcc_lo, v0
	v_and_b32_e32 v4, v4, v1
	v_and_b32_e32 v17, v17, v0
	v_lshlrev_b32_e32 v1, 29, v16
	v_mov_b32_e32 v0, v5
	v_cmp_gt_i64_e32 vcc, 0, v[0:1]
	v_not_b32_e32 v0, v1
	v_ashrrev_i32_e32 v0, 31, v0
	v_xor_b32_e32 v1, vcc_hi, v0
	v_xor_b32_e32 v0, vcc_lo, v0
	v_and_b32_e32 v4, v4, v1
	v_and_b32_e32 v17, v17, v0
	;; [unrolled: 9-line block ×6, first 2 shown]
	v_lshlrev_b32_e32 v1, 24, v16
	v_mov_b32_e32 v0, v5
	v_cmp_gt_i64_e32 vcc, 0, v[0:1]
	v_not_b32_e32 v0, v1
	v_ashrrev_i32_e32 v0, 31, v0
	v_xor_b32_e32 v1, vcc_hi, v0
	v_xor_b32_e32 v0, vcc_lo, v0
	; wave barrier
	ds_read_b32 v13, v14 offset:16
	v_and_b32_e32 v0, v17, v0
	v_and_b32_e32 v1, v4, v1
	v_mbcnt_lo_u32_b32 v4, v0, 0
	v_mbcnt_hi_u32_b32 v16, v1, v4
	v_cmp_eq_u32_e32 vcc, 0, v16
	v_cmp_ne_u64_e64 s[0:1], 0, v[0:1]
	s_and_b64 s[4:5], s[0:1], vcc
	; wave barrier
	s_and_saveexec_b64 s[0:1], s[4:5]
	s_cbranch_execz .LBB72_223
; %bb.222:
	v_bcnt_u32_b32 v0, v0, 0
	v_bcnt_u32_b32 v0, v1, v0
	s_waitcnt lgkmcnt(0)
	v_add_u32_e32 v0, v13, v0
	ds_write_b32 v14, v0 offset:16
.LBB72_223:
	s_or_b64 exec, exec, s[0:1]
	s_waitcnt vmcnt(15)
	v_xor_b32_e32 v15, 0xffff8000, v15
	v_lshrrev_b32_sdwa v0, s88, v15 dst_sel:DWORD dst_unused:UNUSED_PAD src0_sel:DWORD src1_sel:WORD_0
	v_and_b32_e32 v22, s9, v0
	v_and_b32_e32 v0, 1, v22
	v_mov_b32_e32 v1, 0
	v_lshl_add_u64 v[4:5], v[0:1], 0, -1
	v_cmp_ne_u32_e32 vcc, 0, v0
	v_mad_u32_u24 v18, v22, 20, v20
	s_nop 0
	v_xor_b32_e32 v4, vcc_lo, v4
	v_xor_b32_e32 v0, vcc_hi, v5
	v_and_b32_e32 v23, exec_lo, v4
	v_lshlrev_b32_e32 v5, 30, v22
	v_mov_b32_e32 v4, v1
	v_cmp_gt_i64_e32 vcc, 0, v[4:5]
	v_not_b32_e32 v4, v5
	v_ashrrev_i32_e32 v4, 31, v4
	v_and_b32_e32 v0, exec_hi, v0
	v_xor_b32_e32 v5, vcc_hi, v4
	v_xor_b32_e32 v4, vcc_lo, v4
	v_and_b32_e32 v0, v0, v5
	v_and_b32_e32 v23, v23, v4
	v_lshlrev_b32_e32 v5, 29, v22
	v_mov_b32_e32 v4, v1
	v_cmp_gt_i64_e32 vcc, 0, v[4:5]
	v_not_b32_e32 v4, v5
	v_ashrrev_i32_e32 v4, 31, v4
	v_xor_b32_e32 v5, vcc_hi, v4
	v_xor_b32_e32 v4, vcc_lo, v4
	v_and_b32_e32 v0, v0, v5
	v_and_b32_e32 v23, v23, v4
	v_lshlrev_b32_e32 v5, 28, v22
	v_mov_b32_e32 v4, v1
	v_cmp_gt_i64_e32 vcc, 0, v[4:5]
	v_not_b32_e32 v4, v5
	v_ashrrev_i32_e32 v4, 31, v4
	;; [unrolled: 9-line block ×6, first 2 shown]
	v_xor_b32_e32 v5, vcc_hi, v4
	v_xor_b32_e32 v4, vcc_lo, v4
	; wave barrier
	ds_read_b32 v17, v18 offset:16
	v_and_b32_e32 v4, v23, v4
	v_and_b32_e32 v5, v0, v5
	v_mbcnt_lo_u32_b32 v0, v4, 0
	v_mbcnt_hi_u32_b32 v22, v5, v0
	v_cmp_eq_u32_e32 vcc, 0, v22
	v_cmp_ne_u64_e64 s[0:1], 0, v[4:5]
	s_and_b64 s[4:5], s[0:1], vcc
	; wave barrier
	s_and_saveexec_b64 s[0:1], s[4:5]
	s_cbranch_execz .LBB72_225
; %bb.224:
	v_bcnt_u32_b32 v0, v4, 0
	v_bcnt_u32_b32 v0, v5, v0
	s_waitcnt lgkmcnt(0)
	v_add_u32_e32 v0, v17, v0
	ds_write_b32 v18, v0 offset:16
.LBB72_225:
	s_or_b64 exec, exec, s[0:1]
	s_waitcnt vmcnt(14)
	v_xor_b32_e32 v21, 0xffff8000, v21
	v_lshrrev_b32_sdwa v0, s88, v21 dst_sel:DWORD dst_unused:UNUSED_PAD src0_sel:DWORD src1_sel:WORD_0
	v_and_b32_e32 v27, s9, v0
	v_and_b32_e32 v0, 1, v27
	v_lshl_add_u64 v[4:5], v[0:1], 0, -1
	v_cmp_ne_u32_e32 vcc, 0, v0
	v_mad_u32_u24 v24, v27, 20, v20
	s_nop 0
	v_xor_b32_e32 v4, vcc_lo, v4
	v_xor_b32_e32 v0, vcc_hi, v5
	v_and_b32_e32 v28, exec_lo, v4
	v_lshlrev_b32_e32 v5, 30, v27
	v_mov_b32_e32 v4, v1
	v_cmp_gt_i64_e32 vcc, 0, v[4:5]
	v_not_b32_e32 v4, v5
	v_ashrrev_i32_e32 v4, 31, v4
	v_and_b32_e32 v0, exec_hi, v0
	v_xor_b32_e32 v5, vcc_hi, v4
	v_xor_b32_e32 v4, vcc_lo, v4
	v_and_b32_e32 v0, v0, v5
	v_and_b32_e32 v28, v28, v4
	v_lshlrev_b32_e32 v5, 29, v27
	v_mov_b32_e32 v4, v1
	v_cmp_gt_i64_e32 vcc, 0, v[4:5]
	v_not_b32_e32 v4, v5
	v_ashrrev_i32_e32 v4, 31, v4
	v_xor_b32_e32 v5, vcc_hi, v4
	v_xor_b32_e32 v4, vcc_lo, v4
	v_and_b32_e32 v0, v0, v5
	v_and_b32_e32 v28, v28, v4
	v_lshlrev_b32_e32 v5, 28, v27
	v_mov_b32_e32 v4, v1
	v_cmp_gt_i64_e32 vcc, 0, v[4:5]
	v_not_b32_e32 v4, v5
	v_ashrrev_i32_e32 v4, 31, v4
	;; [unrolled: 9-line block ×5, first 2 shown]
	v_xor_b32_e32 v5, vcc_hi, v4
	v_xor_b32_e32 v4, vcc_lo, v4
	v_and_b32_e32 v0, v0, v5
	v_lshlrev_b32_e32 v5, 24, v27
	v_and_b32_e32 v28, v28, v4
	v_mov_b32_e32 v4, v1
	v_not_b32_e32 v1, v5
	v_cmp_gt_i64_e32 vcc, 0, v[4:5]
	v_ashrrev_i32_e32 v1, 31, v1
	; wave barrier
	s_nop 0
	v_xor_b32_e32 v4, vcc_hi, v1
	v_xor_b32_e32 v5, vcc_lo, v1
	ds_read_b32 v23, v24 offset:16
	v_and_b32_e32 v1, v0, v4
	v_and_b32_e32 v0, v28, v5
	v_mbcnt_lo_u32_b32 v4, v0, 0
	v_mbcnt_hi_u32_b32 v27, v1, v4
	v_cmp_eq_u32_e32 vcc, 0, v27
	v_cmp_ne_u64_e64 s[0:1], 0, v[0:1]
	s_and_b64 s[4:5], s[0:1], vcc
	; wave barrier
	s_and_saveexec_b64 s[0:1], s[4:5]
	s_cbranch_execz .LBB72_227
; %bb.226:
	v_bcnt_u32_b32 v0, v0, 0
	v_bcnt_u32_b32 v0, v1, v0
	s_waitcnt lgkmcnt(0)
	v_add_u32_e32 v0, v23, v0
	ds_write_b32 v24, v0 offset:16
.LBB72_227:
	s_or_b64 exec, exec, s[0:1]
	s_waitcnt vmcnt(13)
	v_xor_b32_e32 v26, 0xffff8000, v26
	v_lshrrev_b32_sdwa v0, s88, v26 dst_sel:DWORD dst_unused:UNUSED_PAD src0_sel:DWORD src1_sel:WORD_0
	v_and_b32_e32 v32, s9, v0
	v_and_b32_e32 v0, 1, v32
	v_mov_b32_e32 v1, 0
	v_lshl_add_u64 v[4:5], v[0:1], 0, -1
	v_cmp_ne_u32_e32 vcc, 0, v0
	v_mad_u32_u24 v29, v32, 20, v20
	s_nop 0
	v_xor_b32_e32 v4, vcc_lo, v4
	v_xor_b32_e32 v0, vcc_hi, v5
	v_and_b32_e32 v33, exec_lo, v4
	v_lshlrev_b32_e32 v5, 30, v32
	v_mov_b32_e32 v4, v1
	v_cmp_gt_i64_e32 vcc, 0, v[4:5]
	v_not_b32_e32 v4, v5
	v_ashrrev_i32_e32 v4, 31, v4
	v_and_b32_e32 v0, exec_hi, v0
	v_xor_b32_e32 v5, vcc_hi, v4
	v_xor_b32_e32 v4, vcc_lo, v4
	v_and_b32_e32 v0, v0, v5
	v_and_b32_e32 v33, v33, v4
	v_lshlrev_b32_e32 v5, 29, v32
	v_mov_b32_e32 v4, v1
	v_cmp_gt_i64_e32 vcc, 0, v[4:5]
	v_not_b32_e32 v4, v5
	v_ashrrev_i32_e32 v4, 31, v4
	v_xor_b32_e32 v5, vcc_hi, v4
	v_xor_b32_e32 v4, vcc_lo, v4
	v_and_b32_e32 v0, v0, v5
	v_and_b32_e32 v33, v33, v4
	v_lshlrev_b32_e32 v5, 28, v32
	v_mov_b32_e32 v4, v1
	v_cmp_gt_i64_e32 vcc, 0, v[4:5]
	v_not_b32_e32 v4, v5
	v_ashrrev_i32_e32 v4, 31, v4
	;; [unrolled: 9-line block ×6, first 2 shown]
	v_xor_b32_e32 v5, vcc_hi, v4
	v_xor_b32_e32 v4, vcc_lo, v4
	; wave barrier
	ds_read_b32 v28, v29 offset:16
	v_and_b32_e32 v4, v33, v4
	v_and_b32_e32 v5, v0, v5
	v_mbcnt_lo_u32_b32 v0, v4, 0
	v_mbcnt_hi_u32_b32 v32, v5, v0
	v_cmp_eq_u32_e32 vcc, 0, v32
	v_cmp_ne_u64_e64 s[0:1], 0, v[4:5]
	s_and_b64 s[4:5], s[0:1], vcc
	; wave barrier
	s_and_saveexec_b64 s[0:1], s[4:5]
	s_cbranch_execz .LBB72_229
; %bb.228:
	v_bcnt_u32_b32 v0, v4, 0
	v_bcnt_u32_b32 v0, v5, v0
	s_waitcnt lgkmcnt(0)
	v_add_u32_e32 v0, v28, v0
	ds_write_b32 v29, v0 offset:16
.LBB72_229:
	s_or_b64 exec, exec, s[0:1]
	s_waitcnt vmcnt(12)
	v_xor_b32_e32 v31, 0xffff8000, v31
	v_lshrrev_b32_sdwa v0, s88, v31 dst_sel:DWORD dst_unused:UNUSED_PAD src0_sel:DWORD src1_sel:WORD_0
	v_and_b32_e32 v37, s9, v0
	v_and_b32_e32 v0, 1, v37
	v_lshl_add_u64 v[4:5], v[0:1], 0, -1
	v_cmp_ne_u32_e32 vcc, 0, v0
	v_mad_u32_u24 v34, v37, 20, v20
	s_nop 0
	v_xor_b32_e32 v4, vcc_lo, v4
	v_xor_b32_e32 v0, vcc_hi, v5
	v_and_b32_e32 v38, exec_lo, v4
	v_lshlrev_b32_e32 v5, 30, v37
	v_mov_b32_e32 v4, v1
	v_cmp_gt_i64_e32 vcc, 0, v[4:5]
	v_not_b32_e32 v4, v5
	v_ashrrev_i32_e32 v4, 31, v4
	v_and_b32_e32 v0, exec_hi, v0
	v_xor_b32_e32 v5, vcc_hi, v4
	v_xor_b32_e32 v4, vcc_lo, v4
	v_and_b32_e32 v0, v0, v5
	v_and_b32_e32 v38, v38, v4
	v_lshlrev_b32_e32 v5, 29, v37
	v_mov_b32_e32 v4, v1
	v_cmp_gt_i64_e32 vcc, 0, v[4:5]
	v_not_b32_e32 v4, v5
	v_ashrrev_i32_e32 v4, 31, v4
	v_xor_b32_e32 v5, vcc_hi, v4
	v_xor_b32_e32 v4, vcc_lo, v4
	v_and_b32_e32 v0, v0, v5
	v_and_b32_e32 v38, v38, v4
	v_lshlrev_b32_e32 v5, 28, v37
	v_mov_b32_e32 v4, v1
	v_cmp_gt_i64_e32 vcc, 0, v[4:5]
	v_not_b32_e32 v4, v5
	v_ashrrev_i32_e32 v4, 31, v4
	;; [unrolled: 9-line block ×5, first 2 shown]
	v_xor_b32_e32 v5, vcc_hi, v4
	v_xor_b32_e32 v4, vcc_lo, v4
	v_and_b32_e32 v0, v0, v5
	v_lshlrev_b32_e32 v5, 24, v37
	v_and_b32_e32 v38, v38, v4
	v_mov_b32_e32 v4, v1
	v_not_b32_e32 v1, v5
	v_cmp_gt_i64_e32 vcc, 0, v[4:5]
	v_ashrrev_i32_e32 v1, 31, v1
	; wave barrier
	s_nop 0
	v_xor_b32_e32 v4, vcc_hi, v1
	v_xor_b32_e32 v5, vcc_lo, v1
	ds_read_b32 v33, v34 offset:16
	v_and_b32_e32 v1, v0, v4
	v_and_b32_e32 v0, v38, v5
	v_mbcnt_lo_u32_b32 v4, v0, 0
	v_mbcnt_hi_u32_b32 v37, v1, v4
	v_cmp_eq_u32_e32 vcc, 0, v37
	v_cmp_ne_u64_e64 s[0:1], 0, v[0:1]
	s_and_b64 s[4:5], s[0:1], vcc
	; wave barrier
	s_and_saveexec_b64 s[0:1], s[4:5]
	s_cbranch_execz .LBB72_231
; %bb.230:
	v_bcnt_u32_b32 v0, v0, 0
	v_bcnt_u32_b32 v0, v1, v0
	s_waitcnt lgkmcnt(0)
	v_add_u32_e32 v0, v33, v0
	ds_write_b32 v34, v0 offset:16
.LBB72_231:
	s_or_b64 exec, exec, s[0:1]
	s_waitcnt vmcnt(11)
	v_xor_b32_e32 v36, 0xffff8000, v36
	v_lshrrev_b32_sdwa v0, s88, v36 dst_sel:DWORD dst_unused:UNUSED_PAD src0_sel:DWORD src1_sel:WORD_0
	v_and_b32_e32 v42, s9, v0
	v_and_b32_e32 v0, 1, v42
	v_mov_b32_e32 v1, 0
	v_lshl_add_u64 v[4:5], v[0:1], 0, -1
	v_cmp_ne_u32_e32 vcc, 0, v0
	v_mad_u32_u24 v39, v42, 20, v20
	s_nop 0
	v_xor_b32_e32 v4, vcc_lo, v4
	v_xor_b32_e32 v0, vcc_hi, v5
	v_and_b32_e32 v43, exec_lo, v4
	v_lshlrev_b32_e32 v5, 30, v42
	v_mov_b32_e32 v4, v1
	v_cmp_gt_i64_e32 vcc, 0, v[4:5]
	v_not_b32_e32 v4, v5
	v_ashrrev_i32_e32 v4, 31, v4
	v_and_b32_e32 v0, exec_hi, v0
	v_xor_b32_e32 v5, vcc_hi, v4
	v_xor_b32_e32 v4, vcc_lo, v4
	v_and_b32_e32 v0, v0, v5
	v_and_b32_e32 v43, v43, v4
	v_lshlrev_b32_e32 v5, 29, v42
	v_mov_b32_e32 v4, v1
	v_cmp_gt_i64_e32 vcc, 0, v[4:5]
	v_not_b32_e32 v4, v5
	v_ashrrev_i32_e32 v4, 31, v4
	v_xor_b32_e32 v5, vcc_hi, v4
	v_xor_b32_e32 v4, vcc_lo, v4
	v_and_b32_e32 v0, v0, v5
	v_and_b32_e32 v43, v43, v4
	v_lshlrev_b32_e32 v5, 28, v42
	v_mov_b32_e32 v4, v1
	v_cmp_gt_i64_e32 vcc, 0, v[4:5]
	v_not_b32_e32 v4, v5
	v_ashrrev_i32_e32 v4, 31, v4
	v_xor_b32_e32 v5, vcc_hi, v4
	v_xor_b32_e32 v4, vcc_lo, v4
	v_and_b32_e32 v0, v0, v5
	v_and_b32_e32 v43, v43, v4
	v_lshlrev_b32_e32 v5, 27, v42
	v_mov_b32_e32 v4, v1
	v_cmp_gt_i64_e32 vcc, 0, v[4:5]
	v_not_b32_e32 v4, v5
	v_ashrrev_i32_e32 v4, 31, v4
	v_xor_b32_e32 v5, vcc_hi, v4
	v_xor_b32_e32 v4, vcc_lo, v4
	v_and_b32_e32 v0, v0, v5
	v_and_b32_e32 v43, v43, v4
	v_lshlrev_b32_e32 v5, 26, v42
	v_mov_b32_e32 v4, v1
	v_cmp_gt_i64_e32 vcc, 0, v[4:5]
	v_not_b32_e32 v4, v5
	v_ashrrev_i32_e32 v4, 31, v4
	v_xor_b32_e32 v5, vcc_hi, v4
	v_xor_b32_e32 v4, vcc_lo, v4
	v_and_b32_e32 v0, v0, v5
	v_and_b32_e32 v43, v43, v4
	v_lshlrev_b32_e32 v5, 25, v42
	v_mov_b32_e32 v4, v1
	v_cmp_gt_i64_e32 vcc, 0, v[4:5]
	v_not_b32_e32 v4, v5
	v_ashrrev_i32_e32 v4, 31, v4
	v_xor_b32_e32 v5, vcc_hi, v4
	v_xor_b32_e32 v4, vcc_lo, v4
	v_and_b32_e32 v0, v0, v5
	v_and_b32_e32 v43, v43, v4
	v_lshlrev_b32_e32 v5, 24, v42
	v_mov_b32_e32 v4, v1
	v_cmp_gt_i64_e32 vcc, 0, v[4:5]
	v_not_b32_e32 v4, v5
	v_ashrrev_i32_e32 v4, 31, v4
	v_xor_b32_e32 v5, vcc_hi, v4
	v_xor_b32_e32 v4, vcc_lo, v4
	; wave barrier
	ds_read_b32 v38, v39 offset:16
	v_and_b32_e32 v4, v43, v4
	v_and_b32_e32 v5, v0, v5
	v_mbcnt_lo_u32_b32 v0, v4, 0
	v_mbcnt_hi_u32_b32 v42, v5, v0
	v_cmp_eq_u32_e32 vcc, 0, v42
	v_cmp_ne_u64_e64 s[0:1], 0, v[4:5]
	s_and_b64 s[4:5], s[0:1], vcc
	; wave barrier
	s_and_saveexec_b64 s[0:1], s[4:5]
	s_cbranch_execz .LBB72_233
; %bb.232:
	v_bcnt_u32_b32 v0, v4, 0
	v_bcnt_u32_b32 v0, v5, v0
	s_waitcnt lgkmcnt(0)
	v_add_u32_e32 v0, v38, v0
	ds_write_b32 v39, v0 offset:16
.LBB72_233:
	s_or_b64 exec, exec, s[0:1]
	s_waitcnt vmcnt(10)
	v_xor_b32_e32 v41, 0xffff8000, v41
	v_lshrrev_b32_sdwa v0, s88, v41 dst_sel:DWORD dst_unused:UNUSED_PAD src0_sel:DWORD src1_sel:WORD_0
	v_and_b32_e32 v47, s9, v0
	v_and_b32_e32 v0, 1, v47
	v_lshl_add_u64 v[4:5], v[0:1], 0, -1
	v_cmp_ne_u32_e32 vcc, 0, v0
	v_mad_u32_u24 v45, v47, 20, v20
	s_nop 0
	v_xor_b32_e32 v4, vcc_lo, v4
	v_xor_b32_e32 v0, vcc_hi, v5
	v_and_b32_e32 v48, exec_lo, v4
	v_lshlrev_b32_e32 v5, 30, v47
	v_mov_b32_e32 v4, v1
	v_cmp_gt_i64_e32 vcc, 0, v[4:5]
	v_not_b32_e32 v4, v5
	v_ashrrev_i32_e32 v4, 31, v4
	v_and_b32_e32 v0, exec_hi, v0
	v_xor_b32_e32 v5, vcc_hi, v4
	v_xor_b32_e32 v4, vcc_lo, v4
	v_and_b32_e32 v0, v0, v5
	v_and_b32_e32 v48, v48, v4
	v_lshlrev_b32_e32 v5, 29, v47
	v_mov_b32_e32 v4, v1
	v_cmp_gt_i64_e32 vcc, 0, v[4:5]
	v_not_b32_e32 v4, v5
	v_ashrrev_i32_e32 v4, 31, v4
	v_xor_b32_e32 v5, vcc_hi, v4
	v_xor_b32_e32 v4, vcc_lo, v4
	v_and_b32_e32 v0, v0, v5
	v_and_b32_e32 v48, v48, v4
	v_lshlrev_b32_e32 v5, 28, v47
	v_mov_b32_e32 v4, v1
	v_cmp_gt_i64_e32 vcc, 0, v[4:5]
	v_not_b32_e32 v4, v5
	v_ashrrev_i32_e32 v4, 31, v4
	v_xor_b32_e32 v5, vcc_hi, v4
	v_xor_b32_e32 v4, vcc_lo, v4
	v_and_b32_e32 v0, v0, v5
	v_and_b32_e32 v48, v48, v4
	v_lshlrev_b32_e32 v5, 27, v47
	v_mov_b32_e32 v4, v1
	v_cmp_gt_i64_e32 vcc, 0, v[4:5]
	v_not_b32_e32 v4, v5
	v_ashrrev_i32_e32 v4, 31, v4
	v_xor_b32_e32 v5, vcc_hi, v4
	v_xor_b32_e32 v4, vcc_lo, v4
	v_and_b32_e32 v0, v0, v5
	v_and_b32_e32 v48, v48, v4
	v_lshlrev_b32_e32 v5, 26, v47
	v_mov_b32_e32 v4, v1
	v_cmp_gt_i64_e32 vcc, 0, v[4:5]
	v_not_b32_e32 v4, v5
	v_ashrrev_i32_e32 v4, 31, v4
	v_xor_b32_e32 v5, vcc_hi, v4
	v_xor_b32_e32 v4, vcc_lo, v4
	v_and_b32_e32 v0, v0, v5
	v_and_b32_e32 v48, v48, v4
	v_lshlrev_b32_e32 v5, 25, v47
	v_mov_b32_e32 v4, v1
	v_cmp_gt_i64_e32 vcc, 0, v[4:5]
	v_not_b32_e32 v4, v5
	v_ashrrev_i32_e32 v4, 31, v4
	v_xor_b32_e32 v5, vcc_hi, v4
	v_xor_b32_e32 v4, vcc_lo, v4
	v_and_b32_e32 v0, v0, v5
	v_lshlrev_b32_e32 v5, 24, v47
	v_and_b32_e32 v48, v48, v4
	v_mov_b32_e32 v4, v1
	v_not_b32_e32 v1, v5
	v_cmp_gt_i64_e32 vcc, 0, v[4:5]
	v_ashrrev_i32_e32 v1, 31, v1
	; wave barrier
	s_nop 0
	v_xor_b32_e32 v4, vcc_hi, v1
	v_xor_b32_e32 v5, vcc_lo, v1
	ds_read_b32 v43, v45 offset:16
	v_and_b32_e32 v1, v0, v4
	v_and_b32_e32 v0, v48, v5
	v_mbcnt_lo_u32_b32 v4, v0, 0
	v_mbcnt_hi_u32_b32 v47, v1, v4
	v_cmp_eq_u32_e32 vcc, 0, v47
	v_cmp_ne_u64_e64 s[0:1], 0, v[0:1]
	s_and_b64 s[4:5], s[0:1], vcc
	; wave barrier
	s_and_saveexec_b64 s[0:1], s[4:5]
	s_cbranch_execz .LBB72_235
; %bb.234:
	v_bcnt_u32_b32 v0, v0, 0
	v_bcnt_u32_b32 v0, v1, v0
	s_waitcnt lgkmcnt(0)
	v_add_u32_e32 v0, v43, v0
	ds_write_b32 v45, v0 offset:16
.LBB72_235:
	s_or_b64 exec, exec, s[0:1]
	s_waitcnt vmcnt(9)
	v_xor_b32_e32 v46, 0xffff8000, v46
	v_lshrrev_b32_sdwa v0, s88, v46 dst_sel:DWORD dst_unused:UNUSED_PAD src0_sel:DWORD src1_sel:WORD_0
	v_and_b32_e32 v52, s9, v0
	v_and_b32_e32 v0, 1, v52
	v_mov_b32_e32 v1, 0
	v_lshl_add_u64 v[4:5], v[0:1], 0, -1
	v_cmp_ne_u32_e32 vcc, 0, v0
	v_mad_u32_u24 v50, v52, 20, v20
	s_nop 0
	v_xor_b32_e32 v4, vcc_lo, v4
	v_xor_b32_e32 v0, vcc_hi, v5
	v_and_b32_e32 v53, exec_lo, v4
	v_lshlrev_b32_e32 v5, 30, v52
	v_mov_b32_e32 v4, v1
	v_cmp_gt_i64_e32 vcc, 0, v[4:5]
	v_not_b32_e32 v4, v5
	v_ashrrev_i32_e32 v4, 31, v4
	v_and_b32_e32 v0, exec_hi, v0
	v_xor_b32_e32 v5, vcc_hi, v4
	v_xor_b32_e32 v4, vcc_lo, v4
	v_and_b32_e32 v0, v0, v5
	v_and_b32_e32 v53, v53, v4
	v_lshlrev_b32_e32 v5, 29, v52
	v_mov_b32_e32 v4, v1
	v_cmp_gt_i64_e32 vcc, 0, v[4:5]
	v_not_b32_e32 v4, v5
	v_ashrrev_i32_e32 v4, 31, v4
	v_xor_b32_e32 v5, vcc_hi, v4
	v_xor_b32_e32 v4, vcc_lo, v4
	v_and_b32_e32 v0, v0, v5
	v_and_b32_e32 v53, v53, v4
	v_lshlrev_b32_e32 v5, 28, v52
	v_mov_b32_e32 v4, v1
	v_cmp_gt_i64_e32 vcc, 0, v[4:5]
	v_not_b32_e32 v4, v5
	v_ashrrev_i32_e32 v4, 31, v4
	;; [unrolled: 9-line block ×6, first 2 shown]
	v_xor_b32_e32 v5, vcc_hi, v4
	v_xor_b32_e32 v4, vcc_lo, v4
	; wave barrier
	ds_read_b32 v48, v50 offset:16
	v_and_b32_e32 v4, v53, v4
	v_and_b32_e32 v5, v0, v5
	v_mbcnt_lo_u32_b32 v0, v4, 0
	v_mbcnt_hi_u32_b32 v52, v5, v0
	v_cmp_eq_u32_e32 vcc, 0, v52
	v_cmp_ne_u64_e64 s[0:1], 0, v[4:5]
	s_and_b64 s[4:5], s[0:1], vcc
	; wave barrier
	s_and_saveexec_b64 s[0:1], s[4:5]
	s_cbranch_execz .LBB72_237
; %bb.236:
	v_bcnt_u32_b32 v0, v4, 0
	v_bcnt_u32_b32 v0, v5, v0
	s_waitcnt lgkmcnt(0)
	v_add_u32_e32 v0, v48, v0
	ds_write_b32 v50, v0 offset:16
.LBB72_237:
	s_or_b64 exec, exec, s[0:1]
	s_waitcnt vmcnt(8)
	v_xor_b32_e32 v51, 0xffff8000, v51
	v_lshrrev_b32_sdwa v0, s88, v51 dst_sel:DWORD dst_unused:UNUSED_PAD src0_sel:DWORD src1_sel:WORD_0
	v_and_b32_e32 v56, s9, v0
	v_and_b32_e32 v0, 1, v56
	v_lshl_add_u64 v[4:5], v[0:1], 0, -1
	v_cmp_ne_u32_e32 vcc, 0, v0
	v_mad_u32_u24 v55, v56, 20, v20
	s_nop 0
	v_xor_b32_e32 v4, vcc_lo, v4
	v_xor_b32_e32 v0, vcc_hi, v5
	v_and_b32_e32 v57, exec_lo, v4
	v_lshlrev_b32_e32 v5, 30, v56
	v_mov_b32_e32 v4, v1
	v_cmp_gt_i64_e32 vcc, 0, v[4:5]
	v_not_b32_e32 v4, v5
	v_ashrrev_i32_e32 v4, 31, v4
	v_and_b32_e32 v0, exec_hi, v0
	v_xor_b32_e32 v5, vcc_hi, v4
	v_xor_b32_e32 v4, vcc_lo, v4
	v_and_b32_e32 v0, v0, v5
	v_and_b32_e32 v57, v57, v4
	v_lshlrev_b32_e32 v5, 29, v56
	v_mov_b32_e32 v4, v1
	v_cmp_gt_i64_e32 vcc, 0, v[4:5]
	v_not_b32_e32 v4, v5
	v_ashrrev_i32_e32 v4, 31, v4
	v_xor_b32_e32 v5, vcc_hi, v4
	v_xor_b32_e32 v4, vcc_lo, v4
	v_and_b32_e32 v0, v0, v5
	v_and_b32_e32 v57, v57, v4
	v_lshlrev_b32_e32 v5, 28, v56
	v_mov_b32_e32 v4, v1
	v_cmp_gt_i64_e32 vcc, 0, v[4:5]
	v_not_b32_e32 v4, v5
	v_ashrrev_i32_e32 v4, 31, v4
	;; [unrolled: 9-line block ×5, first 2 shown]
	v_xor_b32_e32 v5, vcc_hi, v4
	v_xor_b32_e32 v4, vcc_lo, v4
	v_and_b32_e32 v0, v0, v5
	v_lshlrev_b32_e32 v5, 24, v56
	v_and_b32_e32 v57, v57, v4
	v_mov_b32_e32 v4, v1
	v_not_b32_e32 v1, v5
	v_cmp_gt_i64_e32 vcc, 0, v[4:5]
	v_ashrrev_i32_e32 v1, 31, v1
	; wave barrier
	s_nop 0
	v_xor_b32_e32 v4, vcc_hi, v1
	v_xor_b32_e32 v5, vcc_lo, v1
	ds_read_b32 v53, v55 offset:16
	v_and_b32_e32 v1, v0, v4
	v_and_b32_e32 v0, v57, v5
	v_mbcnt_lo_u32_b32 v4, v0, 0
	v_mbcnt_hi_u32_b32 v56, v1, v4
	v_cmp_eq_u32_e32 vcc, 0, v56
	v_cmp_ne_u64_e64 s[0:1], 0, v[0:1]
	s_and_b64 s[4:5], s[0:1], vcc
	; wave barrier
	s_and_saveexec_b64 s[0:1], s[4:5]
	s_cbranch_execz .LBB72_239
; %bb.238:
	v_bcnt_u32_b32 v0, v0, 0
	v_bcnt_u32_b32 v0, v1, v0
	s_waitcnt lgkmcnt(0)
	v_add_u32_e32 v0, v53, v0
	ds_write_b32 v55, v0 offset:16
.LBB72_239:
	s_or_b64 exec, exec, s[0:1]
	s_waitcnt vmcnt(7)
	v_xor_b32_e32 v54, 0xffff8000, v54
	v_lshrrev_b32_sdwa v0, s88, v54 dst_sel:DWORD dst_unused:UNUSED_PAD src0_sel:DWORD src1_sel:WORD_0
	v_and_b32_e32 v59, s9, v0
	v_and_b32_e32 v0, 1, v59
	v_mov_b32_e32 v1, 0
	v_lshl_add_u64 v[4:5], v[0:1], 0, -1
	v_cmp_ne_u32_e32 vcc, 0, v0
	v_mad_u32_u24 v58, v59, 20, v20
	s_nop 0
	v_xor_b32_e32 v4, vcc_lo, v4
	v_xor_b32_e32 v0, vcc_hi, v5
	v_and_b32_e32 v60, exec_lo, v4
	v_lshlrev_b32_e32 v5, 30, v59
	v_mov_b32_e32 v4, v1
	v_cmp_gt_i64_e32 vcc, 0, v[4:5]
	v_not_b32_e32 v4, v5
	v_ashrrev_i32_e32 v4, 31, v4
	v_and_b32_e32 v0, exec_hi, v0
	v_xor_b32_e32 v5, vcc_hi, v4
	v_xor_b32_e32 v4, vcc_lo, v4
	v_and_b32_e32 v0, v0, v5
	v_and_b32_e32 v60, v60, v4
	v_lshlrev_b32_e32 v5, 29, v59
	v_mov_b32_e32 v4, v1
	v_cmp_gt_i64_e32 vcc, 0, v[4:5]
	v_not_b32_e32 v4, v5
	v_ashrrev_i32_e32 v4, 31, v4
	v_xor_b32_e32 v5, vcc_hi, v4
	v_xor_b32_e32 v4, vcc_lo, v4
	v_and_b32_e32 v0, v0, v5
	v_and_b32_e32 v60, v60, v4
	v_lshlrev_b32_e32 v5, 28, v59
	v_mov_b32_e32 v4, v1
	v_cmp_gt_i64_e32 vcc, 0, v[4:5]
	v_not_b32_e32 v4, v5
	v_ashrrev_i32_e32 v4, 31, v4
	;; [unrolled: 9-line block ×6, first 2 shown]
	v_xor_b32_e32 v5, vcc_hi, v4
	v_xor_b32_e32 v4, vcc_lo, v4
	; wave barrier
	ds_read_b32 v57, v58 offset:16
	v_and_b32_e32 v4, v60, v4
	v_and_b32_e32 v5, v0, v5
	v_mbcnt_lo_u32_b32 v0, v4, 0
	v_mbcnt_hi_u32_b32 v59, v5, v0
	v_cmp_eq_u32_e32 vcc, 0, v59
	v_cmp_ne_u64_e64 s[0:1], 0, v[4:5]
	s_and_b64 s[4:5], s[0:1], vcc
	; wave barrier
	s_and_saveexec_b64 s[0:1], s[4:5]
	s_cbranch_execz .LBB72_241
; %bb.240:
	v_bcnt_u32_b32 v0, v4, 0
	v_bcnt_u32_b32 v0, v5, v0
	s_waitcnt lgkmcnt(0)
	v_add_u32_e32 v0, v57, v0
	ds_write_b32 v58, v0 offset:16
.LBB72_241:
	s_or_b64 exec, exec, s[0:1]
	s_waitcnt vmcnt(6)
	v_xor_b32_e32 v49, 0xffff8000, v49
	v_lshrrev_b32_sdwa v0, s88, v49 dst_sel:DWORD dst_unused:UNUSED_PAD src0_sel:DWORD src1_sel:WORD_0
	v_and_b32_e32 v62, s9, v0
	v_and_b32_e32 v0, 1, v62
	v_lshl_add_u64 v[4:5], v[0:1], 0, -1
	v_cmp_ne_u32_e32 vcc, 0, v0
	v_mad_u32_u24 v61, v62, 20, v20
	s_nop 0
	v_xor_b32_e32 v4, vcc_lo, v4
	v_xor_b32_e32 v0, vcc_hi, v5
	v_and_b32_e32 v63, exec_lo, v4
	v_lshlrev_b32_e32 v5, 30, v62
	v_mov_b32_e32 v4, v1
	v_cmp_gt_i64_e32 vcc, 0, v[4:5]
	v_not_b32_e32 v4, v5
	v_ashrrev_i32_e32 v4, 31, v4
	v_and_b32_e32 v0, exec_hi, v0
	v_xor_b32_e32 v5, vcc_hi, v4
	v_xor_b32_e32 v4, vcc_lo, v4
	v_and_b32_e32 v0, v0, v5
	v_and_b32_e32 v63, v63, v4
	v_lshlrev_b32_e32 v5, 29, v62
	v_mov_b32_e32 v4, v1
	v_cmp_gt_i64_e32 vcc, 0, v[4:5]
	v_not_b32_e32 v4, v5
	v_ashrrev_i32_e32 v4, 31, v4
	v_xor_b32_e32 v5, vcc_hi, v4
	v_xor_b32_e32 v4, vcc_lo, v4
	v_and_b32_e32 v0, v0, v5
	v_and_b32_e32 v63, v63, v4
	v_lshlrev_b32_e32 v5, 28, v62
	v_mov_b32_e32 v4, v1
	v_cmp_gt_i64_e32 vcc, 0, v[4:5]
	v_not_b32_e32 v4, v5
	v_ashrrev_i32_e32 v4, 31, v4
	v_xor_b32_e32 v5, vcc_hi, v4
	v_xor_b32_e32 v4, vcc_lo, v4
	v_and_b32_e32 v0, v0, v5
	v_and_b32_e32 v63, v63, v4
	v_lshlrev_b32_e32 v5, 27, v62
	v_mov_b32_e32 v4, v1
	v_cmp_gt_i64_e32 vcc, 0, v[4:5]
	v_not_b32_e32 v4, v5
	v_ashrrev_i32_e32 v4, 31, v4
	v_xor_b32_e32 v5, vcc_hi, v4
	v_xor_b32_e32 v4, vcc_lo, v4
	v_and_b32_e32 v0, v0, v5
	v_and_b32_e32 v63, v63, v4
	v_lshlrev_b32_e32 v5, 26, v62
	v_mov_b32_e32 v4, v1
	v_cmp_gt_i64_e32 vcc, 0, v[4:5]
	v_not_b32_e32 v4, v5
	v_ashrrev_i32_e32 v4, 31, v4
	v_xor_b32_e32 v5, vcc_hi, v4
	v_xor_b32_e32 v4, vcc_lo, v4
	v_and_b32_e32 v0, v0, v5
	v_and_b32_e32 v63, v63, v4
	v_lshlrev_b32_e32 v5, 25, v62
	v_mov_b32_e32 v4, v1
	v_cmp_gt_i64_e32 vcc, 0, v[4:5]
	v_not_b32_e32 v4, v5
	v_ashrrev_i32_e32 v4, 31, v4
	v_xor_b32_e32 v5, vcc_hi, v4
	v_xor_b32_e32 v4, vcc_lo, v4
	v_and_b32_e32 v0, v0, v5
	v_lshlrev_b32_e32 v5, 24, v62
	v_and_b32_e32 v63, v63, v4
	v_mov_b32_e32 v4, v1
	v_not_b32_e32 v1, v5
	v_cmp_gt_i64_e32 vcc, 0, v[4:5]
	v_ashrrev_i32_e32 v1, 31, v1
	; wave barrier
	s_nop 0
	v_xor_b32_e32 v4, vcc_hi, v1
	v_xor_b32_e32 v5, vcc_lo, v1
	ds_read_b32 v60, v61 offset:16
	v_and_b32_e32 v1, v0, v4
	v_and_b32_e32 v0, v63, v5
	v_mbcnt_lo_u32_b32 v4, v0, 0
	v_mbcnt_hi_u32_b32 v62, v1, v4
	v_cmp_eq_u32_e32 vcc, 0, v62
	v_cmp_ne_u64_e64 s[0:1], 0, v[0:1]
	s_and_b64 s[4:5], s[0:1], vcc
	; wave barrier
	s_and_saveexec_b64 s[0:1], s[4:5]
	s_cbranch_execz .LBB72_243
; %bb.242:
	v_bcnt_u32_b32 v0, v0, 0
	v_bcnt_u32_b32 v0, v1, v0
	s_waitcnt lgkmcnt(0)
	v_add_u32_e32 v0, v60, v0
	ds_write_b32 v61, v0 offset:16
.LBB72_243:
	s_or_b64 exec, exec, s[0:1]
	s_waitcnt vmcnt(5)
	v_xor_b32_e32 v44, 0xffff8000, v44
	v_lshrrev_b32_sdwa v0, s88, v44 dst_sel:DWORD dst_unused:UNUSED_PAD src0_sel:DWORD src1_sel:WORD_0
	v_and_b32_e32 v65, s9, v0
	v_and_b32_e32 v0, 1, v65
	v_mov_b32_e32 v1, 0
	v_lshl_add_u64 v[4:5], v[0:1], 0, -1
	v_cmp_ne_u32_e32 vcc, 0, v0
	v_mad_u32_u24 v64, v65, 20, v20
	s_nop 0
	v_xor_b32_e32 v4, vcc_lo, v4
	v_xor_b32_e32 v0, vcc_hi, v5
	v_and_b32_e32 v66, exec_lo, v4
	v_lshlrev_b32_e32 v5, 30, v65
	v_mov_b32_e32 v4, v1
	v_cmp_gt_i64_e32 vcc, 0, v[4:5]
	v_not_b32_e32 v4, v5
	v_ashrrev_i32_e32 v4, 31, v4
	v_and_b32_e32 v0, exec_hi, v0
	v_xor_b32_e32 v5, vcc_hi, v4
	v_xor_b32_e32 v4, vcc_lo, v4
	v_and_b32_e32 v0, v0, v5
	v_and_b32_e32 v66, v66, v4
	v_lshlrev_b32_e32 v5, 29, v65
	v_mov_b32_e32 v4, v1
	v_cmp_gt_i64_e32 vcc, 0, v[4:5]
	v_not_b32_e32 v4, v5
	v_ashrrev_i32_e32 v4, 31, v4
	v_xor_b32_e32 v5, vcc_hi, v4
	v_xor_b32_e32 v4, vcc_lo, v4
	v_and_b32_e32 v0, v0, v5
	v_and_b32_e32 v66, v66, v4
	v_lshlrev_b32_e32 v5, 28, v65
	v_mov_b32_e32 v4, v1
	v_cmp_gt_i64_e32 vcc, 0, v[4:5]
	v_not_b32_e32 v4, v5
	v_ashrrev_i32_e32 v4, 31, v4
	;; [unrolled: 9-line block ×6, first 2 shown]
	v_xor_b32_e32 v5, vcc_hi, v4
	v_xor_b32_e32 v4, vcc_lo, v4
	; wave barrier
	ds_read_b32 v63, v64 offset:16
	v_and_b32_e32 v4, v66, v4
	v_and_b32_e32 v5, v0, v5
	v_mbcnt_lo_u32_b32 v0, v4, 0
	v_mbcnt_hi_u32_b32 v65, v5, v0
	v_cmp_eq_u32_e32 vcc, 0, v65
	v_cmp_ne_u64_e64 s[0:1], 0, v[4:5]
	s_and_b64 s[4:5], s[0:1], vcc
	; wave barrier
	s_and_saveexec_b64 s[0:1], s[4:5]
	s_cbranch_execz .LBB72_245
; %bb.244:
	v_bcnt_u32_b32 v0, v4, 0
	v_bcnt_u32_b32 v0, v5, v0
	s_waitcnt lgkmcnt(0)
	v_add_u32_e32 v0, v63, v0
	ds_write_b32 v64, v0 offset:16
.LBB72_245:
	s_or_b64 exec, exec, s[0:1]
	s_waitcnt vmcnt(4)
	v_xor_b32_e32 v40, 0xffff8000, v40
	v_lshrrev_b32_sdwa v0, s88, v40 dst_sel:DWORD dst_unused:UNUSED_PAD src0_sel:DWORD src1_sel:WORD_0
	v_and_b32_e32 v68, s9, v0
	v_and_b32_e32 v0, 1, v68
	v_lshl_add_u64 v[4:5], v[0:1], 0, -1
	v_cmp_ne_u32_e32 vcc, 0, v0
	v_mad_u32_u24 v67, v68, 20, v20
	s_nop 0
	v_xor_b32_e32 v4, vcc_lo, v4
	v_xor_b32_e32 v0, vcc_hi, v5
	v_and_b32_e32 v69, exec_lo, v4
	v_lshlrev_b32_e32 v5, 30, v68
	v_mov_b32_e32 v4, v1
	v_cmp_gt_i64_e32 vcc, 0, v[4:5]
	v_not_b32_e32 v4, v5
	v_ashrrev_i32_e32 v4, 31, v4
	v_and_b32_e32 v0, exec_hi, v0
	v_xor_b32_e32 v5, vcc_hi, v4
	v_xor_b32_e32 v4, vcc_lo, v4
	v_and_b32_e32 v0, v0, v5
	v_and_b32_e32 v69, v69, v4
	v_lshlrev_b32_e32 v5, 29, v68
	v_mov_b32_e32 v4, v1
	v_cmp_gt_i64_e32 vcc, 0, v[4:5]
	v_not_b32_e32 v4, v5
	v_ashrrev_i32_e32 v4, 31, v4
	v_xor_b32_e32 v5, vcc_hi, v4
	v_xor_b32_e32 v4, vcc_lo, v4
	v_and_b32_e32 v0, v0, v5
	v_and_b32_e32 v69, v69, v4
	v_lshlrev_b32_e32 v5, 28, v68
	v_mov_b32_e32 v4, v1
	v_cmp_gt_i64_e32 vcc, 0, v[4:5]
	v_not_b32_e32 v4, v5
	v_ashrrev_i32_e32 v4, 31, v4
	;; [unrolled: 9-line block ×5, first 2 shown]
	v_xor_b32_e32 v5, vcc_hi, v4
	v_xor_b32_e32 v4, vcc_lo, v4
	v_and_b32_e32 v0, v0, v5
	v_lshlrev_b32_e32 v5, 24, v68
	v_and_b32_e32 v69, v69, v4
	v_mov_b32_e32 v4, v1
	v_not_b32_e32 v1, v5
	v_cmp_gt_i64_e32 vcc, 0, v[4:5]
	v_ashrrev_i32_e32 v1, 31, v1
	; wave barrier
	s_nop 0
	v_xor_b32_e32 v4, vcc_hi, v1
	v_xor_b32_e32 v5, vcc_lo, v1
	ds_read_b32 v66, v67 offset:16
	v_and_b32_e32 v1, v0, v4
	v_and_b32_e32 v0, v69, v5
	v_mbcnt_lo_u32_b32 v4, v0, 0
	v_mbcnt_hi_u32_b32 v68, v1, v4
	v_cmp_eq_u32_e32 vcc, 0, v68
	v_cmp_ne_u64_e64 s[0:1], 0, v[0:1]
	s_and_b64 s[4:5], s[0:1], vcc
	; wave barrier
	s_and_saveexec_b64 s[0:1], s[4:5]
	s_cbranch_execz .LBB72_247
; %bb.246:
	v_bcnt_u32_b32 v0, v0, 0
	v_bcnt_u32_b32 v0, v1, v0
	s_waitcnt lgkmcnt(0)
	v_add_u32_e32 v0, v66, v0
	ds_write_b32 v67, v0 offset:16
.LBB72_247:
	s_or_b64 exec, exec, s[0:1]
	s_waitcnt vmcnt(3)
	v_xor_b32_e32 v35, 0xffff8000, v35
	v_lshrrev_b32_sdwa v0, s88, v35 dst_sel:DWORD dst_unused:UNUSED_PAD src0_sel:DWORD src1_sel:WORD_0
	v_and_b32_e32 v71, s9, v0
	v_and_b32_e32 v0, 1, v71
	v_mov_b32_e32 v1, 0
	v_lshl_add_u64 v[4:5], v[0:1], 0, -1
	v_cmp_ne_u32_e32 vcc, 0, v0
	v_mad_u32_u24 v70, v71, 20, v20
	s_nop 0
	v_xor_b32_e32 v4, vcc_lo, v4
	v_xor_b32_e32 v0, vcc_hi, v5
	v_and_b32_e32 v72, exec_lo, v4
	v_lshlrev_b32_e32 v5, 30, v71
	v_mov_b32_e32 v4, v1
	v_cmp_gt_i64_e32 vcc, 0, v[4:5]
	v_not_b32_e32 v4, v5
	v_ashrrev_i32_e32 v4, 31, v4
	v_and_b32_e32 v0, exec_hi, v0
	v_xor_b32_e32 v5, vcc_hi, v4
	v_xor_b32_e32 v4, vcc_lo, v4
	v_and_b32_e32 v0, v0, v5
	v_and_b32_e32 v72, v72, v4
	v_lshlrev_b32_e32 v5, 29, v71
	v_mov_b32_e32 v4, v1
	v_cmp_gt_i64_e32 vcc, 0, v[4:5]
	v_not_b32_e32 v4, v5
	v_ashrrev_i32_e32 v4, 31, v4
	v_xor_b32_e32 v5, vcc_hi, v4
	v_xor_b32_e32 v4, vcc_lo, v4
	v_and_b32_e32 v0, v0, v5
	v_and_b32_e32 v72, v72, v4
	v_lshlrev_b32_e32 v5, 28, v71
	v_mov_b32_e32 v4, v1
	v_cmp_gt_i64_e32 vcc, 0, v[4:5]
	v_not_b32_e32 v4, v5
	v_ashrrev_i32_e32 v4, 31, v4
	;; [unrolled: 9-line block ×6, first 2 shown]
	v_xor_b32_e32 v5, vcc_hi, v4
	v_xor_b32_e32 v4, vcc_lo, v4
	; wave barrier
	ds_read_b32 v69, v70 offset:16
	v_and_b32_e32 v4, v72, v4
	v_and_b32_e32 v5, v0, v5
	v_mbcnt_lo_u32_b32 v0, v4, 0
	v_mbcnt_hi_u32_b32 v72, v5, v0
	v_cmp_eq_u32_e32 vcc, 0, v72
	v_cmp_ne_u64_e64 s[0:1], 0, v[4:5]
	s_and_b64 s[4:5], s[0:1], vcc
	; wave barrier
	s_and_saveexec_b64 s[0:1], s[4:5]
	s_cbranch_execz .LBB72_249
; %bb.248:
	v_bcnt_u32_b32 v0, v4, 0
	v_bcnt_u32_b32 v0, v5, v0
	s_waitcnt lgkmcnt(0)
	v_add_u32_e32 v0, v69, v0
	ds_write_b32 v70, v0 offset:16
.LBB72_249:
	s_or_b64 exec, exec, s[0:1]
	s_waitcnt vmcnt(2)
	v_xor_b32_e32 v71, 0xffff8000, v30
	v_lshrrev_b32_sdwa v0, s88, v71 dst_sel:DWORD dst_unused:UNUSED_PAD src0_sel:DWORD src1_sel:WORD_0
	v_and_b32_e32 v74, s9, v0
	v_and_b32_e32 v0, 1, v74
	v_lshl_add_u64 v[4:5], v[0:1], 0, -1
	v_cmp_ne_u32_e32 vcc, 0, v0
	v_mad_u32_u24 v30, v74, 20, v20
	s_nop 0
	v_xor_b32_e32 v4, vcc_lo, v4
	v_xor_b32_e32 v0, vcc_hi, v5
	v_and_b32_e32 v75, exec_lo, v4
	v_lshlrev_b32_e32 v5, 30, v74
	v_mov_b32_e32 v4, v1
	v_cmp_gt_i64_e32 vcc, 0, v[4:5]
	v_not_b32_e32 v4, v5
	v_ashrrev_i32_e32 v4, 31, v4
	v_and_b32_e32 v0, exec_hi, v0
	v_xor_b32_e32 v5, vcc_hi, v4
	v_xor_b32_e32 v4, vcc_lo, v4
	v_and_b32_e32 v0, v0, v5
	v_and_b32_e32 v75, v75, v4
	v_lshlrev_b32_e32 v5, 29, v74
	v_mov_b32_e32 v4, v1
	v_cmp_gt_i64_e32 vcc, 0, v[4:5]
	v_not_b32_e32 v4, v5
	v_ashrrev_i32_e32 v4, 31, v4
	v_xor_b32_e32 v5, vcc_hi, v4
	v_xor_b32_e32 v4, vcc_lo, v4
	v_and_b32_e32 v0, v0, v5
	v_and_b32_e32 v75, v75, v4
	v_lshlrev_b32_e32 v5, 28, v74
	v_mov_b32_e32 v4, v1
	v_cmp_gt_i64_e32 vcc, 0, v[4:5]
	v_not_b32_e32 v4, v5
	v_ashrrev_i32_e32 v4, 31, v4
	;; [unrolled: 9-line block ×5, first 2 shown]
	v_xor_b32_e32 v5, vcc_hi, v4
	v_xor_b32_e32 v4, vcc_lo, v4
	v_and_b32_e32 v0, v0, v5
	v_lshlrev_b32_e32 v5, 24, v74
	v_and_b32_e32 v75, v75, v4
	v_mov_b32_e32 v4, v1
	v_not_b32_e32 v1, v5
	v_cmp_gt_i64_e32 vcc, 0, v[4:5]
	v_ashrrev_i32_e32 v1, 31, v1
	; wave barrier
	s_nop 0
	v_xor_b32_e32 v4, vcc_hi, v1
	v_xor_b32_e32 v5, vcc_lo, v1
	ds_read_b32 v73, v30 offset:16
	v_and_b32_e32 v1, v0, v4
	v_and_b32_e32 v0, v75, v5
	v_mbcnt_lo_u32_b32 v4, v0, 0
	v_mbcnt_hi_u32_b32 v75, v1, v4
	v_cmp_eq_u32_e32 vcc, 0, v75
	v_cmp_ne_u64_e64 s[0:1], 0, v[0:1]
	s_and_b64 s[4:5], s[0:1], vcc
	; wave barrier
	s_and_saveexec_b64 s[0:1], s[4:5]
	s_cbranch_execz .LBB72_251
; %bb.250:
	v_bcnt_u32_b32 v0, v0, 0
	v_bcnt_u32_b32 v0, v1, v0
	s_waitcnt lgkmcnt(0)
	v_add_u32_e32 v0, v73, v0
	ds_write_b32 v30, v0 offset:16
.LBB72_251:
	s_or_b64 exec, exec, s[0:1]
	s_waitcnt vmcnt(1)
	v_xor_b32_e32 v74, 0xffff8000, v25
	v_lshrrev_b32_sdwa v0, s88, v74 dst_sel:DWORD dst_unused:UNUSED_PAD src0_sel:DWORD src1_sel:WORD_0
	v_and_b32_e32 v77, s9, v0
	v_and_b32_e32 v0, 1, v77
	v_mov_b32_e32 v1, 0
	v_lshl_add_u64 v[4:5], v[0:1], 0, -1
	v_cmp_ne_u32_e32 vcc, 0, v0
	v_mad_u32_u24 v25, v77, 20, v20
	s_nop 0
	v_xor_b32_e32 v4, vcc_lo, v4
	v_xor_b32_e32 v0, vcc_hi, v5
	v_and_b32_e32 v78, exec_lo, v4
	v_lshlrev_b32_e32 v5, 30, v77
	v_mov_b32_e32 v4, v1
	v_cmp_gt_i64_e32 vcc, 0, v[4:5]
	v_not_b32_e32 v4, v5
	v_ashrrev_i32_e32 v4, 31, v4
	v_and_b32_e32 v0, exec_hi, v0
	v_xor_b32_e32 v5, vcc_hi, v4
	v_xor_b32_e32 v4, vcc_lo, v4
	v_and_b32_e32 v0, v0, v5
	v_and_b32_e32 v78, v78, v4
	v_lshlrev_b32_e32 v5, 29, v77
	v_mov_b32_e32 v4, v1
	v_cmp_gt_i64_e32 vcc, 0, v[4:5]
	v_not_b32_e32 v4, v5
	v_ashrrev_i32_e32 v4, 31, v4
	v_xor_b32_e32 v5, vcc_hi, v4
	v_xor_b32_e32 v4, vcc_lo, v4
	v_and_b32_e32 v0, v0, v5
	v_and_b32_e32 v78, v78, v4
	v_lshlrev_b32_e32 v5, 28, v77
	v_mov_b32_e32 v4, v1
	v_cmp_gt_i64_e32 vcc, 0, v[4:5]
	v_not_b32_e32 v4, v5
	v_ashrrev_i32_e32 v4, 31, v4
	;; [unrolled: 9-line block ×6, first 2 shown]
	v_xor_b32_e32 v5, vcc_hi, v4
	v_xor_b32_e32 v4, vcc_lo, v4
	; wave barrier
	ds_read_b32 v76, v25 offset:16
	v_and_b32_e32 v4, v78, v4
	v_and_b32_e32 v5, v0, v5
	v_mbcnt_lo_u32_b32 v0, v4, 0
	v_mbcnt_hi_u32_b32 v78, v5, v0
	v_cmp_eq_u32_e32 vcc, 0, v78
	v_cmp_ne_u64_e64 s[0:1], 0, v[4:5]
	s_and_b64 s[4:5], s[0:1], vcc
	; wave barrier
	s_and_saveexec_b64 s[0:1], s[4:5]
	s_cbranch_execz .LBB72_253
; %bb.252:
	v_bcnt_u32_b32 v0, v4, 0
	v_bcnt_u32_b32 v0, v5, v0
	s_waitcnt lgkmcnt(0)
	v_add_u32_e32 v0, v76, v0
	ds_write_b32 v25, v0 offset:16
.LBB72_253:
	s_or_b64 exec, exec, s[0:1]
	s_waitcnt vmcnt(0)
	v_xor_b32_e32 v77, 0xffff8000, v19
	v_lshrrev_b32_sdwa v0, s88, v77 dst_sel:DWORD dst_unused:UNUSED_PAD src0_sel:DWORD src1_sel:WORD_0
	v_and_b32_e32 v80, s9, v0
	v_and_b32_e32 v0, 1, v80
	v_lshl_add_u64 v[4:5], v[0:1], 0, -1
	v_cmp_ne_u32_e32 vcc, 0, v0
	v_mad_u32_u24 v19, v80, 20, v20
	s_nop 0
	v_xor_b32_e32 v4, vcc_lo, v4
	v_xor_b32_e32 v0, vcc_hi, v5
	v_and_b32_e32 v20, exec_lo, v4
	v_lshlrev_b32_e32 v5, 30, v80
	v_mov_b32_e32 v4, v1
	v_cmp_gt_i64_e32 vcc, 0, v[4:5]
	v_not_b32_e32 v4, v5
	v_ashrrev_i32_e32 v4, 31, v4
	v_and_b32_e32 v0, exec_hi, v0
	v_xor_b32_e32 v5, vcc_hi, v4
	v_xor_b32_e32 v4, vcc_lo, v4
	v_and_b32_e32 v0, v0, v5
	v_and_b32_e32 v20, v20, v4
	v_lshlrev_b32_e32 v5, 29, v80
	v_mov_b32_e32 v4, v1
	v_cmp_gt_i64_e32 vcc, 0, v[4:5]
	v_not_b32_e32 v4, v5
	v_ashrrev_i32_e32 v4, 31, v4
	v_xor_b32_e32 v5, vcc_hi, v4
	v_xor_b32_e32 v4, vcc_lo, v4
	v_and_b32_e32 v0, v0, v5
	v_and_b32_e32 v20, v20, v4
	v_lshlrev_b32_e32 v5, 28, v80
	v_mov_b32_e32 v4, v1
	v_cmp_gt_i64_e32 vcc, 0, v[4:5]
	v_not_b32_e32 v4, v5
	v_ashrrev_i32_e32 v4, 31, v4
	;; [unrolled: 9-line block ×5, first 2 shown]
	v_xor_b32_e32 v5, vcc_hi, v4
	v_xor_b32_e32 v4, vcc_lo, v4
	v_and_b32_e32 v0, v0, v5
	v_lshlrev_b32_e32 v5, 24, v80
	v_and_b32_e32 v20, v20, v4
	v_mov_b32_e32 v4, v1
	v_not_b32_e32 v1, v5
	v_cmp_gt_i64_e32 vcc, 0, v[4:5]
	v_ashrrev_i32_e32 v1, 31, v1
	; wave barrier
	s_nop 0
	v_xor_b32_e32 v4, vcc_hi, v1
	v_xor_b32_e32 v5, vcc_lo, v1
	ds_read_b32 v79, v19 offset:16
	v_and_b32_e32 v1, v0, v4
	v_and_b32_e32 v0, v20, v5
	v_mbcnt_lo_u32_b32 v4, v0, 0
	v_mbcnt_hi_u32_b32 v80, v1, v4
	v_cmp_eq_u32_e32 vcc, 0, v80
	v_cmp_ne_u64_e64 s[0:1], 0, v[0:1]
	s_and_b64 s[4:5], s[0:1], vcc
	; wave barrier
	s_and_saveexec_b64 s[0:1], s[4:5]
	s_cbranch_execz .LBB72_255
; %bb.254:
	v_bcnt_u32_b32 v0, v0, 0
	v_bcnt_u32_b32 v0, v1, v0
	s_waitcnt lgkmcnt(0)
	v_add_u32_e32 v0, v79, v0
	ds_write_b32 v19, v0 offset:16
.LBB72_255:
	s_or_b64 exec, exec, s[0:1]
	; wave barrier
	s_waitcnt lgkmcnt(0)
	s_barrier
	ds_read2_b32 v[4:5], v6 offset0:4 offset1:5
	ds_read2_b32 v[0:1], v6 offset0:6 offset1:7
	ds_read_b32 v20, v6 offset:32
	v_min_u32_e32 v8, 0xc0, v8
	v_or_b32_e32 v8, 63, v8
	s_waitcnt lgkmcnt(1)
	v_add3_u32 v81, v5, v4, v0
	s_waitcnt lgkmcnt(0)
	v_add3_u32 v20, v81, v1, v20
	v_and_b32_e32 v81, 15, v12
	v_cmp_ne_u32_e32 vcc, 0, v81
	v_mov_b32_dpp v82, v20 row_shr:1 row_mask:0xf bank_mask:0xf
	s_nop 0
	v_cndmask_b32_e32 v82, 0, v82, vcc
	v_add_u32_e32 v20, v82, v20
	v_cmp_lt_u32_e32 vcc, 1, v81
	s_nop 0
	v_mov_b32_dpp v82, v20 row_shr:2 row_mask:0xf bank_mask:0xf
	v_cndmask_b32_e32 v82, 0, v82, vcc
	v_add_u32_e32 v20, v20, v82
	v_cmp_lt_u32_e32 vcc, 3, v81
	s_nop 0
	v_mov_b32_dpp v82, v20 row_shr:4 row_mask:0xf bank_mask:0xf
	;; [unrolled: 5-line block ×3, first 2 shown]
	v_cndmask_b32_e32 v81, 0, v82, vcc
	v_add_u32_e32 v20, v20, v81
	v_bfe_i32 v82, v12, 4, 1
	v_cmp_lt_u32_e32 vcc, 31, v12
	v_mov_b32_dpp v81, v20 row_bcast:15 row_mask:0xf bank_mask:0xf
	v_and_b32_e32 v81, v82, v81
	v_add_u32_e32 v20, v20, v81
	s_nop 1
	v_mov_b32_dpp v81, v20 row_bcast:31 row_mask:0xf bank_mask:0xf
	v_cndmask_b32_e32 v81, 0, v81, vcc
	v_add_u32_e32 v20, v20, v81
	v_lshrrev_b32_e32 v81, 6, v2
	v_cmp_eq_u32_e32 vcc, v2, v8
	s_and_saveexec_b64 s[0:1], vcc
; %bb.256:
	v_lshlrev_b32_e32 v8, 2, v81
	ds_write_b32 v8, v20
; %bb.257:
	s_or_b64 exec, exec, s[0:1]
	v_cmp_gt_u32_e32 vcc, 4, v2
	s_waitcnt lgkmcnt(0)
	s_barrier
	s_and_saveexec_b64 s[0:1], vcc
	s_cbranch_execz .LBB72_259
; %bb.258:
	v_lshlrev_b32_e32 v8, 2, v2
	ds_read_b32 v82, v8
	v_and_b32_e32 v83, 3, v12
	v_cmp_ne_u32_e32 vcc, 0, v83
	s_waitcnt lgkmcnt(0)
	v_mov_b32_dpp v84, v82 row_shr:1 row_mask:0xf bank_mask:0xf
	v_cndmask_b32_e32 v84, 0, v84, vcc
	v_add_u32_e32 v82, v84, v82
	v_cmp_lt_u32_e32 vcc, 1, v83
	s_nop 0
	v_mov_b32_dpp v84, v82 row_shr:2 row_mask:0xf bank_mask:0xf
	v_cndmask_b32_e32 v83, 0, v84, vcc
	v_add_u32_e32 v82, v82, v83
	ds_write_b32 v8, v82
.LBB72_259:
	s_or_b64 exec, exec, s[0:1]
	v_cmp_lt_u32_e32 vcc, 63, v2
	v_mov_b32_e32 v8, 0
	s_waitcnt lgkmcnt(0)
	s_barrier
	s_and_saveexec_b64 s[0:1], vcc
; %bb.260:
	v_lshl_add_u32 v8, v81, 2, -4
	ds_read_b32 v8, v8
; %bb.261:
	s_or_b64 exec, exec, s[0:1]
	v_add_u32_e32 v81, -1, v12
	v_and_b32_e32 v82, 64, v12
	v_cmp_lt_i32_e32 vcc, v81, v82
	s_waitcnt lgkmcnt(0)
	v_add_u32_e32 v20, v8, v20
	s_movk_i32 s0, 0x100
	v_cndmask_b32_e32 v81, v81, v12, vcc
	v_lshlrev_b32_e32 v81, 2, v81
	ds_bpermute_b32 v20, v81, v20
	v_cmp_eq_u32_e32 vcc, 0, v12
	s_waitcnt lgkmcnt(0)
	s_nop 0
	v_cndmask_b32_e32 v8, v20, v8, vcc
	v_cmp_ne_u32_e32 vcc, 0, v2
	s_nop 1
	v_cndmask_b32_e32 v8, 0, v8, vcc
	v_add_u32_e32 v4, v8, v4
	v_add_u32_e32 v5, v4, v5
	;; [unrolled: 1-line block ×4, first 2 shown]
	ds_write2_b32 v6, v8, v4 offset0:4 offset1:5
	ds_write2_b32 v6, v5, v0 offset0:6 offset1:7
	ds_write_b32 v6, v1 offset:32
	s_waitcnt lgkmcnt(0)
	s_barrier
	ds_read_b32 v4, v45 offset:16
	ds_read_b32 v5, v50 offset:16
	ds_read_b32 v8, v55 offset:16
	ds_read_b32 v20, v58 offset:16
	ds_read_b32 v45, v61 offset:16
	ds_read_b32 v50, v64 offset:16
	ds_read_b32 v55, v67 offset:16
	ds_read_b32 v58, v70 offset:16
	ds_read_b32 v61, v30 offset:16
	ds_read_b32 v64, v25 offset:16
	ds_read_b32 v67, v19 offset:16
	ds_read_b32 v9, v9 offset:16
	ds_read_b32 v14, v14 offset:16
	ds_read_b32 v18, v18 offset:16
	ds_read_b32 v19, v24 offset:16
	ds_read_b32 v24, v29 offset:16
	ds_read_b32 v25, v34 offset:16
	ds_read_b32 v70, v39 offset:16
	ds_read_b32 v0, v6 offset:16
	v_add_u32_e32 v6, 1, v2
	v_cmp_ne_u32_e32 vcc, s0, v6
	v_mov_b32_e32 v1, 0x1200
	s_and_saveexec_b64 s[0:1], vcc
; %bb.262:
	v_mul_u32_u24_e32 v1, 20, v6
	ds_read_b32 v1, v1 offset:16
; %bb.263:
	s_or_b64 exec, exec, s[0:1]
	s_waitcnt lgkmcnt(7)
	v_add_u32_e32 v39, v9, v11
	s_waitcnt lgkmcnt(6)
	v_add3_u32 v34, v16, v13, v14
	s_waitcnt lgkmcnt(3)
	v_add3_u32 v28, v32, v28, v24
	v_add3_u32 v24, v47, v43, v4
	v_lshlrev_b32_e32 v4, 1, v39
	v_add3_u32 v30, v22, v17, v18
	s_waitcnt lgkmcnt(0)
	s_barrier
	ds_write_b16 v4, v7 offset:2048
	v_lshlrev_b32_e32 v4, 1, v34
	v_add3_u32 v29, v27, v23, v19
	ds_write_b16 v4, v10 offset:2048
	v_lshlrev_b32_e32 v4, 1, v30
	ds_write_b16 v4, v15 offset:2048
	v_lshlrev_b32_e32 v4, 1, v29
	v_add3_u32 v27, v37, v33, v25
	ds_write_b16 v4, v21 offset:2048
	v_lshlrev_b32_e32 v4, 1, v28
	v_add3_u32 v25, v42, v38, v70
	ds_write_b16 v4, v26 offset:2048
	v_lshlrev_b32_e32 v4, 1, v27
	ds_write_b16 v4, v31 offset:2048
	v_lshlrev_b32_e32 v4, 1, v25
	v_add3_u32 v23, v52, v48, v5
	ds_write_b16 v4, v36 offset:2048
	v_lshlrev_b32_e32 v4, 1, v24
	v_add3_u32 v22, v56, v53, v8
	;; [unrolled: 3-line block ×10, first 2 shown]
	ds_write_b16 v4, v71 offset:2048
	v_lshlrev_b32_e32 v4, 1, v13
	ds_write_b16 v4, v74 offset:2048
	v_lshlrev_b32_e32 v4, 1, v5
	ds_write_b16 v4, v77 offset:2048
	v_sub_u32_e32 v4, v1, v0
	v_lshl_add_u32 v6, s2, 8, v2
	v_mov_b32_e32 v7, 0
	v_lshl_add_u64 v[8:9], v[6:7], 2, s[94:95]
	v_or_b32_e32 v1, 2.0, v4
	s_mov_b64 s[0:1], 0
	s_brev_b32 s10, -4
	v_mov_b32_e32 v15, 0
	s_waitcnt lgkmcnt(0)
	s_barrier
	global_store_dword v[8:9], v1, off sc1
                                        ; implicit-def: $sgpr4_sgpr5
	s_branch .LBB72_266
.LBB72_264:                             ;   in Loop: Header=BB72_266 Depth=1
	s_or_b64 exec, exec, s[6:7]
.LBB72_265:                             ;   in Loop: Header=BB72_266 Depth=1
	s_or_b64 exec, exec, s[4:5]
	v_and_b32_e32 v6, 0x3fffffff, v1
	v_add_u32_e32 v15, v6, v15
	v_cmp_gt_i32_e64 s[4:5], -2.0, v1
	s_and_b64 s[6:7], exec, s[4:5]
	s_or_b64 s[0:1], s[6:7], s[0:1]
	s_andn2_b64 exec, exec, s[0:1]
	s_cbranch_execz .LBB72_271
.LBB72_266:                             ; =>This Loop Header: Depth=1
                                        ;     Child Loop BB72_269 Depth 2
	s_or_b64 s[4:5], s[4:5], exec
	s_cmp_eq_u32 s3, 0
	s_cbranch_scc1 .LBB72_270
; %bb.267:                              ;   in Loop: Header=BB72_266 Depth=1
	s_add_i32 s3, s3, -1
	v_lshl_add_u32 v6, s3, 8, v2
	v_lshl_add_u64 v[10:11], v[6:7], 2, s[94:95]
	global_load_dword v1, v[10:11], off sc1
	s_waitcnt vmcnt(0)
	v_cmp_gt_u32_e32 vcc, 2.0, v1
	s_and_saveexec_b64 s[4:5], vcc
	s_cbranch_execz .LBB72_265
; %bb.268:                              ;   in Loop: Header=BB72_266 Depth=1
	s_mov_b64 s[6:7], 0
.LBB72_269:                             ;   Parent Loop BB72_266 Depth=1
                                        ; =>  This Inner Loop Header: Depth=2
	global_load_dword v1, v[10:11], off sc1
	s_waitcnt vmcnt(0)
	v_cmp_lt_u32_e32 vcc, s10, v1
	s_or_b64 s[6:7], vcc, s[6:7]
	s_andn2_b64 exec, exec, s[6:7]
	s_cbranch_execnz .LBB72_269
	s_branch .LBB72_264
.LBB72_270:                             ;   in Loop: Header=BB72_266 Depth=1
                                        ; implicit-def: $sgpr3
	s_and_b64 s[6:7], exec, s[4:5]
	s_or_b64 s[0:1], s[6:7], s[0:1]
	s_andn2_b64 exec, exec, s[0:1]
	s_cbranch_execnz .LBB72_266
.LBB72_271:
	s_or_b64 exec, exec, s[0:1]
	v_add_u32_e32 v1, v15, v4
	v_or_b32_e32 v1, 0x80000000, v1
	v_lshlrev_b32_e32 v6, 3, v2
	global_store_dword v[8:9], v1, off sc1
	global_load_dwordx2 v[10:11], v6, s[84:85]
	v_sub_co_u32_e32 v32, vcc, v15, v0
	v_mad_i32_i24 v15, v2, -6, v6
	s_nop 0
	v_subb_co_u32_e64 v33, s[0:1], 0, 0, vcc
	v_mov_b32_e32 v1, 0
	v_lshlrev_b32_e32 v8, 1, v2
	v_mov_b32_e32 v9, v1
	v_or_b32_e32 v93, 0xc00, v2
	s_lshl_b64 s[0:1], s[92:93], 3
	s_add_u32 s0, s80, s0
	s_addc_u32 s1, s81, s1
	s_movk_i32 s3, 0x1000
	v_add_u32_e32 v94, 0xd00, v2
	v_lshlrev_b32_e32 v60, 1, v94
	v_mov_b32_e32 v61, v1
	v_add_u32_e32 v95, 0xe00, v2
	v_lshlrev_b32_e32 v76, 1, v95
	v_mov_b32_e32 v77, v1
	v_mov_b32_e32 v7, v1
	s_add_i32 s8, s8, -1
	s_cmp_lg_u32 s2, s8
	s_waitcnt vmcnt(0)
	v_lshl_add_u64 v[10:11], v[32:33], 0, v[10:11]
	ds_write_b64 v6, v[10:11]
	s_waitcnt lgkmcnt(0)
	s_barrier
	ds_read_u16 v10, v15 offset:2048
	ds_read_u16 v11, v15 offset:2560
	ds_read_u16 v21, v15 offset:3072
	ds_read_u16 v26, v15 offset:3584
	ds_read_u16 v31, v15 offset:4096
	ds_read_u16 v32, v15 offset:4608
	ds_read_u16 v33, v15 offset:5120
	ds_read_u16 v35, v15 offset:5632
	ds_read_u16 v38, v15 offset:6144
	ds_read_u16 v48, v15 offset:6656
	ds_read_u16 v49, v15 offset:7168
	ds_read_u16 v50, v15 offset:7680
	ds_read_u16 v51, v15 offset:8192
	ds_read_u16 v52, v15 offset:8704
	ds_read_u16 v68, v15 offset:9216
	ds_read_u16 v78, v15 offset:9728
	s_waitcnt lgkmcnt(14)
	v_lshrrev_b32_sdwa v36, s88, v10 dst_sel:DWORD dst_unused:UNUSED_PAD src0_sel:DWORD src1_sel:WORD_0
	v_xor_b32_e32 v53, 0xffff8000, v10
	v_lshrrev_b32_sdwa v10, s88, v11 dst_sel:DWORD dst_unused:UNUSED_PAD src0_sel:DWORD src1_sel:WORD_0
	v_xor_b32_e32 v54, 0xffff8000, v11
	s_waitcnt lgkmcnt(13)
	v_lshrrev_b32_sdwa v11, s88, v21 dst_sel:DWORD dst_unused:UNUSED_PAD src0_sel:DWORD src1_sel:WORD_0
	s_waitcnt lgkmcnt(12)
	v_lshrrev_b32_sdwa v37, s88, v26 dst_sel:DWORD dst_unused:UNUSED_PAD src0_sel:DWORD src1_sel:WORD_0
	;; [unrolled: 2-line block ×4, first 2 shown]
	v_xor_b32_e32 v55, 0xffff8000, v32
	s_waitcnt lgkmcnt(9)
	v_lshrrev_b32_sdwa v32, s88, v33 dst_sel:DWORD dst_unused:UNUSED_PAD src0_sel:DWORD src1_sel:WORD_0
	v_xor_b32_e32 v56, 0xffff8000, v33
	s_waitcnt lgkmcnt(8)
	v_lshrrev_b32_sdwa v33, s88, v35 dst_sel:DWORD dst_unused:UNUSED_PAD src0_sel:DWORD src1_sel:WORD_0
	s_waitcnt lgkmcnt(7)
	v_lshrrev_b32_sdwa v42, s88, v38 dst_sel:DWORD dst_unused:UNUSED_PAD src0_sel:DWORD src1_sel:WORD_0
	s_waitcnt lgkmcnt(6)
	v_lshrrev_b32_sdwa v43, s88, v48 dst_sel:DWORD dst_unused:UNUSED_PAD src0_sel:DWORD src1_sel:WORD_0
	v_and_b32_e32 v36, s9, v36
	v_and_b32_e32 v10, s9, v10
	;; [unrolled: 1-line block ×10, first 2 shown]
	v_lshlrev_b32_e32 v79, 3, v36
	v_lshlrev_b32_e32 v80, 3, v10
	;; [unrolled: 1-line block ×10, first 2 shown]
	ds_read_b64 v[10:11], v79
	ds_read_b64 v[32:33], v80
	;; [unrolled: 1-line block ×7, first 2 shown]
	ds_read_u16 v89, v15 offset:10240
	ds_read_u16 v15, v15 offset:10752
	s_waitcnt lgkmcnt(8)
	v_lshl_add_u64 v[10:11], v[10:11], 1, s[78:79]
	s_waitcnt lgkmcnt(7)
	v_lshl_add_u64 v[32:33], v[32:33], 1, s[78:79]
	;; [unrolled: 2-line block ×6, first 2 shown]
	v_lshl_add_u64 v[10:11], v[10:11], 0, v[8:9]
	v_xor_b32_e32 v21, 0xffff8000, v21
	v_xor_b32_e32 v26, 0xffff8000, v26
	;; [unrolled: 1-line block ×3, first 2 shown]
	v_lshl_add_u64 v[32:33], v[32:33], 0, v[8:9]
	v_lshl_add_u64 v[36:37], v[36:37], 0, v[8:9]
	;; [unrolled: 1-line block ×5, first 2 shown]
	global_store_short v[10:11], v53, off
	global_store_short v[32:33], v54, off offset:512
	global_store_short v[36:37], v21, off offset:1024
	;; [unrolled: 1-line block ×5, first 2 shown]
	ds_read_b64 v[10:11], v86
	ds_read_b64 v[32:33], v87
	;; [unrolled: 1-line block ×3, first 2 shown]
	s_waitcnt lgkmcnt(5)
	v_lshl_add_u64 v[40:41], v[46:47], 1, s[78:79]
	v_lshl_add_u64 v[40:41], v[40:41], 0, v[8:9]
	s_waitcnt lgkmcnt(2)
	v_lshl_add_u64 v[10:11], v[10:11], 1, s[78:79]
	v_xor_b32_e32 v21, 0xffff8000, v35
	v_lshl_add_u64 v[8:9], v[10:11], 0, v[8:9]
	global_store_short v[40:41], v56, off offset:3072
	global_store_short v[8:9], v21, off offset:3584
	v_or_b32_e32 v21, 0x800, v2
	s_waitcnt lgkmcnt(1)
	v_lshl_add_u64 v[8:9], v[32:33], 1, s[78:79]
	v_lshlrev_b32_e32 v10, 1, v21
	v_mov_b32_e32 v11, v1
	v_xor_b32_e32 v26, 0xffff8000, v38
	v_lshl_add_u64 v[8:9], v[8:9], 0, v[10:11]
	global_store_short v[8:9], v26, off
	v_add_u32_e32 v26, 0x900, v2
	s_waitcnt lgkmcnt(0)
	v_lshl_add_u64 v[8:9], v[36:37], 1, s[78:79]
	v_lshlrev_b32_e32 v10, 1, v26
	v_xor_b32_e32 v31, 0xffff8000, v48
	v_lshl_add_u64 v[8:9], v[8:9], 0, v[10:11]
	global_store_short v[8:9], v31, off
	v_lshrrev_b32_sdwa v8, s88, v49 dst_sel:DWORD dst_unused:UNUSED_PAD src0_sel:DWORD src1_sel:WORD_0
	v_and_b32_e32 v8, s9, v8
	v_lshlrev_b32_e32 v38, 3, v8
	v_lshrrev_b32_sdwa v10, s88, v50 dst_sel:DWORD dst_unused:UNUSED_PAD src0_sel:DWORD src1_sel:WORD_0
	ds_read_b64 v[8:9], v38
	v_and_b32_e32 v10, s9, v10
	v_lshlrev_b32_e32 v90, 3, v10
	v_lshrrev_b32_sdwa v10, s88, v51 dst_sel:DWORD dst_unused:UNUSED_PAD src0_sel:DWORD src1_sel:WORD_0
	v_and_b32_e32 v10, s9, v10
	v_lshlrev_b32_e32 v91, 3, v10
	v_lshrrev_b32_sdwa v10, s88, v52 dst_sel:DWORD dst_unused:UNUSED_PAD src0_sel:DWORD src1_sel:WORD_0
	v_add_u32_e32 v31, 0xa00, v2
	v_and_b32_e32 v10, s9, v10
	v_lshlrev_b32_e32 v92, 3, v10
	ds_read_b64 v[10:11], v90
	ds_read_b64 v[32:33], v91
	;; [unrolled: 1-line block ×3, first 2 shown]
	s_waitcnt lgkmcnt(3)
	v_lshl_add_u64 v[8:9], v[8:9], 1, s[78:79]
	v_lshlrev_b32_e32 v40, 1, v31
	v_mov_b32_e32 v41, v1
	v_xor_b32_e32 v35, 0xffff8000, v49
	v_lshl_add_u64 v[8:9], v[8:9], 0, v[40:41]
	global_store_short v[8:9], v35, off
	v_add_u32_e32 v35, 0xb00, v2
	s_waitcnt lgkmcnt(2)
	v_lshl_add_u64 v[8:9], v[10:11], 1, s[78:79]
	v_lshlrev_b32_e32 v10, 1, v35
	v_mov_b32_e32 v11, v1
	v_xor_b32_e32 v40, 0xffff8000, v50
	v_lshl_add_u64 v[8:9], v[8:9], 0, v[10:11]
	global_store_short v[8:9], v40, off
	s_waitcnt lgkmcnt(1)
	v_lshl_add_u64 v[8:9], v[32:33], 1, s[78:79]
	v_lshlrev_b32_e32 v10, 1, v93
	v_xor_b32_e32 v40, 0xffff8000, v51
	v_lshl_add_u64 v[8:9], v[8:9], 0, v[10:11]
	global_store_short v[8:9], v40, off
	v_lshlrev_b32_e32 v8, 3, v12
	v_mov_b32_e32 v9, v1
	v_lshl_add_u64 v[8:9], s[0:1], 0, v[8:9]
	v_lshlrev_b32_e32 v10, 3, v3
	v_lshl_add_u64 v[8:9], v[8:9], 0, v[10:11]
	s_movk_i32 s0, 0x2000
	v_xor_b32_e32 v66, 0xffff8000, v52
	v_add_co_u32_e32 v52, vcc, s0, v8
	global_load_dwordx2 v[10:11], v[8:9], off
	global_load_dwordx2 v[32:33], v[8:9], off offset:512
	global_load_dwordx2 v[40:41], v[8:9], off offset:1024
	;; [unrolled: 1-line block ×7, first 2 shown]
	v_addc_co_u32_e32 v53, vcc, 0, v9, vcc
	v_add_co_u32_e32 v8, vcc, s3, v8
	global_load_dwordx2 v[54:55], v[52:53], off offset:-4096
	s_nop 0
	v_addc_co_u32_e32 v9, vcc, 0, v9, vcc
	global_load_dwordx2 v[56:57], v[8:9], off offset:512
	global_load_dwordx2 v[58:59], v[8:9], off offset:1024
	;; [unrolled: 1-line block ×4, first 2 shown]
	s_waitcnt lgkmcnt(0)
	v_lshl_add_u64 v[36:37], v[36:37], 1, s[78:79]
	v_lshl_add_u64 v[36:37], v[36:37], 0, v[60:61]
	global_load_dwordx2 v[60:61], v[8:9], off offset:2560
	v_lshrrev_b32_sdwa v3, s88, v68 dst_sel:DWORD dst_unused:UNUSED_PAD src0_sel:DWORD src1_sel:WORD_0
	global_store_short v[36:37], v66, off
	global_load_dwordx2 v[36:37], v[8:9], off offset:3072
	v_and_b32_e32 v3, s9, v3
	global_load_dwordx2 v[8:9], v[8:9], off offset:3584
	v_lshlrev_b32_e32 v96, 3, v3
	global_load_dwordx2 v[66:67], v[52:53], off
	v_lshrrev_b32_sdwa v3, s88, v78 dst_sel:DWORD dst_unused:UNUSED_PAD src0_sel:DWORD src1_sel:WORD_0
	global_load_dwordx2 v[52:53], v[52:53], off offset:512
	v_and_b32_e32 v3, s9, v3
	v_xor_b32_e32 v12, 0xffff8000, v68
	ds_read_b64 v[68:69], v96
	v_lshlrev_b32_e32 v97, 3, v3
	v_lshrrev_b32_sdwa v3, s88, v89 dst_sel:DWORD dst_unused:UNUSED_PAD src0_sel:DWORD src1_sel:WORD_0
	v_and_b32_e32 v3, s9, v3
	v_lshlrev_b32_e32 v98, 3, v3
	v_lshrrev_b32_sdwa v3, s88, v15 dst_sel:DWORD dst_unused:UNUSED_PAD src0_sel:DWORD src1_sel:WORD_0
	v_and_b32_e32 v3, s9, v3
	v_lshlrev_b32_e32 v99, 3, v3
	ds_read_b64 v[70:71], v97
	ds_read_b64 v[72:73], v98
	;; [unrolled: 1-line block ×3, first 2 shown]
	s_waitcnt lgkmcnt(3)
	v_lshl_add_u64 v[68:69], v[68:69], 1, s[78:79]
	v_lshl_add_u64 v[68:69], v[68:69], 0, v[76:77]
	v_add_u32_e32 v76, 0xf00, v2
	global_store_short v[68:69], v12, off
	s_waitcnt lgkmcnt(2)
	v_lshl_add_u64 v[68:69], v[70:71], 1, s[78:79]
	v_lshlrev_b32_e32 v70, 1, v76
	v_mov_b32_e32 v71, v1
	v_xor_b32_e32 v3, 0xffff8000, v78
	v_lshl_add_u64 v[68:69], v[68:69], 0, v[70:71]
	v_or_b32_e32 v77, 0x1000, v2
	global_store_short v[68:69], v3, off
	s_waitcnt lgkmcnt(1)
	v_lshl_add_u64 v[68:69], v[72:73], 1, s[78:79]
	v_lshlrev_b32_e32 v70, 1, v77
	v_xor_b32_e32 v3, 0xffff8000, v89
	v_lshl_add_u64 v[68:69], v[68:69], 0, v[70:71]
	v_add_u32_e32 v70, 0x1100, v2
	global_store_short v[68:69], v3, off
	s_waitcnt lgkmcnt(0)
	v_lshl_add_u64 v[2:3], v[74:75], 1, s[78:79]
	v_lshlrev_b32_e32 v68, 1, v70
	v_mov_b32_e32 v69, v1
	v_xor_b32_e32 v12, 0xffff8000, v15
	v_lshl_add_u64 v[2:3], v[2:3], 0, v[68:69]
	global_store_short v[2:3], v12, off
	v_lshlrev_b32_e32 v2, 3, v39
	s_barrier
	s_waitcnt vmcnt(22)
	ds_write_b64 v2, v[10:11] offset:2048
	v_lshlrev_b32_e32 v2, 3, v34
	s_waitcnt vmcnt(21)
	ds_write_b64 v2, v[32:33] offset:2048
	v_lshlrev_b32_e32 v2, 3, v30
	;; [unrolled: 3-line block ×17, first 2 shown]
	s_waitcnt vmcnt(4)
	ds_write_b64 v2, v[52:53] offset:2048
	s_waitcnt lgkmcnt(0)
	s_barrier
	ds_read_b64 v[2:3], v79
	ds_read2st64_b64 v[8:11], v6 offset0:4 offset1:8
	ds_read_b64 v[12:13], v80
	ds_read_b64 v[14:15], v81
	;; [unrolled: 1-line block ×3, first 2 shown]
	s_waitcnt lgkmcnt(4)
	v_lshl_add_u64 v[2:3], v[2:3], 3, s[82:83]
	v_lshl_add_u64 v[2:3], v[2:3], 0, v[6:7]
	s_waitcnt lgkmcnt(3)
	global_store_dwordx2 v[2:3], v[8:9], off
	s_waitcnt lgkmcnt(2)
	v_lshl_add_u64 v[2:3], v[12:13], 3, s[82:83]
	v_lshl_add_u64 v[2:3], v[2:3], 0, v[6:7]
	global_store_dwordx2 v[2:3], v[10:11], off offset:2048
	ds_read2st64_b64 v[8:11], v6 offset0:12 offset1:16
	s_waitcnt lgkmcnt(2)
	v_lshl_add_u64 v[2:3], v[14:15], 3, s[82:83]
	v_add_u32_e32 v12, 0x1000, v6
	v_mov_b32_e32 v13, v1
	v_lshl_add_u64 v[2:3], v[2:3], 0, v[12:13]
	s_waitcnt lgkmcnt(0)
	global_store_dwordx2 v[2:3], v[8:9], off
	v_lshl_add_u64 v[2:3], v[16:17], 3, s[82:83]
	v_add_u32_e32 v8, 0x1800, v6
	v_mov_b32_e32 v9, v1
	v_lshl_add_u64 v[2:3], v[2:3], 0, v[8:9]
	global_store_dwordx2 v[2:3], v[10:11], off
	ds_read_b64 v[2:3], v83
	ds_read2st64_b64 v[8:11], v6 offset0:20 offset1:24
	ds_read_b64 v[12:13], v84
	ds_read_b64 v[14:15], v85
	;; [unrolled: 1-line block ×3, first 2 shown]
	s_waitcnt lgkmcnt(4)
	v_lshl_add_u64 v[2:3], v[2:3], 3, s[82:83]
	v_or_b32_e32 v18, 0x2000, v6
	v_mov_b32_e32 v19, v1
	v_lshl_add_u64 v[2:3], v[2:3], 0, v[18:19]
	s_waitcnt lgkmcnt(3)
	global_store_dwordx2 v[2:3], v[8:9], off
	s_waitcnt lgkmcnt(2)
	v_lshl_add_u64 v[2:3], v[12:13], 3, s[82:83]
	v_add_u32_e32 v8, 0x2800, v6
	v_mov_b32_e32 v9, v1
	v_lshl_add_u64 v[2:3], v[2:3], 0, v[8:9]
	global_store_dwordx2 v[2:3], v[10:11], off
	ds_read2st64_b64 v[8:11], v6 offset0:28 offset1:32
	s_waitcnt lgkmcnt(2)
	v_lshl_add_u64 v[2:3], v[14:15], 3, s[82:83]
	v_add_u32_e32 v12, 0x3000, v6
	v_mov_b32_e32 v13, v1
	v_lshl_add_u64 v[2:3], v[2:3], 0, v[12:13]
	s_waitcnt lgkmcnt(0)
	global_store_dwordx2 v[2:3], v[8:9], off
	v_lshl_add_u64 v[2:3], v[16:17], 3, s[82:83]
	v_add_u32_e32 v8, 0x3800, v6
	v_mov_b32_e32 v9, v1
	v_lshl_add_u64 v[2:3], v[2:3], 0, v[8:9]
	global_store_dwordx2 v[2:3], v[10:11], off
	ds_read_b64 v[2:3], v87
	ds_read2st64_b64 v[8:11], v6 offset0:36 offset1:40
	ds_read_b64 v[12:13], v88
	ds_read_b64 v[14:15], v38
	ds_read_b64 v[16:17], v90
	s_waitcnt lgkmcnt(4)
	v_lshl_add_u64 v[2:3], v[2:3], 3, s[82:83]
	v_lshlrev_b32_e32 v18, 3, v21
	v_lshl_add_u64 v[2:3], v[2:3], 0, v[18:19]
	s_waitcnt lgkmcnt(3)
	global_store_dwordx2 v[2:3], v[8:9], off
	s_waitcnt lgkmcnt(2)
	v_lshl_add_u64 v[2:3], v[12:13], 3, s[82:83]
	v_lshlrev_b32_e32 v8, 3, v26
	v_mov_b32_e32 v9, v1
	v_lshl_add_u64 v[2:3], v[2:3], 0, v[8:9]
	global_store_dwordx2 v[2:3], v[10:11], off
	ds_read2st64_b64 v[8:11], v6 offset0:44 offset1:48
	s_waitcnt lgkmcnt(2)
	v_lshl_add_u64 v[2:3], v[14:15], 3, s[82:83]
	v_lshlrev_b32_e32 v12, 3, v31
	v_mov_b32_e32 v13, v1
	v_lshl_add_u64 v[2:3], v[2:3], 0, v[12:13]
	s_waitcnt lgkmcnt(0)
	global_store_dwordx2 v[2:3], v[8:9], off
	v_lshl_add_u64 v[2:3], v[16:17], 3, s[82:83]
	v_lshlrev_b32_e32 v8, 3, v35
	v_mov_b32_e32 v9, v1
	v_lshl_add_u64 v[2:3], v[2:3], 0, v[8:9]
	global_store_dwordx2 v[2:3], v[10:11], off
	ds_read_b64 v[2:3], v91
	ds_read2st64_b64 v[8:11], v6 offset0:52 offset1:56
	ds_read_b64 v[12:13], v92
	ds_read_b64 v[14:15], v96
	;; [unrolled: 1-line block ×3, first 2 shown]
	s_waitcnt lgkmcnt(4)
	v_lshl_add_u64 v[2:3], v[2:3], 3, s[82:83]
	v_lshlrev_b32_e32 v18, 3, v93
	v_lshl_add_u64 v[2:3], v[2:3], 0, v[18:19]
	s_waitcnt lgkmcnt(3)
	global_store_dwordx2 v[2:3], v[8:9], off
	s_waitcnt lgkmcnt(2)
	v_lshl_add_u64 v[2:3], v[12:13], 3, s[82:83]
	v_lshlrev_b32_e32 v8, 3, v94
	v_mov_b32_e32 v9, v1
	v_lshl_add_u64 v[2:3], v[2:3], 0, v[8:9]
	global_store_dwordx2 v[2:3], v[10:11], off
	ds_read2st64_b64 v[8:11], v6 offset0:60 offset1:64
	s_waitcnt lgkmcnt(2)
	v_lshl_add_u64 v[2:3], v[14:15], 3, s[82:83]
	v_lshlrev_b32_e32 v12, 3, v95
	v_mov_b32_e32 v13, v1
	v_lshl_add_u64 v[2:3], v[2:3], 0, v[12:13]
	s_waitcnt lgkmcnt(0)
	global_store_dwordx2 v[2:3], v[8:9], off
	v_lshl_add_u64 v[2:3], v[16:17], 3, s[82:83]
	v_lshlrev_b32_e32 v8, 3, v76
	v_mov_b32_e32 v9, v1
	ds_read_b64 v[12:13], v98
	v_lshl_add_u64 v[2:3], v[2:3], 0, v[8:9]
	global_store_dwordx2 v[2:3], v[10:11], off
	ds_read2st64_b64 v[8:11], v6 offset0:68 offset1:72
	ds_read_b64 v[2:3], v99
	v_lshlrev_b32_e32 v14, 3, v77
	s_waitcnt lgkmcnt(2)
	v_lshl_add_u64 v[12:13], v[12:13], 3, s[82:83]
	v_mov_b32_e32 v15, v1
	v_lshl_add_u64 v[12:13], v[12:13], 0, v[14:15]
	s_waitcnt lgkmcnt(1)
	global_store_dwordx2 v[12:13], v[8:9], off
	s_waitcnt lgkmcnt(0)
	v_lshl_add_u64 v[2:3], v[2:3], 3, s[82:83]
	v_lshlrev_b32_e32 v8, 3, v70
	v_mov_b32_e32 v9, v1
	v_lshl_add_u64 v[2:3], v[2:3], 0, v[8:9]
	global_store_dwordx2 v[2:3], v[10:11], off
	s_cbranch_scc1 .LBB72_273
; %bb.272:
	ds_read_b64 v[2:3], v6
	v_mov_b32_e32 v5, v1
	v_lshl_add_u64 v[0:1], v[4:5], 0, v[0:1]
	s_waitcnt lgkmcnt(0)
	v_lshl_add_u64 v[0:1], v[0:1], 0, v[2:3]
	global_store_dwordx2 v6, v[0:1], s[86:87]
.LBB72_273:
	s_endpgm
.LBB72_274:
	s_or_b64 exec, exec, s[4:5]
	s_and_saveexec_b64 s[4:5], s[40:41]
	s_cbranch_execz .LBB72_199
.LBB72_275:
	v_lshlrev_b32_e32 v2, 3, v56
	ds_read_b64 v[28:29], v2
	ds_read_b64 v[30:31], v8 offset:4096
	v_mov_b32_e32 v9, 0
	s_waitcnt lgkmcnt(1)
	v_lshl_add_u64 v[28:29], v[28:29], 3, s[82:83]
	v_lshl_add_u64 v[28:29], v[28:29], 0, v[8:9]
	s_waitcnt lgkmcnt(0)
	global_store_dwordx2 v[28:29], v[30:31], off offset:2048
	s_or_b64 exec, exec, s[4:5]
	s_and_saveexec_b64 s[4:5], s[42:43]
	s_cbranch_execnz .LBB72_200
.LBB72_276:
	s_or_b64 exec, exec, s[4:5]
	s_and_saveexec_b64 s[4:5], s[44:45]
	s_cbranch_execz .LBB72_201
.LBB72_277:
	v_lshlrev_b32_e32 v2, 3, v54
	ds_read_b64 v[28:29], v2
	ds_read_b64 v[30:31], v8 offset:8192
	v_lshlrev_b32_e32 v12, 3, v13
	v_mov_b32_e32 v13, 0
	s_waitcnt lgkmcnt(1)
	v_lshl_add_u64 v[28:29], v[28:29], 3, s[82:83]
	v_lshl_add_u64 v[12:13], v[28:29], 0, v[12:13]
	s_waitcnt lgkmcnt(0)
	global_store_dwordx2 v[12:13], v[30:31], off
	s_or_b64 exec, exec, s[4:5]
	s_and_saveexec_b64 s[4:5], s[46:47]
	s_cbranch_execnz .LBB72_202
.LBB72_278:
	s_or_b64 exec, exec, s[4:5]
	s_and_saveexec_b64 s[4:5], s[48:49]
	s_cbranch_execz .LBB72_203
.LBB72_279:
	v_lshlrev_b32_e32 v2, 3, v52
	ds_read_b64 v[12:13], v2
	ds_read_b64 v[28:29], v8 offset:12288
	v_lshlrev_b32_e32 v30, 3, v16
	v_mov_b32_e32 v31, 0
	s_waitcnt lgkmcnt(1)
	v_lshl_add_u64 v[12:13], v[12:13], 3, s[82:83]
	v_lshl_add_u64 v[12:13], v[12:13], 0, v[30:31]
	s_waitcnt lgkmcnt(0)
	global_store_dwordx2 v[12:13], v[28:29], off
	s_or_b64 exec, exec, s[4:5]
	s_and_saveexec_b64 s[4:5], s[50:51]
	s_cbranch_execnz .LBB72_204
.LBB72_280:
	s_or_b64 exec, exec, s[4:5]
	s_and_saveexec_b64 s[4:5], s[52:53]
	s_cbranch_execz .LBB72_205
.LBB72_281:
	v_lshlrev_b32_e32 v2, 3, v50
	ds_read_b64 v[12:13], v2
	ds_read_b64 v[16:17], v8 offset:16384
	v_lshlrev_b32_e32 v18, 3, v18
	v_mov_b32_e32 v19, 0
	s_waitcnt lgkmcnt(1)
	v_lshl_add_u64 v[12:13], v[12:13], 3, s[82:83]
	v_lshl_add_u64 v[12:13], v[12:13], 0, v[18:19]
	s_waitcnt lgkmcnt(0)
	global_store_dwordx2 v[12:13], v[16:17], off
	s_or_b64 exec, exec, s[4:5]
	s_and_saveexec_b64 s[4:5], s[54:55]
	s_cbranch_execnz .LBB72_206
.LBB72_282:
	s_or_b64 exec, exec, s[4:5]
	s_and_saveexec_b64 s[4:5], s[56:57]
	s_cbranch_execz .LBB72_207
.LBB72_283:
	v_lshlrev_b32_e32 v2, 3, v47
	ds_read_b64 v[12:13], v2
	ds_read_b64 v[16:17], v8 offset:20480
	v_lshlrev_b32_e32 v18, 3, v21
	v_mov_b32_e32 v19, 0
	s_waitcnt lgkmcnt(1)
	v_lshl_add_u64 v[12:13], v[12:13], 3, s[82:83]
	v_lshl_add_u64 v[12:13], v[12:13], 0, v[18:19]
	s_waitcnt lgkmcnt(0)
	global_store_dwordx2 v[12:13], v[16:17], off
	s_or_b64 exec, exec, s[4:5]
	s_and_saveexec_b64 s[4:5], s[58:59]
	s_cbranch_execnz .LBB72_208
.LBB72_284:
	s_or_b64 exec, exec, s[4:5]
	s_and_saveexec_b64 s[4:5], s[60:61]
	s_cbranch_execz .LBB72_209
.LBB72_285:
	v_lshlrev_b32_e32 v2, 3, v44
	ds_read_b64 v[12:13], v2
	ds_read_b64 v[16:17], v8 offset:24576
	v_lshlrev_b32_e32 v18, 3, v23
	v_mov_b32_e32 v19, 0
	s_waitcnt lgkmcnt(1)
	v_lshl_add_u64 v[12:13], v[12:13], 3, s[82:83]
	v_lshl_add_u64 v[12:13], v[12:13], 0, v[18:19]
	s_waitcnt lgkmcnt(0)
	global_store_dwordx2 v[12:13], v[16:17], off
	s_or_b64 exec, exec, s[4:5]
	s_and_saveexec_b64 s[4:5], s[62:63]
	s_cbranch_execnz .LBB72_210
.LBB72_286:
	s_or_b64 exec, exec, s[4:5]
	s_and_saveexec_b64 s[4:5], s[64:65]
	s_cbranch_execz .LBB72_211
.LBB72_287:
	v_lshlrev_b32_e32 v2, 3, v11
	ds_read_b64 v[12:13], v2
	ds_read_b64 v[16:17], v8 offset:28672
	v_lshlrev_b32_e32 v18, 3, v25
	v_mov_b32_e32 v19, 0
	s_waitcnt lgkmcnt(1)
	v_lshl_add_u64 v[12:13], v[12:13], 3, s[82:83]
	v_lshl_add_u64 v[12:13], v[12:13], 0, v[18:19]
	s_waitcnt lgkmcnt(0)
	global_store_dwordx2 v[12:13], v[16:17], off
	s_or_b64 exec, exec, s[4:5]
	s_and_saveexec_b64 s[4:5], s[66:67]
	s_cbranch_execnz .LBB72_212
.LBB72_288:
	s_or_b64 exec, exec, s[4:5]
	s_and_saveexec_b64 s[4:5], s[68:69]
	s_cbranch_execz .LBB72_213
.LBB72_289:
	v_lshlrev_b32_e32 v2, 3, v10
	ds_read_b64 v[10:11], v2
	ds_read_b64 v[12:13], v8 offset:32768
	v_lshlrev_b32_e32 v16, 3, v27
	v_mov_b32_e32 v17, 0
	s_waitcnt lgkmcnt(1)
	v_lshl_add_u64 v[10:11], v[10:11], 3, s[82:83]
	v_lshl_add_u64 v[10:11], v[10:11], 0, v[16:17]
	s_waitcnt lgkmcnt(0)
	global_store_dwordx2 v[10:11], v[12:13], off
	s_or_b64 exec, exec, s[4:5]
	s_and_saveexec_b64 s[4:5], s[70:71]
	s_cbranch_execnz .LBB72_214
.LBB72_290:
	s_or_b64 exec, exec, s[4:5]
	s_and_saveexec_b64 s[4:5], s[72:73]
	s_cbranch_execz .LBB72_215
.LBB72_291:
	v_lshlrev_b32_e32 v2, 3, v3
	ds_read_b64 v[2:3], v2
	ds_read_b64 v[10:11], v8 offset:36864
	v_lshlrev_b32_e32 v12, 3, v43
	v_mov_b32_e32 v13, 0
	s_waitcnt lgkmcnt(1)
	v_lshl_add_u64 v[2:3], v[2:3], 3, s[82:83]
	v_lshl_add_u64 v[2:3], v[2:3], 0, v[12:13]
	s_waitcnt lgkmcnt(0)
	global_store_dwordx2 v[2:3], v[10:11], off
	s_or_b64 exec, exec, s[4:5]
	s_add_i32 s33, s33, -1
	s_cmp_eq_u32 s2, s33
	s_cbranch_scc1 .LBB72_216
	s_branch .LBB72_217
	.section	.rodata,"a",@progbits
	.p2align	6, 0x0
	.amdhsa_kernel _ZN7rocprim17ROCPRIM_304000_NS6detail25onesweep_iteration_kernelINS1_34wrapped_radix_sort_onesweep_configINS0_14default_configEsN2at4cuda3cub6detail10OpaqueTypeILi8EEEEELb0EPKsPsPKSA_PSA_mNS0_19identity_decomposerEEEvT1_T2_T3_T4_jPT5_SO_PNS1_23onesweep_lookback_stateET6_jjj
		.amdhsa_group_segment_fixed_size 38912
		.amdhsa_private_segment_fixed_size 0
		.amdhsa_kernarg_size 336
		.amdhsa_user_sgpr_count 2
		.amdhsa_user_sgpr_dispatch_ptr 0
		.amdhsa_user_sgpr_queue_ptr 0
		.amdhsa_user_sgpr_kernarg_segment_ptr 1
		.amdhsa_user_sgpr_dispatch_id 0
		.amdhsa_user_sgpr_kernarg_preload_length 0
		.amdhsa_user_sgpr_kernarg_preload_offset 0
		.amdhsa_user_sgpr_private_segment_size 0
		.amdhsa_uses_dynamic_stack 0
		.amdhsa_enable_private_segment 0
		.amdhsa_system_sgpr_workgroup_id_x 1
		.amdhsa_system_sgpr_workgroup_id_y 0
		.amdhsa_system_sgpr_workgroup_id_z 0
		.amdhsa_system_sgpr_workgroup_info 0
		.amdhsa_system_vgpr_workitem_id 2
		.amdhsa_next_free_vgpr 100
		.amdhsa_next_free_sgpr 97
		.amdhsa_accum_offset 100
		.amdhsa_reserve_vcc 1
		.amdhsa_float_round_mode_32 0
		.amdhsa_float_round_mode_16_64 0
		.amdhsa_float_denorm_mode_32 3
		.amdhsa_float_denorm_mode_16_64 3
		.amdhsa_dx10_clamp 1
		.amdhsa_ieee_mode 1
		.amdhsa_fp16_overflow 0
		.amdhsa_tg_split 0
		.amdhsa_exception_fp_ieee_invalid_op 0
		.amdhsa_exception_fp_denorm_src 0
		.amdhsa_exception_fp_ieee_div_zero 0
		.amdhsa_exception_fp_ieee_overflow 0
		.amdhsa_exception_fp_ieee_underflow 0
		.amdhsa_exception_fp_ieee_inexact 0
		.amdhsa_exception_int_div_zero 0
	.end_amdhsa_kernel
	.section	.text._ZN7rocprim17ROCPRIM_304000_NS6detail25onesweep_iteration_kernelINS1_34wrapped_radix_sort_onesweep_configINS0_14default_configEsN2at4cuda3cub6detail10OpaqueTypeILi8EEEEELb0EPKsPsPKSA_PSA_mNS0_19identity_decomposerEEEvT1_T2_T3_T4_jPT5_SO_PNS1_23onesweep_lookback_stateET6_jjj,"axG",@progbits,_ZN7rocprim17ROCPRIM_304000_NS6detail25onesweep_iteration_kernelINS1_34wrapped_radix_sort_onesweep_configINS0_14default_configEsN2at4cuda3cub6detail10OpaqueTypeILi8EEEEELb0EPKsPsPKSA_PSA_mNS0_19identity_decomposerEEEvT1_T2_T3_T4_jPT5_SO_PNS1_23onesweep_lookback_stateET6_jjj,comdat
.Lfunc_end72:
	.size	_ZN7rocprim17ROCPRIM_304000_NS6detail25onesweep_iteration_kernelINS1_34wrapped_radix_sort_onesweep_configINS0_14default_configEsN2at4cuda3cub6detail10OpaqueTypeILi8EEEEELb0EPKsPsPKSA_PSA_mNS0_19identity_decomposerEEEvT1_T2_T3_T4_jPT5_SO_PNS1_23onesweep_lookback_stateET6_jjj, .Lfunc_end72-_ZN7rocprim17ROCPRIM_304000_NS6detail25onesweep_iteration_kernelINS1_34wrapped_radix_sort_onesweep_configINS0_14default_configEsN2at4cuda3cub6detail10OpaqueTypeILi8EEEEELb0EPKsPsPKSA_PSA_mNS0_19identity_decomposerEEEvT1_T2_T3_T4_jPT5_SO_PNS1_23onesweep_lookback_stateET6_jjj
                                        ; -- End function
	.set _ZN7rocprim17ROCPRIM_304000_NS6detail25onesweep_iteration_kernelINS1_34wrapped_radix_sort_onesweep_configINS0_14default_configEsN2at4cuda3cub6detail10OpaqueTypeILi8EEEEELb0EPKsPsPKSA_PSA_mNS0_19identity_decomposerEEEvT1_T2_T3_T4_jPT5_SO_PNS1_23onesweep_lookback_stateET6_jjj.num_vgpr, 100
	.set _ZN7rocprim17ROCPRIM_304000_NS6detail25onesweep_iteration_kernelINS1_34wrapped_radix_sort_onesweep_configINS0_14default_configEsN2at4cuda3cub6detail10OpaqueTypeILi8EEEEELb0EPKsPsPKSA_PSA_mNS0_19identity_decomposerEEEvT1_T2_T3_T4_jPT5_SO_PNS1_23onesweep_lookback_stateET6_jjj.num_agpr, 0
	.set _ZN7rocprim17ROCPRIM_304000_NS6detail25onesweep_iteration_kernelINS1_34wrapped_radix_sort_onesweep_configINS0_14default_configEsN2at4cuda3cub6detail10OpaqueTypeILi8EEEEELb0EPKsPsPKSA_PSA_mNS0_19identity_decomposerEEEvT1_T2_T3_T4_jPT5_SO_PNS1_23onesweep_lookback_stateET6_jjj.numbered_sgpr, 97
	.set _ZN7rocprim17ROCPRIM_304000_NS6detail25onesweep_iteration_kernelINS1_34wrapped_radix_sort_onesweep_configINS0_14default_configEsN2at4cuda3cub6detail10OpaqueTypeILi8EEEEELb0EPKsPsPKSA_PSA_mNS0_19identity_decomposerEEEvT1_T2_T3_T4_jPT5_SO_PNS1_23onesweep_lookback_stateET6_jjj.num_named_barrier, 0
	.set _ZN7rocprim17ROCPRIM_304000_NS6detail25onesweep_iteration_kernelINS1_34wrapped_radix_sort_onesweep_configINS0_14default_configEsN2at4cuda3cub6detail10OpaqueTypeILi8EEEEELb0EPKsPsPKSA_PSA_mNS0_19identity_decomposerEEEvT1_T2_T3_T4_jPT5_SO_PNS1_23onesweep_lookback_stateET6_jjj.private_seg_size, 0
	.set _ZN7rocprim17ROCPRIM_304000_NS6detail25onesweep_iteration_kernelINS1_34wrapped_radix_sort_onesweep_configINS0_14default_configEsN2at4cuda3cub6detail10OpaqueTypeILi8EEEEELb0EPKsPsPKSA_PSA_mNS0_19identity_decomposerEEEvT1_T2_T3_T4_jPT5_SO_PNS1_23onesweep_lookback_stateET6_jjj.uses_vcc, 1
	.set _ZN7rocprim17ROCPRIM_304000_NS6detail25onesweep_iteration_kernelINS1_34wrapped_radix_sort_onesweep_configINS0_14default_configEsN2at4cuda3cub6detail10OpaqueTypeILi8EEEEELb0EPKsPsPKSA_PSA_mNS0_19identity_decomposerEEEvT1_T2_T3_T4_jPT5_SO_PNS1_23onesweep_lookback_stateET6_jjj.uses_flat_scratch, 0
	.set _ZN7rocprim17ROCPRIM_304000_NS6detail25onesweep_iteration_kernelINS1_34wrapped_radix_sort_onesweep_configINS0_14default_configEsN2at4cuda3cub6detail10OpaqueTypeILi8EEEEELb0EPKsPsPKSA_PSA_mNS0_19identity_decomposerEEEvT1_T2_T3_T4_jPT5_SO_PNS1_23onesweep_lookback_stateET6_jjj.has_dyn_sized_stack, 0
	.set _ZN7rocprim17ROCPRIM_304000_NS6detail25onesweep_iteration_kernelINS1_34wrapped_radix_sort_onesweep_configINS0_14default_configEsN2at4cuda3cub6detail10OpaqueTypeILi8EEEEELb0EPKsPsPKSA_PSA_mNS0_19identity_decomposerEEEvT1_T2_T3_T4_jPT5_SO_PNS1_23onesweep_lookback_stateET6_jjj.has_recursion, 0
	.set _ZN7rocprim17ROCPRIM_304000_NS6detail25onesweep_iteration_kernelINS1_34wrapped_radix_sort_onesweep_configINS0_14default_configEsN2at4cuda3cub6detail10OpaqueTypeILi8EEEEELb0EPKsPsPKSA_PSA_mNS0_19identity_decomposerEEEvT1_T2_T3_T4_jPT5_SO_PNS1_23onesweep_lookback_stateET6_jjj.has_indirect_call, 0
	.section	.AMDGPU.csdata,"",@progbits
; Kernel info:
; codeLenInByte = 27716
; TotalNumSgprs: 103
; NumVgprs: 100
; NumAgprs: 0
; TotalNumVgprs: 100
; ScratchSize: 0
; MemoryBound: 0
; FloatMode: 240
; IeeeMode: 1
; LDSByteSize: 38912 bytes/workgroup (compile time only)
; SGPRBlocks: 12
; VGPRBlocks: 12
; NumSGPRsForWavesPerEU: 103
; NumVGPRsForWavesPerEU: 100
; AccumOffset: 100
; Occupancy: 4
; WaveLimiterHint : 1
; COMPUTE_PGM_RSRC2:SCRATCH_EN: 0
; COMPUTE_PGM_RSRC2:USER_SGPR: 2
; COMPUTE_PGM_RSRC2:TRAP_HANDLER: 0
; COMPUTE_PGM_RSRC2:TGID_X_EN: 1
; COMPUTE_PGM_RSRC2:TGID_Y_EN: 0
; COMPUTE_PGM_RSRC2:TGID_Z_EN: 0
; COMPUTE_PGM_RSRC2:TIDIG_COMP_CNT: 2
; COMPUTE_PGM_RSRC3_GFX90A:ACCUM_OFFSET: 24
; COMPUTE_PGM_RSRC3_GFX90A:TG_SPLIT: 0
	.section	.text._ZN7rocprim17ROCPRIM_304000_NS6detail25onesweep_iteration_kernelINS1_34wrapped_radix_sort_onesweep_configINS0_14default_configEsN2at4cuda3cub6detail10OpaqueTypeILi8EEEEELb0EPsSC_PSA_SD_mNS0_19identity_decomposerEEEvT1_T2_T3_T4_jPT5_SK_PNS1_23onesweep_lookback_stateET6_jjj,"axG",@progbits,_ZN7rocprim17ROCPRIM_304000_NS6detail25onesweep_iteration_kernelINS1_34wrapped_radix_sort_onesweep_configINS0_14default_configEsN2at4cuda3cub6detail10OpaqueTypeILi8EEEEELb0EPsSC_PSA_SD_mNS0_19identity_decomposerEEEvT1_T2_T3_T4_jPT5_SK_PNS1_23onesweep_lookback_stateET6_jjj,comdat
	.protected	_ZN7rocprim17ROCPRIM_304000_NS6detail25onesweep_iteration_kernelINS1_34wrapped_radix_sort_onesweep_configINS0_14default_configEsN2at4cuda3cub6detail10OpaqueTypeILi8EEEEELb0EPsSC_PSA_SD_mNS0_19identity_decomposerEEEvT1_T2_T3_T4_jPT5_SK_PNS1_23onesweep_lookback_stateET6_jjj ; -- Begin function _ZN7rocprim17ROCPRIM_304000_NS6detail25onesweep_iteration_kernelINS1_34wrapped_radix_sort_onesweep_configINS0_14default_configEsN2at4cuda3cub6detail10OpaqueTypeILi8EEEEELb0EPsSC_PSA_SD_mNS0_19identity_decomposerEEEvT1_T2_T3_T4_jPT5_SK_PNS1_23onesweep_lookback_stateET6_jjj
	.globl	_ZN7rocprim17ROCPRIM_304000_NS6detail25onesweep_iteration_kernelINS1_34wrapped_radix_sort_onesweep_configINS0_14default_configEsN2at4cuda3cub6detail10OpaqueTypeILi8EEEEELb0EPsSC_PSA_SD_mNS0_19identity_decomposerEEEvT1_T2_T3_T4_jPT5_SK_PNS1_23onesweep_lookback_stateET6_jjj
	.p2align	8
	.type	_ZN7rocprim17ROCPRIM_304000_NS6detail25onesweep_iteration_kernelINS1_34wrapped_radix_sort_onesweep_configINS0_14default_configEsN2at4cuda3cub6detail10OpaqueTypeILi8EEEEELb0EPsSC_PSA_SD_mNS0_19identity_decomposerEEEvT1_T2_T3_T4_jPT5_SK_PNS1_23onesweep_lookback_stateET6_jjj,@function
_ZN7rocprim17ROCPRIM_304000_NS6detail25onesweep_iteration_kernelINS1_34wrapped_radix_sort_onesweep_configINS0_14default_configEsN2at4cuda3cub6detail10OpaqueTypeILi8EEEEELb0EPsSC_PSA_SD_mNS0_19identity_decomposerEEEvT1_T2_T3_T4_jPT5_SK_PNS1_23onesweep_lookback_stateET6_jjj: ; @_ZN7rocprim17ROCPRIM_304000_NS6detail25onesweep_iteration_kernelINS1_34wrapped_radix_sort_onesweep_configINS0_14default_configEsN2at4cuda3cub6detail10OpaqueTypeILi8EEEEELb0EPsSC_PSA_SD_mNS0_19identity_decomposerEEEvT1_T2_T3_T4_jPT5_SK_PNS1_23onesweep_lookback_stateET6_jjj
; %bb.0:
	s_load_dwordx8 s[76:83], s[0:1], 0x0
	s_load_dwordx4 s[88:91], s[0:1], 0x44
	s_load_dwordx4 s[84:87], s[0:1], 0x28
	s_load_dwordx2 s[94:95], s[0:1], 0x38
	s_mov_b32 s3, s2
	s_mov_b64 s[4:5], -1
	s_waitcnt lgkmcnt(0)
	s_cmp_ge_u32 s2, s90
	s_mul_i32 s92, s2, 0x1200
	v_mbcnt_lo_u32_b32 v1, -1, 0
	s_cbranch_scc0 .LBB73_218
; %bb.1:
	s_load_dword s6, s[0:1], 0x20
	s_mulk_i32 s90, 0xee00
	s_mov_b32 s93, 0
	s_lshl_b64 s[4:5], s[92:93], 1
	v_mbcnt_hi_u32_b32 v3, -1, v1
	s_waitcnt lgkmcnt(0)
	s_add_i32 s90, s90, s6
	s_add_u32 s4, s76, s4
	v_and_b32_e32 v19, 0xc0, v0
	s_addc_u32 s5, s77, s5
	v_mul_u32_u24_e32 v14, 18, v19
	v_mov_b32_e32 v5, 0
	v_lshlrev_b32_e32 v4, 1, v3
	v_lshl_add_u64 v[6:7], s[4:5], 0, v[4:5]
	v_lshlrev_b32_e32 v4, 1, v14
	v_lshl_add_u64 v[4:5], v[6:7], 0, v[4:5]
	v_or_b32_e32 v6, v3, v14
	v_cmp_gt_u32_e32 vcc, s90, v6
	v_mov_b32_e32 v8, -1
	v_mov_b32_e32 v9, -1
	s_and_saveexec_b64 s[4:5], vcc
	s_cbranch_execz .LBB73_3
; %bb.2:
	global_load_ushort v2, v[4:5], off
	s_waitcnt vmcnt(0)
	v_xor_b32_e32 v9, 0xffff8000, v2
.LBB73_3:
	s_or_b64 exec, exec, s[4:5]
	v_add_u32_e32 v2, 64, v6
	v_cmp_gt_u32_e64 s[74:75], s90, v2
	s_and_saveexec_b64 s[4:5], s[74:75]
	s_cbranch_execz .LBB73_5
; %bb.4:
	global_load_ushort v2, v[4:5], off offset:128
	s_waitcnt vmcnt(0)
	v_xor_b32_e32 v8, 0xffff8000, v2
.LBB73_5:
	s_or_b64 exec, exec, s[4:5]
	v_add_u32_e32 v2, 0x80, v6
	v_cmp_gt_u32_e64 s[4:5], s90, v2
	v_mov_b32_e32 v10, -1
	v_mov_b32_e32 v11, -1
	s_and_saveexec_b64 s[6:7], s[4:5]
	s_cbranch_execz .LBB73_7
; %bb.6:
	global_load_ushort v2, v[4:5], off offset:256
	s_waitcnt vmcnt(0)
	v_xor_b32_e32 v11, 0xffff8000, v2
.LBB73_7:
	s_or_b64 exec, exec, s[6:7]
	v_add_u32_e32 v2, 0xc0, v6
	v_cmp_gt_u32_e64 s[10:11], s90, v2
	s_and_saveexec_b64 s[6:7], s[10:11]
	s_cbranch_execz .LBB73_9
; %bb.8:
	global_load_ushort v2, v[4:5], off offset:384
	s_waitcnt vmcnt(0)
	v_xor_b32_e32 v10, 0xffff8000, v2
.LBB73_9:
	s_or_b64 exec, exec, s[6:7]
	v_add_u32_e32 v2, 0x100, v6
	v_cmp_gt_u32_e64 s[16:17], s90, v2
	v_mov_b32_e32 v12, -1
	v_mov_b32_e32 v13, -1
	s_and_saveexec_b64 s[6:7], s[16:17]
	s_cbranch_execz .LBB73_11
; %bb.10:
	global_load_ushort v2, v[4:5], off offset:512
	s_waitcnt vmcnt(0)
	v_xor_b32_e32 v13, 0xffff8000, v2
.LBB73_11:
	;; [unrolled: 22-line block ×8, first 2 shown]
	s_or_b64 exec, exec, s[6:7]
	v_add_u32_e32 v6, 0x440, v6
	v_and_b32_e32 v2, 0x3ff, v0
	v_cmp_gt_u32_e64 s[6:7], s90, v6
	s_and_saveexec_b64 s[38:39], s[6:7]
	s_cbranch_execz .LBB73_37
; %bb.36:
	global_load_ushort v4, v[4:5], off offset:2176
	s_waitcnt vmcnt(0)
	v_xor_b32_e32 v26, 0xffff8000, v4
.LBB73_37:
	s_or_b64 exec, exec, s[38:39]
	s_load_dword s38, s[0:1], 0x5c
	s_load_dword s33, s[0:1], 0x50
	s_add_u32 s39, s0, 0x50
	s_addc_u32 s40, s1, 0
	v_mov_b32_e32 v5, 0
	s_waitcnt lgkmcnt(0)
	s_lshr_b32 s41, s38, 16
	s_cmp_lt_u32 s2, s33
	s_cselect_b32 s38, 12, 18
	s_add_u32 s38, s39, s38
	s_addc_u32 s39, s40, 0
	global_load_ushort v29, v5, s[38:39]
	v_lshrrev_b32_sdwa v31, s88, v9 dst_sel:DWORD dst_unused:UNUSED_PAD src0_sel:DWORD src1_sel:WORD_0
	s_lshl_b32 s38, -1, s89
	v_bfe_u32 v4, v0, 10, 10
	v_bfe_u32 v7, v0, 20, 10
	v_bitop3_b32 v45, v31, s38, v31 bitop3:0x30
	v_mad_u32_u24 v44, v7, s41, v4
	v_and_b32_e32 v4, 1, v45
	v_lshlrev_b32_e32 v7, 30, v45
	v_mov_b32_e32 v6, v5
	v_mov_b32_e32 v32, v5
	s_not_b32 s96, s38
	v_lshlrev_b32_e32 v31, 29, v45
	v_lshlrev_b32_e32 v33, 28, v45
	v_lshl_add_u64 v[42:43], v[4:5], 0, -1
	v_cmp_ne_u32_e64 s[38:39], 0, v4
	v_not_b32_e32 v4, v7
	v_mov_b32_e32 v30, v5
	v_mov_b32_e32 v34, v5
	v_lshlrev_b32_e32 v35, 27, v45
	v_cmp_gt_i64_e64 s[40:41], 0, v[6:7]
	v_not_b32_e32 v6, v31
	v_cmp_gt_i64_e64 s[44:45], 0, v[32:33]
	v_not_b32_e32 v7, v33
	v_xor_b32_e32 v33, s39, v43
	v_ashrrev_i32_e32 v4, 31, v4
	v_mov_b32_e32 v36, v5
	v_lshlrev_b32_e32 v37, 26, v45
	v_cmp_gt_i64_e64 s[42:43], 0, v[30:31]
	v_cmp_gt_i64_e64 s[46:47], 0, v[34:35]
	v_not_b32_e32 v30, v35
	v_xor_b32_e32 v34, s38, v42
	v_ashrrev_i32_e32 v6, 31, v6
	v_and_b32_e32 v33, exec_hi, v33
	v_xor_b32_e32 v35, s41, v4
	v_cmp_gt_i64_e64 s[48:49], 0, v[36:37]
	v_ashrrev_i32_e32 v7, 31, v7
	v_and_b32_e32 v34, exec_lo, v34
	v_xor_b32_e32 v4, s40, v4
	v_xor_b32_e32 v36, s43, v6
	v_and_b32_e32 v33, v33, v35
	v_mov_b32_e32 v38, v5
	v_lshlrev_b32_e32 v39, 25, v45
	v_not_b32_e32 v31, v37
	v_ashrrev_i32_e32 v30, 31, v30
	v_xor_b32_e32 v6, s42, v6
	v_xor_b32_e32 v37, s45, v7
	v_and_b32_e32 v4, v34, v4
	v_and_b32_e32 v33, v33, v36
	v_cmp_gt_i64_e64 s[50:51], 0, v[38:39]
	v_not_b32_e32 v32, v39
	v_ashrrev_i32_e32 v31, 31, v31
	v_xor_b32_e32 v7, s44, v7
	v_xor_b32_e32 v38, s47, v30
	v_and_b32_e32 v4, v4, v6
	v_and_b32_e32 v6, v33, v37
	v_mov_b32_e32 v40, v5
	v_lshlrev_b32_e32 v41, 24, v45
	v_ashrrev_i32_e32 v32, 31, v32
	v_xor_b32_e32 v30, s46, v30
	v_xor_b32_e32 v39, s49, v31
	v_and_b32_e32 v4, v4, v7
	v_and_b32_e32 v6, v6, v38
	v_cmp_gt_i64_e64 s[52:53], 0, v[40:41]
	v_xor_b32_e32 v31, s48, v31
	v_xor_b32_e32 v40, s51, v32
	v_and_b32_e32 v4, v4, v30
	v_and_b32_e32 v6, v6, v39
	;; [unrolled: 1-line block ×4, first 2 shown]
	v_xor_b32_e32 v32, s50, v32
	v_and_b32_e32 v4, v4, v32
	v_mul_u32_u24_e32 v28, 20, v2
	ds_write2_b32 v28, v5, v5 offset0:4 offset1:5
	ds_write2_b32 v28, v5, v5 offset0:6 offset1:7
	ds_write_b32 v28, v5 offset:32
	s_waitcnt lgkmcnt(0)
	s_barrier
	s_waitcnt vmcnt(0)
	; wave barrier
	v_mad_u64_u32 v[6:7], s[38:39], v44, v29, v[2:3]
	v_lshrrev_b32_e32 v6, 6, v6
	v_lshlrev_b32_e32 v38, 2, v6
	v_not_b32_e32 v6, v41
	v_ashrrev_i32_e32 v6, 31, v6
	v_xor_b32_e32 v7, s53, v6
	v_xor_b32_e32 v6, s52, v6
	v_and_b32_e32 v6, v4, v6
	v_and_b32_e32 v7, v31, v7
	v_mbcnt_lo_u32_b32 v4, v6, 0
	v_mbcnt_hi_u32_b32 v29, v7, v4
	v_cmp_eq_u32_e64 s[38:39], 0, v29
	v_cmp_ne_u64_e64 s[40:41], 0, v[6:7]
	v_mad_u32_u24 v30, v45, 20, v38
	s_and_b64 s[40:41], s[40:41], s[38:39]
	s_and_saveexec_b64 s[38:39], s[40:41]
; %bb.38:
	v_bcnt_u32_b32 v4, v6, 0
	v_bcnt_u32_b32 v4, v7, v4
	ds_write_b32 v30, v4 offset:16
; %bb.39:
	s_or_b64 exec, exec, s[38:39]
	v_lshrrev_b32_sdwa v4, s88, v8 dst_sel:DWORD dst_unused:UNUSED_PAD src0_sel:DWORD src1_sel:WORD_0
	v_and_b32_e32 v33, s96, v4
	v_and_b32_e32 v4, 1, v33
	v_lshl_add_u64 v[6:7], v[4:5], 0, -1
	v_cmp_ne_u32_e64 s[38:39], 0, v4
	v_mad_u32_u24 v32, v33, 20, v38
	s_nop 0
	v_xor_b32_e32 v6, s38, v6
	v_xor_b32_e32 v4, s39, v7
	v_and_b32_e32 v34, exec_lo, v6
	v_lshlrev_b32_e32 v7, 30, v33
	v_mov_b32_e32 v6, v5
	v_cmp_gt_i64_e64 s[38:39], 0, v[6:7]
	v_not_b32_e32 v6, v7
	v_ashrrev_i32_e32 v6, 31, v6
	v_and_b32_e32 v4, exec_hi, v4
	v_xor_b32_e32 v7, s39, v6
	v_xor_b32_e32 v6, s38, v6
	v_and_b32_e32 v4, v4, v7
	v_and_b32_e32 v34, v34, v6
	v_lshlrev_b32_e32 v7, 29, v33
	v_mov_b32_e32 v6, v5
	v_cmp_gt_i64_e64 s[38:39], 0, v[6:7]
	v_not_b32_e32 v6, v7
	v_ashrrev_i32_e32 v6, 31, v6
	v_xor_b32_e32 v7, s39, v6
	v_xor_b32_e32 v6, s38, v6
	v_and_b32_e32 v4, v4, v7
	v_and_b32_e32 v34, v34, v6
	v_lshlrev_b32_e32 v7, 28, v33
	v_mov_b32_e32 v6, v5
	v_cmp_gt_i64_e64 s[38:39], 0, v[6:7]
	v_not_b32_e32 v6, v7
	v_ashrrev_i32_e32 v6, 31, v6
	;; [unrolled: 9-line block ×5, first 2 shown]
	v_xor_b32_e32 v7, s39, v6
	v_xor_b32_e32 v6, s38, v6
	v_and_b32_e32 v4, v4, v7
	v_lshlrev_b32_e32 v7, 24, v33
	v_and_b32_e32 v34, v34, v6
	v_mov_b32_e32 v6, v5
	v_not_b32_e32 v5, v7
	v_cmp_gt_i64_e64 s[38:39], 0, v[6:7]
	v_ashrrev_i32_e32 v5, 31, v5
	; wave barrier
	s_nop 0
	v_xor_b32_e32 v6, s39, v5
	v_xor_b32_e32 v7, s38, v5
	ds_read_b32 v31, v32 offset:16
	v_and_b32_e32 v5, v4, v6
	v_and_b32_e32 v4, v34, v7
	v_mbcnt_lo_u32_b32 v6, v4, 0
	v_mbcnt_hi_u32_b32 v33, v5, v6
	v_cmp_eq_u32_e64 s[38:39], 0, v33
	v_cmp_ne_u64_e64 s[40:41], 0, v[4:5]
	s_and_b64 s[40:41], s[40:41], s[38:39]
	; wave barrier
	s_and_saveexec_b64 s[38:39], s[40:41]
	s_cbranch_execz .LBB73_41
; %bb.40:
	v_bcnt_u32_b32 v4, v4, 0
	v_bcnt_u32_b32 v4, v5, v4
	s_waitcnt lgkmcnt(0)
	v_add_u32_e32 v4, v31, v4
	ds_write_b32 v32, v4 offset:16
.LBB73_41:
	s_or_b64 exec, exec, s[38:39]
	v_lshrrev_b32_sdwa v4, s88, v11 dst_sel:DWORD dst_unused:UNUSED_PAD src0_sel:DWORD src1_sel:WORD_0
	v_and_b32_e32 v36, s96, v4
	v_and_b32_e32 v4, 1, v36
	v_mov_b32_e32 v5, 0
	v_lshl_add_u64 v[6:7], v[4:5], 0, -1
	v_cmp_ne_u32_e64 s[38:39], 0, v4
	v_mad_u32_u24 v35, v36, 20, v38
	s_nop 0
	v_xor_b32_e32 v6, s38, v6
	v_xor_b32_e32 v4, s39, v7
	v_and_b32_e32 v37, exec_lo, v6
	v_lshlrev_b32_e32 v7, 30, v36
	v_mov_b32_e32 v6, v5
	v_cmp_gt_i64_e64 s[38:39], 0, v[6:7]
	v_not_b32_e32 v6, v7
	v_ashrrev_i32_e32 v6, 31, v6
	v_and_b32_e32 v4, exec_hi, v4
	v_xor_b32_e32 v7, s39, v6
	v_xor_b32_e32 v6, s38, v6
	v_and_b32_e32 v4, v4, v7
	v_and_b32_e32 v37, v37, v6
	v_lshlrev_b32_e32 v7, 29, v36
	v_mov_b32_e32 v6, v5
	v_cmp_gt_i64_e64 s[38:39], 0, v[6:7]
	v_not_b32_e32 v6, v7
	v_ashrrev_i32_e32 v6, 31, v6
	v_xor_b32_e32 v7, s39, v6
	v_xor_b32_e32 v6, s38, v6
	v_and_b32_e32 v4, v4, v7
	v_and_b32_e32 v37, v37, v6
	v_lshlrev_b32_e32 v7, 28, v36
	v_mov_b32_e32 v6, v5
	v_cmp_gt_i64_e64 s[38:39], 0, v[6:7]
	v_not_b32_e32 v6, v7
	v_ashrrev_i32_e32 v6, 31, v6
	;; [unrolled: 9-line block ×6, first 2 shown]
	v_xor_b32_e32 v7, s39, v6
	v_xor_b32_e32 v6, s38, v6
	; wave barrier
	ds_read_b32 v34, v35 offset:16
	v_and_b32_e32 v6, v37, v6
	v_and_b32_e32 v7, v4, v7
	v_mbcnt_lo_u32_b32 v4, v6, 0
	v_mbcnt_hi_u32_b32 v36, v7, v4
	v_cmp_eq_u32_e64 s[38:39], 0, v36
	v_cmp_ne_u64_e64 s[40:41], 0, v[6:7]
	s_and_b64 s[40:41], s[40:41], s[38:39]
	; wave barrier
	s_and_saveexec_b64 s[38:39], s[40:41]
	s_cbranch_execz .LBB73_43
; %bb.42:
	v_bcnt_u32_b32 v4, v6, 0
	v_bcnt_u32_b32 v4, v7, v4
	s_waitcnt lgkmcnt(0)
	v_add_u32_e32 v4, v34, v4
	ds_write_b32 v35, v4 offset:16
.LBB73_43:
	s_or_b64 exec, exec, s[38:39]
	v_lshrrev_b32_sdwa v4, s88, v10 dst_sel:DWORD dst_unused:UNUSED_PAD src0_sel:DWORD src1_sel:WORD_0
	v_and_b32_e32 v40, s96, v4
	v_and_b32_e32 v4, 1, v40
	v_lshl_add_u64 v[6:7], v[4:5], 0, -1
	v_cmp_ne_u32_e64 s[38:39], 0, v4
	v_mad_u32_u24 v39, v40, 20, v38
	s_nop 0
	v_xor_b32_e32 v6, s38, v6
	v_xor_b32_e32 v4, s39, v7
	v_and_b32_e32 v41, exec_lo, v6
	v_lshlrev_b32_e32 v7, 30, v40
	v_mov_b32_e32 v6, v5
	v_cmp_gt_i64_e64 s[38:39], 0, v[6:7]
	v_not_b32_e32 v6, v7
	v_ashrrev_i32_e32 v6, 31, v6
	v_and_b32_e32 v4, exec_hi, v4
	v_xor_b32_e32 v7, s39, v6
	v_xor_b32_e32 v6, s38, v6
	v_and_b32_e32 v4, v4, v7
	v_and_b32_e32 v41, v41, v6
	v_lshlrev_b32_e32 v7, 29, v40
	v_mov_b32_e32 v6, v5
	v_cmp_gt_i64_e64 s[38:39], 0, v[6:7]
	v_not_b32_e32 v6, v7
	v_ashrrev_i32_e32 v6, 31, v6
	v_xor_b32_e32 v7, s39, v6
	v_xor_b32_e32 v6, s38, v6
	v_and_b32_e32 v4, v4, v7
	v_and_b32_e32 v41, v41, v6
	v_lshlrev_b32_e32 v7, 28, v40
	v_mov_b32_e32 v6, v5
	v_cmp_gt_i64_e64 s[38:39], 0, v[6:7]
	v_not_b32_e32 v6, v7
	v_ashrrev_i32_e32 v6, 31, v6
	;; [unrolled: 9-line block ×5, first 2 shown]
	v_xor_b32_e32 v7, s39, v6
	v_xor_b32_e32 v6, s38, v6
	v_and_b32_e32 v4, v4, v7
	v_lshlrev_b32_e32 v7, 24, v40
	v_and_b32_e32 v41, v41, v6
	v_mov_b32_e32 v6, v5
	v_not_b32_e32 v5, v7
	v_cmp_gt_i64_e64 s[38:39], 0, v[6:7]
	v_ashrrev_i32_e32 v5, 31, v5
	; wave barrier
	s_nop 0
	v_xor_b32_e32 v6, s39, v5
	v_xor_b32_e32 v7, s38, v5
	ds_read_b32 v37, v39 offset:16
	v_and_b32_e32 v5, v4, v6
	v_and_b32_e32 v4, v41, v7
	v_mbcnt_lo_u32_b32 v6, v4, 0
	v_mbcnt_hi_u32_b32 v40, v5, v6
	v_cmp_eq_u32_e64 s[38:39], 0, v40
	v_cmp_ne_u64_e64 s[40:41], 0, v[4:5]
	s_and_b64 s[40:41], s[40:41], s[38:39]
	; wave barrier
	s_and_saveexec_b64 s[38:39], s[40:41]
	s_cbranch_execz .LBB73_45
; %bb.44:
	v_bcnt_u32_b32 v4, v4, 0
	v_bcnt_u32_b32 v4, v5, v4
	s_waitcnt lgkmcnt(0)
	v_add_u32_e32 v4, v37, v4
	ds_write_b32 v39, v4 offset:16
.LBB73_45:
	s_or_b64 exec, exec, s[38:39]
	v_lshrrev_b32_sdwa v4, s88, v13 dst_sel:DWORD dst_unused:UNUSED_PAD src0_sel:DWORD src1_sel:WORD_0
	v_and_b32_e32 v43, s96, v4
	v_and_b32_e32 v4, 1, v43
	v_mov_b32_e32 v5, 0
	v_lshl_add_u64 v[6:7], v[4:5], 0, -1
	v_cmp_ne_u32_e64 s[38:39], 0, v4
	v_mad_u32_u24 v42, v43, 20, v38
	s_nop 0
	v_xor_b32_e32 v6, s38, v6
	v_xor_b32_e32 v4, s39, v7
	v_and_b32_e32 v44, exec_lo, v6
	v_lshlrev_b32_e32 v7, 30, v43
	v_mov_b32_e32 v6, v5
	v_cmp_gt_i64_e64 s[38:39], 0, v[6:7]
	v_not_b32_e32 v6, v7
	v_ashrrev_i32_e32 v6, 31, v6
	v_and_b32_e32 v4, exec_hi, v4
	v_xor_b32_e32 v7, s39, v6
	v_xor_b32_e32 v6, s38, v6
	v_and_b32_e32 v4, v4, v7
	v_and_b32_e32 v44, v44, v6
	v_lshlrev_b32_e32 v7, 29, v43
	v_mov_b32_e32 v6, v5
	v_cmp_gt_i64_e64 s[38:39], 0, v[6:7]
	v_not_b32_e32 v6, v7
	v_ashrrev_i32_e32 v6, 31, v6
	v_xor_b32_e32 v7, s39, v6
	v_xor_b32_e32 v6, s38, v6
	v_and_b32_e32 v4, v4, v7
	v_and_b32_e32 v44, v44, v6
	v_lshlrev_b32_e32 v7, 28, v43
	v_mov_b32_e32 v6, v5
	v_cmp_gt_i64_e64 s[38:39], 0, v[6:7]
	v_not_b32_e32 v6, v7
	v_ashrrev_i32_e32 v6, 31, v6
	;; [unrolled: 9-line block ×6, first 2 shown]
	v_xor_b32_e32 v7, s39, v6
	v_xor_b32_e32 v6, s38, v6
	; wave barrier
	ds_read_b32 v41, v42 offset:16
	v_and_b32_e32 v6, v44, v6
	v_and_b32_e32 v7, v4, v7
	v_mbcnt_lo_u32_b32 v4, v6, 0
	v_mbcnt_hi_u32_b32 v43, v7, v4
	v_cmp_eq_u32_e64 s[38:39], 0, v43
	v_cmp_ne_u64_e64 s[40:41], 0, v[6:7]
	s_and_b64 s[40:41], s[40:41], s[38:39]
	; wave barrier
	s_and_saveexec_b64 s[38:39], s[40:41]
	s_cbranch_execz .LBB73_47
; %bb.46:
	v_bcnt_u32_b32 v4, v6, 0
	v_bcnt_u32_b32 v4, v7, v4
	s_waitcnt lgkmcnt(0)
	v_add_u32_e32 v4, v41, v4
	ds_write_b32 v42, v4 offset:16
.LBB73_47:
	s_or_b64 exec, exec, s[38:39]
	v_lshrrev_b32_sdwa v4, s88, v12 dst_sel:DWORD dst_unused:UNUSED_PAD src0_sel:DWORD src1_sel:WORD_0
	v_and_b32_e32 v46, s96, v4
	v_and_b32_e32 v4, 1, v46
	v_lshl_add_u64 v[6:7], v[4:5], 0, -1
	v_cmp_ne_u32_e64 s[38:39], 0, v4
	v_mad_u32_u24 v45, v46, 20, v38
	s_nop 0
	v_xor_b32_e32 v6, s38, v6
	v_xor_b32_e32 v4, s39, v7
	v_and_b32_e32 v47, exec_lo, v6
	v_lshlrev_b32_e32 v7, 30, v46
	v_mov_b32_e32 v6, v5
	v_cmp_gt_i64_e64 s[38:39], 0, v[6:7]
	v_not_b32_e32 v6, v7
	v_ashrrev_i32_e32 v6, 31, v6
	v_and_b32_e32 v4, exec_hi, v4
	v_xor_b32_e32 v7, s39, v6
	v_xor_b32_e32 v6, s38, v6
	v_and_b32_e32 v4, v4, v7
	v_and_b32_e32 v47, v47, v6
	v_lshlrev_b32_e32 v7, 29, v46
	v_mov_b32_e32 v6, v5
	v_cmp_gt_i64_e64 s[38:39], 0, v[6:7]
	v_not_b32_e32 v6, v7
	v_ashrrev_i32_e32 v6, 31, v6
	v_xor_b32_e32 v7, s39, v6
	v_xor_b32_e32 v6, s38, v6
	v_and_b32_e32 v4, v4, v7
	v_and_b32_e32 v47, v47, v6
	v_lshlrev_b32_e32 v7, 28, v46
	v_mov_b32_e32 v6, v5
	v_cmp_gt_i64_e64 s[38:39], 0, v[6:7]
	v_not_b32_e32 v6, v7
	v_ashrrev_i32_e32 v6, 31, v6
	;; [unrolled: 9-line block ×5, first 2 shown]
	v_xor_b32_e32 v7, s39, v6
	v_xor_b32_e32 v6, s38, v6
	v_and_b32_e32 v4, v4, v7
	v_lshlrev_b32_e32 v7, 24, v46
	v_and_b32_e32 v47, v47, v6
	v_mov_b32_e32 v6, v5
	v_not_b32_e32 v5, v7
	v_cmp_gt_i64_e64 s[38:39], 0, v[6:7]
	v_ashrrev_i32_e32 v5, 31, v5
	; wave barrier
	s_nop 0
	v_xor_b32_e32 v6, s39, v5
	v_xor_b32_e32 v7, s38, v5
	ds_read_b32 v44, v45 offset:16
	v_and_b32_e32 v5, v4, v6
	v_and_b32_e32 v4, v47, v7
	v_mbcnt_lo_u32_b32 v6, v4, 0
	v_mbcnt_hi_u32_b32 v46, v5, v6
	v_cmp_eq_u32_e64 s[38:39], 0, v46
	v_cmp_ne_u64_e64 s[40:41], 0, v[4:5]
	s_and_b64 s[40:41], s[40:41], s[38:39]
	; wave barrier
	s_and_saveexec_b64 s[38:39], s[40:41]
	s_cbranch_execz .LBB73_49
; %bb.48:
	v_bcnt_u32_b32 v4, v4, 0
	v_bcnt_u32_b32 v4, v5, v4
	s_waitcnt lgkmcnt(0)
	v_add_u32_e32 v4, v44, v4
	ds_write_b32 v45, v4 offset:16
.LBB73_49:
	s_or_b64 exec, exec, s[38:39]
	v_lshrrev_b32_sdwa v4, s88, v16 dst_sel:DWORD dst_unused:UNUSED_PAD src0_sel:DWORD src1_sel:WORD_0
	v_and_b32_e32 v49, s96, v4
	v_and_b32_e32 v4, 1, v49
	v_mov_b32_e32 v5, 0
	v_lshl_add_u64 v[6:7], v[4:5], 0, -1
	v_cmp_ne_u32_e64 s[38:39], 0, v4
	v_mad_u32_u24 v48, v49, 20, v38
	s_nop 0
	v_xor_b32_e32 v6, s38, v6
	v_xor_b32_e32 v4, s39, v7
	v_and_b32_e32 v50, exec_lo, v6
	v_lshlrev_b32_e32 v7, 30, v49
	v_mov_b32_e32 v6, v5
	v_cmp_gt_i64_e64 s[38:39], 0, v[6:7]
	v_not_b32_e32 v6, v7
	v_ashrrev_i32_e32 v6, 31, v6
	v_and_b32_e32 v4, exec_hi, v4
	v_xor_b32_e32 v7, s39, v6
	v_xor_b32_e32 v6, s38, v6
	v_and_b32_e32 v4, v4, v7
	v_and_b32_e32 v50, v50, v6
	v_lshlrev_b32_e32 v7, 29, v49
	v_mov_b32_e32 v6, v5
	v_cmp_gt_i64_e64 s[38:39], 0, v[6:7]
	v_not_b32_e32 v6, v7
	v_ashrrev_i32_e32 v6, 31, v6
	v_xor_b32_e32 v7, s39, v6
	v_xor_b32_e32 v6, s38, v6
	v_and_b32_e32 v4, v4, v7
	v_and_b32_e32 v50, v50, v6
	v_lshlrev_b32_e32 v7, 28, v49
	v_mov_b32_e32 v6, v5
	v_cmp_gt_i64_e64 s[38:39], 0, v[6:7]
	v_not_b32_e32 v6, v7
	v_ashrrev_i32_e32 v6, 31, v6
	;; [unrolled: 9-line block ×6, first 2 shown]
	v_xor_b32_e32 v7, s39, v6
	v_xor_b32_e32 v6, s38, v6
	; wave barrier
	ds_read_b32 v47, v48 offset:16
	v_and_b32_e32 v6, v50, v6
	v_and_b32_e32 v7, v4, v7
	v_mbcnt_lo_u32_b32 v4, v6, 0
	v_mbcnt_hi_u32_b32 v49, v7, v4
	v_cmp_eq_u32_e64 s[38:39], 0, v49
	v_cmp_ne_u64_e64 s[40:41], 0, v[6:7]
	s_and_b64 s[40:41], s[40:41], s[38:39]
	; wave barrier
	s_and_saveexec_b64 s[38:39], s[40:41]
	s_cbranch_execz .LBB73_51
; %bb.50:
	v_bcnt_u32_b32 v4, v6, 0
	v_bcnt_u32_b32 v4, v7, v4
	s_waitcnt lgkmcnt(0)
	v_add_u32_e32 v4, v47, v4
	ds_write_b32 v48, v4 offset:16
.LBB73_51:
	s_or_b64 exec, exec, s[38:39]
	v_lshrrev_b32_sdwa v4, s88, v15 dst_sel:DWORD dst_unused:UNUSED_PAD src0_sel:DWORD src1_sel:WORD_0
	v_and_b32_e32 v52, s96, v4
	v_and_b32_e32 v4, 1, v52
	v_lshl_add_u64 v[6:7], v[4:5], 0, -1
	v_cmp_ne_u32_e64 s[38:39], 0, v4
	v_mad_u32_u24 v51, v52, 20, v38
	s_nop 0
	v_xor_b32_e32 v6, s38, v6
	v_xor_b32_e32 v4, s39, v7
	v_and_b32_e32 v53, exec_lo, v6
	v_lshlrev_b32_e32 v7, 30, v52
	v_mov_b32_e32 v6, v5
	v_cmp_gt_i64_e64 s[38:39], 0, v[6:7]
	v_not_b32_e32 v6, v7
	v_ashrrev_i32_e32 v6, 31, v6
	v_and_b32_e32 v4, exec_hi, v4
	v_xor_b32_e32 v7, s39, v6
	v_xor_b32_e32 v6, s38, v6
	v_and_b32_e32 v4, v4, v7
	v_and_b32_e32 v53, v53, v6
	v_lshlrev_b32_e32 v7, 29, v52
	v_mov_b32_e32 v6, v5
	v_cmp_gt_i64_e64 s[38:39], 0, v[6:7]
	v_not_b32_e32 v6, v7
	v_ashrrev_i32_e32 v6, 31, v6
	v_xor_b32_e32 v7, s39, v6
	v_xor_b32_e32 v6, s38, v6
	v_and_b32_e32 v4, v4, v7
	v_and_b32_e32 v53, v53, v6
	v_lshlrev_b32_e32 v7, 28, v52
	v_mov_b32_e32 v6, v5
	v_cmp_gt_i64_e64 s[38:39], 0, v[6:7]
	v_not_b32_e32 v6, v7
	v_ashrrev_i32_e32 v6, 31, v6
	;; [unrolled: 9-line block ×5, first 2 shown]
	v_xor_b32_e32 v7, s39, v6
	v_xor_b32_e32 v6, s38, v6
	v_and_b32_e32 v4, v4, v7
	v_lshlrev_b32_e32 v7, 24, v52
	v_and_b32_e32 v53, v53, v6
	v_mov_b32_e32 v6, v5
	v_not_b32_e32 v5, v7
	v_cmp_gt_i64_e64 s[38:39], 0, v[6:7]
	v_ashrrev_i32_e32 v5, 31, v5
	; wave barrier
	s_nop 0
	v_xor_b32_e32 v6, s39, v5
	v_xor_b32_e32 v7, s38, v5
	ds_read_b32 v50, v51 offset:16
	v_and_b32_e32 v5, v4, v6
	v_and_b32_e32 v4, v53, v7
	v_mbcnt_lo_u32_b32 v6, v4, 0
	v_mbcnt_hi_u32_b32 v52, v5, v6
	v_cmp_eq_u32_e64 s[38:39], 0, v52
	v_cmp_ne_u64_e64 s[40:41], 0, v[4:5]
	s_and_b64 s[40:41], s[40:41], s[38:39]
	; wave barrier
	s_and_saveexec_b64 s[38:39], s[40:41]
	s_cbranch_execz .LBB73_53
; %bb.52:
	v_bcnt_u32_b32 v4, v4, 0
	v_bcnt_u32_b32 v4, v5, v4
	s_waitcnt lgkmcnt(0)
	v_add_u32_e32 v4, v50, v4
	ds_write_b32 v51, v4 offset:16
.LBB73_53:
	s_or_b64 exec, exec, s[38:39]
	v_lshrrev_b32_sdwa v4, s88, v18 dst_sel:DWORD dst_unused:UNUSED_PAD src0_sel:DWORD src1_sel:WORD_0
	v_and_b32_e32 v55, s96, v4
	v_and_b32_e32 v4, 1, v55
	v_mov_b32_e32 v5, 0
	v_lshl_add_u64 v[6:7], v[4:5], 0, -1
	v_cmp_ne_u32_e64 s[38:39], 0, v4
	v_mad_u32_u24 v54, v55, 20, v38
	s_nop 0
	v_xor_b32_e32 v6, s38, v6
	v_xor_b32_e32 v4, s39, v7
	v_and_b32_e32 v56, exec_lo, v6
	v_lshlrev_b32_e32 v7, 30, v55
	v_mov_b32_e32 v6, v5
	v_cmp_gt_i64_e64 s[38:39], 0, v[6:7]
	v_not_b32_e32 v6, v7
	v_ashrrev_i32_e32 v6, 31, v6
	v_and_b32_e32 v4, exec_hi, v4
	v_xor_b32_e32 v7, s39, v6
	v_xor_b32_e32 v6, s38, v6
	v_and_b32_e32 v4, v4, v7
	v_and_b32_e32 v56, v56, v6
	v_lshlrev_b32_e32 v7, 29, v55
	v_mov_b32_e32 v6, v5
	v_cmp_gt_i64_e64 s[38:39], 0, v[6:7]
	v_not_b32_e32 v6, v7
	v_ashrrev_i32_e32 v6, 31, v6
	v_xor_b32_e32 v7, s39, v6
	v_xor_b32_e32 v6, s38, v6
	v_and_b32_e32 v4, v4, v7
	v_and_b32_e32 v56, v56, v6
	v_lshlrev_b32_e32 v7, 28, v55
	v_mov_b32_e32 v6, v5
	v_cmp_gt_i64_e64 s[38:39], 0, v[6:7]
	v_not_b32_e32 v6, v7
	v_ashrrev_i32_e32 v6, 31, v6
	;; [unrolled: 9-line block ×6, first 2 shown]
	v_xor_b32_e32 v7, s39, v6
	v_xor_b32_e32 v6, s38, v6
	; wave barrier
	ds_read_b32 v53, v54 offset:16
	v_and_b32_e32 v6, v56, v6
	v_and_b32_e32 v7, v4, v7
	v_mbcnt_lo_u32_b32 v4, v6, 0
	v_mbcnt_hi_u32_b32 v55, v7, v4
	v_cmp_eq_u32_e64 s[38:39], 0, v55
	v_cmp_ne_u64_e64 s[40:41], 0, v[6:7]
	s_and_b64 s[40:41], s[40:41], s[38:39]
	; wave barrier
	s_and_saveexec_b64 s[38:39], s[40:41]
	s_cbranch_execz .LBB73_55
; %bb.54:
	v_bcnt_u32_b32 v4, v6, 0
	v_bcnt_u32_b32 v4, v7, v4
	s_waitcnt lgkmcnt(0)
	v_add_u32_e32 v4, v53, v4
	ds_write_b32 v54, v4 offset:16
.LBB73_55:
	s_or_b64 exec, exec, s[38:39]
	v_lshrrev_b32_sdwa v4, s88, v17 dst_sel:DWORD dst_unused:UNUSED_PAD src0_sel:DWORD src1_sel:WORD_0
	v_and_b32_e32 v58, s96, v4
	v_and_b32_e32 v4, 1, v58
	v_lshl_add_u64 v[6:7], v[4:5], 0, -1
	v_cmp_ne_u32_e64 s[38:39], 0, v4
	v_mad_u32_u24 v57, v58, 20, v38
	s_nop 0
	v_xor_b32_e32 v6, s38, v6
	v_xor_b32_e32 v4, s39, v7
	v_and_b32_e32 v59, exec_lo, v6
	v_lshlrev_b32_e32 v7, 30, v58
	v_mov_b32_e32 v6, v5
	v_cmp_gt_i64_e64 s[38:39], 0, v[6:7]
	v_not_b32_e32 v6, v7
	v_ashrrev_i32_e32 v6, 31, v6
	v_and_b32_e32 v4, exec_hi, v4
	v_xor_b32_e32 v7, s39, v6
	v_xor_b32_e32 v6, s38, v6
	v_and_b32_e32 v4, v4, v7
	v_and_b32_e32 v59, v59, v6
	v_lshlrev_b32_e32 v7, 29, v58
	v_mov_b32_e32 v6, v5
	v_cmp_gt_i64_e64 s[38:39], 0, v[6:7]
	v_not_b32_e32 v6, v7
	v_ashrrev_i32_e32 v6, 31, v6
	v_xor_b32_e32 v7, s39, v6
	v_xor_b32_e32 v6, s38, v6
	v_and_b32_e32 v4, v4, v7
	v_and_b32_e32 v59, v59, v6
	v_lshlrev_b32_e32 v7, 28, v58
	v_mov_b32_e32 v6, v5
	v_cmp_gt_i64_e64 s[38:39], 0, v[6:7]
	v_not_b32_e32 v6, v7
	v_ashrrev_i32_e32 v6, 31, v6
	;; [unrolled: 9-line block ×5, first 2 shown]
	v_xor_b32_e32 v7, s39, v6
	v_xor_b32_e32 v6, s38, v6
	v_and_b32_e32 v4, v4, v7
	v_lshlrev_b32_e32 v7, 24, v58
	v_and_b32_e32 v59, v59, v6
	v_mov_b32_e32 v6, v5
	v_not_b32_e32 v5, v7
	v_cmp_gt_i64_e64 s[38:39], 0, v[6:7]
	v_ashrrev_i32_e32 v5, 31, v5
	; wave barrier
	s_nop 0
	v_xor_b32_e32 v6, s39, v5
	v_xor_b32_e32 v7, s38, v5
	ds_read_b32 v56, v57 offset:16
	v_and_b32_e32 v5, v4, v6
	v_and_b32_e32 v4, v59, v7
	v_mbcnt_lo_u32_b32 v6, v4, 0
	v_mbcnt_hi_u32_b32 v58, v5, v6
	v_cmp_eq_u32_e64 s[38:39], 0, v58
	v_cmp_ne_u64_e64 s[40:41], 0, v[4:5]
	s_and_b64 s[40:41], s[40:41], s[38:39]
	; wave barrier
	s_and_saveexec_b64 s[38:39], s[40:41]
	s_cbranch_execz .LBB73_57
; %bb.56:
	v_bcnt_u32_b32 v4, v4, 0
	v_bcnt_u32_b32 v4, v5, v4
	s_waitcnt lgkmcnt(0)
	v_add_u32_e32 v4, v56, v4
	ds_write_b32 v57, v4 offset:16
.LBB73_57:
	s_or_b64 exec, exec, s[38:39]
	v_lshrrev_b32_sdwa v4, s88, v21 dst_sel:DWORD dst_unused:UNUSED_PAD src0_sel:DWORD src1_sel:WORD_0
	v_and_b32_e32 v61, s96, v4
	v_and_b32_e32 v4, 1, v61
	v_mov_b32_e32 v5, 0
	v_lshl_add_u64 v[6:7], v[4:5], 0, -1
	v_cmp_ne_u32_e64 s[38:39], 0, v4
	v_mad_u32_u24 v60, v61, 20, v38
	s_nop 0
	v_xor_b32_e32 v6, s38, v6
	v_xor_b32_e32 v4, s39, v7
	v_and_b32_e32 v62, exec_lo, v6
	v_lshlrev_b32_e32 v7, 30, v61
	v_mov_b32_e32 v6, v5
	v_cmp_gt_i64_e64 s[38:39], 0, v[6:7]
	v_not_b32_e32 v6, v7
	v_ashrrev_i32_e32 v6, 31, v6
	v_and_b32_e32 v4, exec_hi, v4
	v_xor_b32_e32 v7, s39, v6
	v_xor_b32_e32 v6, s38, v6
	v_and_b32_e32 v4, v4, v7
	v_and_b32_e32 v62, v62, v6
	v_lshlrev_b32_e32 v7, 29, v61
	v_mov_b32_e32 v6, v5
	v_cmp_gt_i64_e64 s[38:39], 0, v[6:7]
	v_not_b32_e32 v6, v7
	v_ashrrev_i32_e32 v6, 31, v6
	v_xor_b32_e32 v7, s39, v6
	v_xor_b32_e32 v6, s38, v6
	v_and_b32_e32 v4, v4, v7
	v_and_b32_e32 v62, v62, v6
	v_lshlrev_b32_e32 v7, 28, v61
	v_mov_b32_e32 v6, v5
	v_cmp_gt_i64_e64 s[38:39], 0, v[6:7]
	v_not_b32_e32 v6, v7
	v_ashrrev_i32_e32 v6, 31, v6
	;; [unrolled: 9-line block ×6, first 2 shown]
	v_xor_b32_e32 v7, s39, v6
	v_xor_b32_e32 v6, s38, v6
	; wave barrier
	ds_read_b32 v59, v60 offset:16
	v_and_b32_e32 v6, v62, v6
	v_and_b32_e32 v7, v4, v7
	v_mbcnt_lo_u32_b32 v4, v6, 0
	v_mbcnt_hi_u32_b32 v61, v7, v4
	v_cmp_eq_u32_e64 s[38:39], 0, v61
	v_cmp_ne_u64_e64 s[40:41], 0, v[6:7]
	s_and_b64 s[40:41], s[40:41], s[38:39]
	; wave barrier
	s_and_saveexec_b64 s[38:39], s[40:41]
	s_cbranch_execz .LBB73_59
; %bb.58:
	v_bcnt_u32_b32 v4, v6, 0
	v_bcnt_u32_b32 v4, v7, v4
	s_waitcnt lgkmcnt(0)
	v_add_u32_e32 v4, v59, v4
	ds_write_b32 v60, v4 offset:16
.LBB73_59:
	s_or_b64 exec, exec, s[38:39]
	v_lshrrev_b32_sdwa v4, s88, v20 dst_sel:DWORD dst_unused:UNUSED_PAD src0_sel:DWORD src1_sel:WORD_0
	v_and_b32_e32 v64, s96, v4
	v_and_b32_e32 v4, 1, v64
	v_lshl_add_u64 v[6:7], v[4:5], 0, -1
	v_cmp_ne_u32_e64 s[38:39], 0, v4
	v_mad_u32_u24 v63, v64, 20, v38
	s_nop 0
	v_xor_b32_e32 v6, s38, v6
	v_xor_b32_e32 v4, s39, v7
	v_and_b32_e32 v65, exec_lo, v6
	v_lshlrev_b32_e32 v7, 30, v64
	v_mov_b32_e32 v6, v5
	v_cmp_gt_i64_e64 s[38:39], 0, v[6:7]
	v_not_b32_e32 v6, v7
	v_ashrrev_i32_e32 v6, 31, v6
	v_and_b32_e32 v4, exec_hi, v4
	v_xor_b32_e32 v7, s39, v6
	v_xor_b32_e32 v6, s38, v6
	v_and_b32_e32 v4, v4, v7
	v_and_b32_e32 v65, v65, v6
	v_lshlrev_b32_e32 v7, 29, v64
	v_mov_b32_e32 v6, v5
	v_cmp_gt_i64_e64 s[38:39], 0, v[6:7]
	v_not_b32_e32 v6, v7
	v_ashrrev_i32_e32 v6, 31, v6
	v_xor_b32_e32 v7, s39, v6
	v_xor_b32_e32 v6, s38, v6
	v_and_b32_e32 v4, v4, v7
	v_and_b32_e32 v65, v65, v6
	v_lshlrev_b32_e32 v7, 28, v64
	v_mov_b32_e32 v6, v5
	v_cmp_gt_i64_e64 s[38:39], 0, v[6:7]
	v_not_b32_e32 v6, v7
	v_ashrrev_i32_e32 v6, 31, v6
	;; [unrolled: 9-line block ×5, first 2 shown]
	v_xor_b32_e32 v7, s39, v6
	v_xor_b32_e32 v6, s38, v6
	v_and_b32_e32 v4, v4, v7
	v_lshlrev_b32_e32 v7, 24, v64
	v_and_b32_e32 v65, v65, v6
	v_mov_b32_e32 v6, v5
	v_not_b32_e32 v5, v7
	v_cmp_gt_i64_e64 s[38:39], 0, v[6:7]
	v_ashrrev_i32_e32 v5, 31, v5
	; wave barrier
	s_nop 0
	v_xor_b32_e32 v6, s39, v5
	v_xor_b32_e32 v7, s38, v5
	ds_read_b32 v62, v63 offset:16
	v_and_b32_e32 v5, v4, v6
	v_and_b32_e32 v4, v65, v7
	v_mbcnt_lo_u32_b32 v6, v4, 0
	v_mbcnt_hi_u32_b32 v64, v5, v6
	v_cmp_eq_u32_e64 s[38:39], 0, v64
	v_cmp_ne_u64_e64 s[40:41], 0, v[4:5]
	s_and_b64 s[40:41], s[40:41], s[38:39]
	; wave barrier
	s_and_saveexec_b64 s[38:39], s[40:41]
	s_cbranch_execz .LBB73_61
; %bb.60:
	v_bcnt_u32_b32 v4, v4, 0
	v_bcnt_u32_b32 v4, v5, v4
	s_waitcnt lgkmcnt(0)
	v_add_u32_e32 v4, v62, v4
	ds_write_b32 v63, v4 offset:16
.LBB73_61:
	s_or_b64 exec, exec, s[38:39]
	v_lshrrev_b32_sdwa v4, s88, v23 dst_sel:DWORD dst_unused:UNUSED_PAD src0_sel:DWORD src1_sel:WORD_0
	v_and_b32_e32 v67, s96, v4
	v_and_b32_e32 v4, 1, v67
	v_mov_b32_e32 v5, 0
	v_lshl_add_u64 v[6:7], v[4:5], 0, -1
	v_cmp_ne_u32_e64 s[38:39], 0, v4
	v_mad_u32_u24 v66, v67, 20, v38
	s_nop 0
	v_xor_b32_e32 v6, s38, v6
	v_xor_b32_e32 v4, s39, v7
	v_and_b32_e32 v68, exec_lo, v6
	v_lshlrev_b32_e32 v7, 30, v67
	v_mov_b32_e32 v6, v5
	v_cmp_gt_i64_e64 s[38:39], 0, v[6:7]
	v_not_b32_e32 v6, v7
	v_ashrrev_i32_e32 v6, 31, v6
	v_and_b32_e32 v4, exec_hi, v4
	v_xor_b32_e32 v7, s39, v6
	v_xor_b32_e32 v6, s38, v6
	v_and_b32_e32 v4, v4, v7
	v_and_b32_e32 v68, v68, v6
	v_lshlrev_b32_e32 v7, 29, v67
	v_mov_b32_e32 v6, v5
	v_cmp_gt_i64_e64 s[38:39], 0, v[6:7]
	v_not_b32_e32 v6, v7
	v_ashrrev_i32_e32 v6, 31, v6
	v_xor_b32_e32 v7, s39, v6
	v_xor_b32_e32 v6, s38, v6
	v_and_b32_e32 v4, v4, v7
	v_and_b32_e32 v68, v68, v6
	v_lshlrev_b32_e32 v7, 28, v67
	v_mov_b32_e32 v6, v5
	v_cmp_gt_i64_e64 s[38:39], 0, v[6:7]
	v_not_b32_e32 v6, v7
	v_ashrrev_i32_e32 v6, 31, v6
	;; [unrolled: 9-line block ×6, first 2 shown]
	v_xor_b32_e32 v7, s39, v6
	v_xor_b32_e32 v6, s38, v6
	; wave barrier
	ds_read_b32 v65, v66 offset:16
	v_and_b32_e32 v6, v68, v6
	v_and_b32_e32 v7, v4, v7
	v_mbcnt_lo_u32_b32 v4, v6, 0
	v_mbcnt_hi_u32_b32 v67, v7, v4
	v_cmp_eq_u32_e64 s[38:39], 0, v67
	v_cmp_ne_u64_e64 s[40:41], 0, v[6:7]
	s_and_b64 s[40:41], s[40:41], s[38:39]
	; wave barrier
	s_and_saveexec_b64 s[38:39], s[40:41]
	s_cbranch_execz .LBB73_63
; %bb.62:
	v_bcnt_u32_b32 v4, v6, 0
	v_bcnt_u32_b32 v4, v7, v4
	s_waitcnt lgkmcnt(0)
	v_add_u32_e32 v4, v65, v4
	ds_write_b32 v66, v4 offset:16
.LBB73_63:
	s_or_b64 exec, exec, s[38:39]
	v_lshrrev_b32_sdwa v4, s88, v22 dst_sel:DWORD dst_unused:UNUSED_PAD src0_sel:DWORD src1_sel:WORD_0
	v_and_b32_e32 v70, s96, v4
	v_and_b32_e32 v4, 1, v70
	v_lshl_add_u64 v[6:7], v[4:5], 0, -1
	v_cmp_ne_u32_e64 s[38:39], 0, v4
	v_mad_u32_u24 v69, v70, 20, v38
	s_nop 0
	v_xor_b32_e32 v6, s38, v6
	v_xor_b32_e32 v4, s39, v7
	v_and_b32_e32 v71, exec_lo, v6
	v_lshlrev_b32_e32 v7, 30, v70
	v_mov_b32_e32 v6, v5
	v_cmp_gt_i64_e64 s[38:39], 0, v[6:7]
	v_not_b32_e32 v6, v7
	v_ashrrev_i32_e32 v6, 31, v6
	v_and_b32_e32 v4, exec_hi, v4
	v_xor_b32_e32 v7, s39, v6
	v_xor_b32_e32 v6, s38, v6
	v_and_b32_e32 v4, v4, v7
	v_and_b32_e32 v71, v71, v6
	v_lshlrev_b32_e32 v7, 29, v70
	v_mov_b32_e32 v6, v5
	v_cmp_gt_i64_e64 s[38:39], 0, v[6:7]
	v_not_b32_e32 v6, v7
	v_ashrrev_i32_e32 v6, 31, v6
	v_xor_b32_e32 v7, s39, v6
	v_xor_b32_e32 v6, s38, v6
	v_and_b32_e32 v4, v4, v7
	v_and_b32_e32 v71, v71, v6
	v_lshlrev_b32_e32 v7, 28, v70
	v_mov_b32_e32 v6, v5
	v_cmp_gt_i64_e64 s[38:39], 0, v[6:7]
	v_not_b32_e32 v6, v7
	v_ashrrev_i32_e32 v6, 31, v6
	;; [unrolled: 9-line block ×5, first 2 shown]
	v_xor_b32_e32 v7, s39, v6
	v_xor_b32_e32 v6, s38, v6
	v_and_b32_e32 v4, v4, v7
	v_lshlrev_b32_e32 v7, 24, v70
	v_and_b32_e32 v71, v71, v6
	v_mov_b32_e32 v6, v5
	v_not_b32_e32 v5, v7
	v_cmp_gt_i64_e64 s[38:39], 0, v[6:7]
	v_ashrrev_i32_e32 v5, 31, v5
	; wave barrier
	s_nop 0
	v_xor_b32_e32 v6, s39, v5
	v_xor_b32_e32 v7, s38, v5
	ds_read_b32 v68, v69 offset:16
	v_and_b32_e32 v5, v4, v6
	v_and_b32_e32 v4, v71, v7
	v_mbcnt_lo_u32_b32 v6, v4, 0
	v_mbcnt_hi_u32_b32 v70, v5, v6
	v_cmp_eq_u32_e64 s[38:39], 0, v70
	v_cmp_ne_u64_e64 s[40:41], 0, v[4:5]
	s_and_b64 s[40:41], s[40:41], s[38:39]
	; wave barrier
	s_and_saveexec_b64 s[38:39], s[40:41]
	s_cbranch_execz .LBB73_65
; %bb.64:
	v_bcnt_u32_b32 v4, v4, 0
	v_bcnt_u32_b32 v4, v5, v4
	s_waitcnt lgkmcnt(0)
	v_add_u32_e32 v4, v68, v4
	ds_write_b32 v69, v4 offset:16
.LBB73_65:
	s_or_b64 exec, exec, s[38:39]
	v_lshrrev_b32_sdwa v4, s88, v25 dst_sel:DWORD dst_unused:UNUSED_PAD src0_sel:DWORD src1_sel:WORD_0
	v_and_b32_e32 v73, s96, v4
	v_and_b32_e32 v4, 1, v73
	v_mov_b32_e32 v5, 0
	v_lshl_add_u64 v[6:7], v[4:5], 0, -1
	v_cmp_ne_u32_e64 s[38:39], 0, v4
	v_mad_u32_u24 v72, v73, 20, v38
	s_nop 0
	v_xor_b32_e32 v6, s38, v6
	v_xor_b32_e32 v4, s39, v7
	v_and_b32_e32 v74, exec_lo, v6
	v_lshlrev_b32_e32 v7, 30, v73
	v_mov_b32_e32 v6, v5
	v_cmp_gt_i64_e64 s[38:39], 0, v[6:7]
	v_not_b32_e32 v6, v7
	v_ashrrev_i32_e32 v6, 31, v6
	v_and_b32_e32 v4, exec_hi, v4
	v_xor_b32_e32 v7, s39, v6
	v_xor_b32_e32 v6, s38, v6
	v_and_b32_e32 v4, v4, v7
	v_and_b32_e32 v74, v74, v6
	v_lshlrev_b32_e32 v7, 29, v73
	v_mov_b32_e32 v6, v5
	v_cmp_gt_i64_e64 s[38:39], 0, v[6:7]
	v_not_b32_e32 v6, v7
	v_ashrrev_i32_e32 v6, 31, v6
	v_xor_b32_e32 v7, s39, v6
	v_xor_b32_e32 v6, s38, v6
	v_and_b32_e32 v4, v4, v7
	v_and_b32_e32 v74, v74, v6
	v_lshlrev_b32_e32 v7, 28, v73
	v_mov_b32_e32 v6, v5
	v_cmp_gt_i64_e64 s[38:39], 0, v[6:7]
	v_not_b32_e32 v6, v7
	v_ashrrev_i32_e32 v6, 31, v6
	;; [unrolled: 9-line block ×6, first 2 shown]
	v_xor_b32_e32 v7, s39, v6
	v_xor_b32_e32 v6, s38, v6
	; wave barrier
	ds_read_b32 v71, v72 offset:16
	v_and_b32_e32 v6, v74, v6
	v_and_b32_e32 v7, v4, v7
	v_mbcnt_lo_u32_b32 v4, v6, 0
	v_mbcnt_hi_u32_b32 v73, v7, v4
	v_cmp_eq_u32_e64 s[38:39], 0, v73
	v_cmp_ne_u64_e64 s[40:41], 0, v[6:7]
	s_and_b64 s[40:41], s[40:41], s[38:39]
	; wave barrier
	s_and_saveexec_b64 s[38:39], s[40:41]
	s_cbranch_execz .LBB73_67
; %bb.66:
	v_bcnt_u32_b32 v4, v6, 0
	v_bcnt_u32_b32 v4, v7, v4
	s_waitcnt lgkmcnt(0)
	v_add_u32_e32 v4, v71, v4
	ds_write_b32 v72, v4 offset:16
.LBB73_67:
	s_or_b64 exec, exec, s[38:39]
	v_lshrrev_b32_sdwa v4, s88, v24 dst_sel:DWORD dst_unused:UNUSED_PAD src0_sel:DWORD src1_sel:WORD_0
	v_and_b32_e32 v76, s96, v4
	v_and_b32_e32 v4, 1, v76
	v_lshl_add_u64 v[6:7], v[4:5], 0, -1
	v_cmp_ne_u32_e64 s[38:39], 0, v4
	v_mad_u32_u24 v75, v76, 20, v38
	s_nop 0
	v_xor_b32_e32 v6, s38, v6
	v_xor_b32_e32 v4, s39, v7
	v_and_b32_e32 v77, exec_lo, v6
	v_lshlrev_b32_e32 v7, 30, v76
	v_mov_b32_e32 v6, v5
	v_cmp_gt_i64_e64 s[38:39], 0, v[6:7]
	v_not_b32_e32 v6, v7
	v_ashrrev_i32_e32 v6, 31, v6
	v_and_b32_e32 v4, exec_hi, v4
	v_xor_b32_e32 v7, s39, v6
	v_xor_b32_e32 v6, s38, v6
	v_and_b32_e32 v4, v4, v7
	v_and_b32_e32 v77, v77, v6
	v_lshlrev_b32_e32 v7, 29, v76
	v_mov_b32_e32 v6, v5
	v_cmp_gt_i64_e64 s[38:39], 0, v[6:7]
	v_not_b32_e32 v6, v7
	v_ashrrev_i32_e32 v6, 31, v6
	v_xor_b32_e32 v7, s39, v6
	v_xor_b32_e32 v6, s38, v6
	v_and_b32_e32 v4, v4, v7
	v_and_b32_e32 v77, v77, v6
	v_lshlrev_b32_e32 v7, 28, v76
	v_mov_b32_e32 v6, v5
	v_cmp_gt_i64_e64 s[38:39], 0, v[6:7]
	v_not_b32_e32 v6, v7
	v_ashrrev_i32_e32 v6, 31, v6
	;; [unrolled: 9-line block ×5, first 2 shown]
	v_xor_b32_e32 v7, s39, v6
	v_xor_b32_e32 v6, s38, v6
	v_and_b32_e32 v4, v4, v7
	v_lshlrev_b32_e32 v7, 24, v76
	v_and_b32_e32 v77, v77, v6
	v_mov_b32_e32 v6, v5
	v_not_b32_e32 v5, v7
	v_cmp_gt_i64_e64 s[38:39], 0, v[6:7]
	v_ashrrev_i32_e32 v5, 31, v5
	; wave barrier
	s_nop 0
	v_xor_b32_e32 v6, s39, v5
	v_xor_b32_e32 v7, s38, v5
	ds_read_b32 v74, v75 offset:16
	v_and_b32_e32 v5, v4, v6
	v_and_b32_e32 v4, v77, v7
	v_mbcnt_lo_u32_b32 v6, v4, 0
	v_mbcnt_hi_u32_b32 v76, v5, v6
	v_cmp_eq_u32_e64 s[38:39], 0, v76
	v_cmp_ne_u64_e64 s[40:41], 0, v[4:5]
	s_and_b64 s[40:41], s[40:41], s[38:39]
	; wave barrier
	s_and_saveexec_b64 s[38:39], s[40:41]
	s_cbranch_execz .LBB73_69
; %bb.68:
	v_bcnt_u32_b32 v4, v4, 0
	v_bcnt_u32_b32 v4, v5, v4
	s_waitcnt lgkmcnt(0)
	v_add_u32_e32 v4, v74, v4
	ds_write_b32 v75, v4 offset:16
.LBB73_69:
	s_or_b64 exec, exec, s[38:39]
	v_lshrrev_b32_sdwa v4, s88, v27 dst_sel:DWORD dst_unused:UNUSED_PAD src0_sel:DWORD src1_sel:WORD_0
	v_and_b32_e32 v79, s96, v4
	v_and_b32_e32 v4, 1, v79
	v_mov_b32_e32 v5, 0
	v_lshl_add_u64 v[6:7], v[4:5], 0, -1
	v_cmp_ne_u32_e64 s[38:39], 0, v4
	v_mad_u32_u24 v78, v79, 20, v38
	s_nop 0
	v_xor_b32_e32 v6, s38, v6
	v_xor_b32_e32 v4, s39, v7
	v_and_b32_e32 v80, exec_lo, v6
	v_lshlrev_b32_e32 v7, 30, v79
	v_mov_b32_e32 v6, v5
	v_cmp_gt_i64_e64 s[38:39], 0, v[6:7]
	v_not_b32_e32 v6, v7
	v_ashrrev_i32_e32 v6, 31, v6
	v_and_b32_e32 v4, exec_hi, v4
	v_xor_b32_e32 v7, s39, v6
	v_xor_b32_e32 v6, s38, v6
	v_and_b32_e32 v4, v4, v7
	v_and_b32_e32 v80, v80, v6
	v_lshlrev_b32_e32 v7, 29, v79
	v_mov_b32_e32 v6, v5
	v_cmp_gt_i64_e64 s[38:39], 0, v[6:7]
	v_not_b32_e32 v6, v7
	v_ashrrev_i32_e32 v6, 31, v6
	v_xor_b32_e32 v7, s39, v6
	v_xor_b32_e32 v6, s38, v6
	v_and_b32_e32 v4, v4, v7
	v_and_b32_e32 v80, v80, v6
	v_lshlrev_b32_e32 v7, 28, v79
	v_mov_b32_e32 v6, v5
	v_cmp_gt_i64_e64 s[38:39], 0, v[6:7]
	v_not_b32_e32 v6, v7
	v_ashrrev_i32_e32 v6, 31, v6
	;; [unrolled: 9-line block ×6, first 2 shown]
	v_xor_b32_e32 v7, s39, v6
	v_xor_b32_e32 v6, s38, v6
	; wave barrier
	ds_read_b32 v77, v78 offset:16
	v_and_b32_e32 v6, v80, v6
	v_and_b32_e32 v7, v4, v7
	v_mbcnt_lo_u32_b32 v4, v6, 0
	v_mbcnt_hi_u32_b32 v79, v7, v4
	v_cmp_eq_u32_e64 s[38:39], 0, v79
	v_cmp_ne_u64_e64 s[40:41], 0, v[6:7]
	s_and_b64 s[40:41], s[40:41], s[38:39]
	; wave barrier
	s_and_saveexec_b64 s[38:39], s[40:41]
	s_cbranch_execz .LBB73_71
; %bb.70:
	v_bcnt_u32_b32 v4, v6, 0
	v_bcnt_u32_b32 v4, v7, v4
	s_waitcnt lgkmcnt(0)
	v_add_u32_e32 v4, v77, v4
	ds_write_b32 v78, v4 offset:16
.LBB73_71:
	s_or_b64 exec, exec, s[38:39]
	v_lshrrev_b32_sdwa v4, s88, v26 dst_sel:DWORD dst_unused:UNUSED_PAD src0_sel:DWORD src1_sel:WORD_0
	v_and_b32_e32 v81, s96, v4
	v_and_b32_e32 v4, 1, v81
	v_lshl_add_u64 v[6:7], v[4:5], 0, -1
	v_cmp_ne_u32_e64 s[38:39], 0, v4
	v_mad_u32_u24 v38, v81, 20, v38
	s_nop 0
	v_xor_b32_e32 v6, s38, v6
	v_xor_b32_e32 v4, s39, v7
	v_and_b32_e32 v82, exec_lo, v6
	v_lshlrev_b32_e32 v7, 30, v81
	v_mov_b32_e32 v6, v5
	v_cmp_gt_i64_e64 s[38:39], 0, v[6:7]
	v_not_b32_e32 v6, v7
	v_ashrrev_i32_e32 v6, 31, v6
	v_and_b32_e32 v4, exec_hi, v4
	v_xor_b32_e32 v7, s39, v6
	v_xor_b32_e32 v6, s38, v6
	v_and_b32_e32 v4, v4, v7
	v_and_b32_e32 v82, v82, v6
	v_lshlrev_b32_e32 v7, 29, v81
	v_mov_b32_e32 v6, v5
	v_cmp_gt_i64_e64 s[38:39], 0, v[6:7]
	v_not_b32_e32 v6, v7
	v_ashrrev_i32_e32 v6, 31, v6
	v_xor_b32_e32 v7, s39, v6
	v_xor_b32_e32 v6, s38, v6
	v_and_b32_e32 v4, v4, v7
	v_and_b32_e32 v82, v82, v6
	v_lshlrev_b32_e32 v7, 28, v81
	v_mov_b32_e32 v6, v5
	v_cmp_gt_i64_e64 s[38:39], 0, v[6:7]
	v_not_b32_e32 v6, v7
	v_ashrrev_i32_e32 v6, 31, v6
	;; [unrolled: 9-line block ×5, first 2 shown]
	v_xor_b32_e32 v7, s39, v6
	v_xor_b32_e32 v6, s38, v6
	v_and_b32_e32 v4, v4, v7
	v_lshlrev_b32_e32 v7, 24, v81
	v_and_b32_e32 v82, v82, v6
	v_mov_b32_e32 v6, v5
	v_not_b32_e32 v5, v7
	v_cmp_gt_i64_e64 s[38:39], 0, v[6:7]
	v_ashrrev_i32_e32 v5, 31, v5
	; wave barrier
	s_nop 0
	v_xor_b32_e32 v6, s39, v5
	v_xor_b32_e32 v7, s38, v5
	ds_read_b32 v80, v38 offset:16
	v_and_b32_e32 v5, v4, v6
	v_and_b32_e32 v4, v82, v7
	v_mbcnt_lo_u32_b32 v6, v4, 0
	v_mbcnt_hi_u32_b32 v81, v5, v6
	v_cmp_eq_u32_e64 s[38:39], 0, v81
	v_cmp_ne_u64_e64 s[40:41], 0, v[4:5]
	s_and_b64 s[40:41], s[40:41], s[38:39]
	; wave barrier
	s_and_saveexec_b64 s[38:39], s[40:41]
	s_cbranch_execz .LBB73_73
; %bb.72:
	v_bcnt_u32_b32 v4, v4, 0
	v_bcnt_u32_b32 v4, v5, v4
	s_waitcnt lgkmcnt(0)
	v_add_u32_e32 v4, v80, v4
	ds_write_b32 v38, v4 offset:16
.LBB73_73:
	s_or_b64 exec, exec, s[38:39]
	; wave barrier
	s_waitcnt lgkmcnt(0)
	s_barrier
	ds_read2_b32 v[6:7], v28 offset0:4 offset1:5
	ds_read2_b32 v[4:5], v28 offset0:6 offset1:7
	ds_read_b32 v82, v28 offset:32
	v_min_u32_e32 v19, 0xc0, v19
	v_or_b32_e32 v19, 63, v19
	s_waitcnt lgkmcnt(1)
	v_add3_u32 v83, v7, v6, v4
	s_waitcnt lgkmcnt(0)
	v_add3_u32 v82, v83, v5, v82
	v_and_b32_e32 v83, 15, v3
	v_cmp_ne_u32_e64 s[38:39], 0, v83
	v_mov_b32_dpp v84, v82 row_shr:1 row_mask:0xf bank_mask:0xf
	s_nop 0
	v_cndmask_b32_e64 v84, 0, v84, s[38:39]
	v_add_u32_e32 v82, v84, v82
	v_cmp_lt_u32_e64 s[38:39], 1, v83
	s_nop 0
	v_mov_b32_dpp v84, v82 row_shr:2 row_mask:0xf bank_mask:0xf
	v_cndmask_b32_e64 v84, 0, v84, s[38:39]
	v_add_u32_e32 v82, v82, v84
	v_cmp_lt_u32_e64 s[38:39], 3, v83
	s_nop 0
	v_mov_b32_dpp v84, v82 row_shr:4 row_mask:0xf bank_mask:0xf
	;; [unrolled: 5-line block ×3, first 2 shown]
	v_cndmask_b32_e64 v83, 0, v84, s[38:39]
	v_add_u32_e32 v82, v82, v83
	v_bfe_i32 v84, v3, 4, 1
	v_cmp_lt_u32_e64 s[38:39], 31, v3
	v_mov_b32_dpp v83, v82 row_bcast:15 row_mask:0xf bank_mask:0xf
	v_and_b32_e32 v83, v84, v83
	v_add_u32_e32 v82, v82, v83
	s_nop 1
	v_mov_b32_dpp v83, v82 row_bcast:31 row_mask:0xf bank_mask:0xf
	v_cndmask_b32_e64 v83, 0, v83, s[38:39]
	v_add_u32_e32 v82, v82, v83
	v_lshrrev_b32_e32 v83, 6, v2
	v_cmp_eq_u32_e64 s[38:39], v2, v19
	s_and_saveexec_b64 s[40:41], s[38:39]
; %bb.74:
	v_lshlrev_b32_e32 v19, 2, v83
	ds_write_b32 v19, v82
; %bb.75:
	s_or_b64 exec, exec, s[40:41]
	v_cmp_gt_u32_e64 s[38:39], 4, v2
	s_waitcnt lgkmcnt(0)
	s_barrier
	s_and_saveexec_b64 s[40:41], s[38:39]
	s_cbranch_execz .LBB73_77
; %bb.76:
	v_lshlrev_b32_e32 v19, 2, v2
	ds_read_b32 v84, v19
	v_and_b32_e32 v85, 3, v3
	v_cmp_ne_u32_e64 s[38:39], 0, v85
	s_waitcnt lgkmcnt(0)
	v_mov_b32_dpp v86, v84 row_shr:1 row_mask:0xf bank_mask:0xf
	v_cndmask_b32_e64 v86, 0, v86, s[38:39]
	v_add_u32_e32 v84, v86, v84
	v_cmp_lt_u32_e64 s[38:39], 1, v85
	s_nop 0
	v_mov_b32_dpp v86, v84 row_shr:2 row_mask:0xf bank_mask:0xf
	v_cndmask_b32_e64 v85, 0, v86, s[38:39]
	v_add_u32_e32 v84, v84, v85
	ds_write_b32 v19, v84
.LBB73_77:
	s_or_b64 exec, exec, s[40:41]
	v_cmp_lt_u32_e64 s[38:39], 63, v2
	v_mov_b32_e32 v19, 0
	s_waitcnt lgkmcnt(0)
	s_barrier
	s_and_saveexec_b64 s[40:41], s[38:39]
; %bb.78:
	v_lshl_add_u32 v19, v83, 2, -4
	ds_read_b32 v19, v19
; %bb.79:
	s_or_b64 exec, exec, s[40:41]
	v_add_u32_e32 v83, -1, v3
	v_and_b32_e32 v84, 64, v3
	v_cmp_lt_i32_e64 s[38:39], v83, v84
	s_waitcnt lgkmcnt(0)
	v_add_u32_e32 v82, v19, v82
	v_cndmask_b32_e64 v83, v83, v3, s[38:39]
	v_lshlrev_b32_e32 v83, 2, v83
	ds_bpermute_b32 v82, v83, v82
	v_cmp_eq_u32_e64 s[38:39], 0, v3
	s_waitcnt lgkmcnt(0)
	s_nop 0
	v_cndmask_b32_e64 v19, v82, v19, s[38:39]
	v_cmp_ne_u32_e64 s[38:39], 0, v2
	s_nop 1
	v_cndmask_b32_e64 v19, 0, v19, s[38:39]
	v_add_u32_e32 v6, v19, v6
	v_add_u32_e32 v7, v6, v7
	;; [unrolled: 1-line block ×4, first 2 shown]
	ds_write2_b32 v28, v19, v6 offset0:4 offset1:5
	ds_write2_b32 v28, v7, v4 offset0:6 offset1:7
	ds_write_b32 v28, v5 offset:32
	s_waitcnt lgkmcnt(0)
	s_barrier
	ds_read_b32 v6, v51 offset:16
	ds_read_b32 v7, v54 offset:16
	;; [unrolled: 1-line block ×19, first 2 shown]
	v_add_u32_e32 v28, 1, v2
	s_movk_i32 s38, 0x100
	v_cmp_ne_u32_e64 s[38:39], s38, v28
	v_mov_b32_e32 v5, 0x1200
	s_and_saveexec_b64 s[40:41], s[38:39]
; %bb.80:
	v_mul_u32_u24_e32 v5, 20, v28
	ds_read_b32 v5, v5 offset:16
; %bb.81:
	s_or_b64 exec, exec, s[40:41]
	s_waitcnt lgkmcnt(7)
	v_add_u32_e32 v48, v30, v29
	s_waitcnt lgkmcnt(6)
	v_add3_u32 v45, v33, v31, v32
	s_waitcnt lgkmcnt(5)
	v_add3_u32 v42, v36, v34, v35
	v_add3_u32 v36, v52, v50, v6
	v_lshlrev_b32_e32 v6, 1, v48
	s_waitcnt lgkmcnt(0)
	s_barrier
	ds_write_b16 v6, v9 offset:2048
	v_lshlrev_b32_e32 v6, 1, v45
	v_add3_u32 v40, v40, v37, v38
	ds_write_b16 v6, v8 offset:2048
	v_lshlrev_b32_e32 v6, 1, v42
	v_add3_u32 v39, v43, v41, v39
	;; [unrolled: 3-line block ×4, first 2 shown]
	ds_write_b16 v6, v13 offset:2048
	v_lshlrev_b32_e32 v6, 1, v38
	ds_write_b16 v6, v12 offset:2048
	v_lshlrev_b32_e32 v6, 1, v37
	v_add3_u32 v35, v55, v53, v7
	ds_write_b16 v6, v16 offset:2048
	v_lshlrev_b32_e32 v6, 1, v36
	v_add3_u32 v34, v58, v56, v19
	;; [unrolled: 3-line block ×10, first 2 shown]
	ds_write_b16 v6, v24 offset:2048
	v_lshlrev_b32_e32 v6, 1, v19
	ds_write_b16 v6, v27 offset:2048
	v_lshlrev_b32_e32 v6, 1, v7
	ds_write_b16 v6, v26 offset:2048
	v_sub_u32_e32 v6, v5, v4
	v_lshl_add_u32 v8, s2, 8, v2
	v_mov_b32_e32 v9, 0
	v_lshl_add_u64 v[10:11], v[8:9], 2, s[94:95]
	v_or_b32_e32 v5, 2.0, v6
	s_mov_b64 s[40:41], 0
	s_brev_b32 s46, -4
	s_mov_b32 s47, s3
	v_mov_b32_e32 v15, 0
	s_waitcnt lgkmcnt(0)
	s_barrier
	global_store_dword v[10:11], v5, off sc1
                                        ; implicit-def: $sgpr38_sgpr39
	s_branch .LBB73_84
.LBB73_82:                              ;   in Loop: Header=BB73_84 Depth=1
	s_or_b64 exec, exec, s[44:45]
.LBB73_83:                              ;   in Loop: Header=BB73_84 Depth=1
	s_or_b64 exec, exec, s[42:43]
	v_and_b32_e32 v8, 0x3fffffff, v5
	v_add_u32_e32 v15, v8, v15
	v_cmp_gt_i32_e64 s[38:39], -2.0, v5
	s_and_b64 s[42:43], exec, s[38:39]
	s_or_b64 s[40:41], s[42:43], s[40:41]
	s_andn2_b64 exec, exec, s[40:41]
	s_cbranch_execz .LBB73_89
.LBB73_84:                              ; =>This Loop Header: Depth=1
                                        ;     Child Loop BB73_87 Depth 2
	s_or_b64 s[38:39], s[38:39], exec
	s_cmp_eq_u32 s47, 0
	s_cbranch_scc1 .LBB73_88
; %bb.85:                               ;   in Loop: Header=BB73_84 Depth=1
	s_add_i32 s47, s47, -1
	v_lshl_add_u32 v8, s47, 8, v2
	v_lshl_add_u64 v[12:13], v[8:9], 2, s[94:95]
	global_load_dword v5, v[12:13], off sc1
	s_waitcnt vmcnt(0)
	v_cmp_gt_u32_e64 s[38:39], 2.0, v5
	s_and_saveexec_b64 s[42:43], s[38:39]
	s_cbranch_execz .LBB73_83
; %bb.86:                               ;   in Loop: Header=BB73_84 Depth=1
	s_mov_b64 s[44:45], 0
.LBB73_87:                              ;   Parent Loop BB73_84 Depth=1
                                        ; =>  This Inner Loop Header: Depth=2
	global_load_dword v5, v[12:13], off sc1
	s_waitcnt vmcnt(0)
	v_cmp_lt_u32_e64 s[38:39], s46, v5
	s_or_b64 s[44:45], s[38:39], s[44:45]
	s_andn2_b64 exec, exec, s[44:45]
	s_cbranch_execnz .LBB73_87
	s_branch .LBB73_82
.LBB73_88:                              ;   in Loop: Header=BB73_84 Depth=1
                                        ; implicit-def: $sgpr47
	s_and_b64 s[42:43], exec, s[38:39]
	s_or_b64 s[40:41], s[42:43], s[40:41]
	s_andn2_b64 exec, exec, s[40:41]
	s_cbranch_execnz .LBB73_84
.LBB73_89:
	s_or_b64 exec, exec, s[40:41]
	v_add_u32_e32 v5, v15, v6
	v_or_b32_e32 v5, 0x80000000, v5
	v_lshlrev_b32_e32 v8, 3, v2
	global_store_dword v[10:11], v5, off sc1
	global_load_dwordx2 v[10:11], v8, s[84:85]
	v_sub_co_u32_e64 v12, s[38:39], v15, v4
	v_mov_b32_e32 v5, 0
	s_nop 0
	v_subb_co_u32_e64 v13, s[38:39], 0, 0, s[38:39]
	v_cmp_gt_u32_e64 s[38:39], s90, v2
	s_waitcnt vmcnt(0)
	v_lshl_add_u64 v[10:11], v[12:13], 0, v[10:11]
	ds_write_b64 v8, v[10:11]
	s_waitcnt lgkmcnt(0)
	s_barrier
	s_and_saveexec_b64 s[40:41], s[38:39]
	s_cbranch_execz .LBB73_91
; %bb.90:
	v_mad_i32_i24 v9, v2, -6, v8
	ds_read_u16 v9, v9 offset:2048
	v_lshlrev_b32_e32 v12, 1, v2
	v_mov_b32_e32 v13, v5
	s_waitcnt lgkmcnt(0)
	v_lshrrev_b32_sdwa v10, s88, v9 dst_sel:DWORD dst_unused:UNUSED_PAD src0_sel:DWORD src1_sel:WORD_0
	v_and_b32_e32 v10, s96, v10
	v_lshlrev_b32_e32 v10, 3, v10
	ds_read_b64 v[10:11], v10
	v_xor_b32_e32 v9, 0xffff8000, v9
	s_waitcnt lgkmcnt(0)
	v_lshl_add_u64 v[10:11], v[10:11], 1, s[78:79]
	v_lshl_add_u64 v[10:11], v[10:11], 0, v[12:13]
	global_store_short v[10:11], v9, off
.LBB73_91:
	s_or_b64 exec, exec, s[40:41]
	v_add_u32_e32 v9, 0x100, v2
	v_cmp_gt_u32_e64 s[40:41], s90, v9
	s_and_saveexec_b64 s[42:43], s[40:41]
	s_cbranch_execz .LBB73_93
; %bb.92:
	v_mad_i32_i24 v9, v2, -6, v8
	ds_read_u16 v9, v9 offset:2560
	v_lshlrev_b32_e32 v12, 1, v2
	v_mov_b32_e32 v13, 0
	s_waitcnt lgkmcnt(0)
	v_lshrrev_b32_sdwa v10, s88, v9 dst_sel:DWORD dst_unused:UNUSED_PAD src0_sel:DWORD src1_sel:WORD_0
	v_and_b32_e32 v10, s96, v10
	v_lshlrev_b32_e32 v10, 3, v10
	ds_read_b64 v[10:11], v10
	v_xor_b32_e32 v9, 0xffff8000, v9
	s_waitcnt lgkmcnt(0)
	v_lshl_add_u64 v[10:11], v[10:11], 1, s[78:79]
	v_lshl_add_u64 v[10:11], v[10:11], 0, v[12:13]
	global_store_short v[10:11], v9, off offset:512
.LBB73_93:
	s_or_b64 exec, exec, s[42:43]
	v_add_u32_e32 v12, 0x200, v2
	v_cmp_gt_u32_e64 s[42:43], s90, v12
	s_and_saveexec_b64 s[44:45], s[42:43]
	s_cbranch_execz .LBB73_95
; %bb.94:
	v_mad_i32_i24 v9, v2, -6, v8
	ds_read_u16 v9, v9 offset:3072
	v_lshlrev_b32_e32 v16, 1, v2
	v_mov_b32_e32 v17, 0
	s_waitcnt lgkmcnt(0)
	v_lshrrev_b32_sdwa v10, s88, v9 dst_sel:DWORD dst_unused:UNUSED_PAD src0_sel:DWORD src1_sel:WORD_0
	v_and_b32_e32 v10, s96, v10
	v_lshlrev_b32_e32 v10, 3, v10
	ds_read_b64 v[10:11], v10
	v_xor_b32_e32 v9, 0xffff8000, v9
	s_waitcnt lgkmcnt(0)
	v_lshl_add_u64 v[10:11], v[10:11], 1, s[78:79]
	v_lshl_add_u64 v[10:11], v[10:11], 0, v[16:17]
	global_store_short v[10:11], v9, off offset:1024
.LBB73_95:
	;; [unrolled: 21-line block ×3, first 2 shown]
	s_or_b64 exec, exec, s[46:47]
	v_or_b32_e32 v15, 0x400, v2
	v_cmp_gt_u32_e64 s[46:47], s90, v15
	s_and_saveexec_b64 s[48:49], s[46:47]
	s_cbranch_execz .LBB73_99
; %bb.98:
	v_mad_i32_i24 v9, v2, -6, v8
	ds_read_u16 v9, v9 offset:4096
	v_lshlrev_b32_e32 v16, 1, v2
	v_mov_b32_e32 v17, 0
	s_waitcnt lgkmcnt(0)
	v_lshrrev_b32_sdwa v10, s88, v9 dst_sel:DWORD dst_unused:UNUSED_PAD src0_sel:DWORD src1_sel:WORD_0
	v_and_b32_e32 v10, s96, v10
	v_lshlrev_b32_e32 v10, 3, v10
	ds_read_b64 v[10:11], v10
	v_xor_b32_e32 v9, 0xffff8000, v9
	s_waitcnt lgkmcnt(0)
	v_lshl_add_u64 v[10:11], v[10:11], 1, s[78:79]
	v_lshl_add_u64 v[10:11], v[10:11], 0, v[16:17]
	global_store_short v[10:11], v9, off offset:2048
.LBB73_99:
	s_or_b64 exec, exec, s[48:49]
	v_add_u32_e32 v16, 0x500, v2
	v_cmp_gt_u32_e64 s[48:49], s90, v16
	s_and_saveexec_b64 s[50:51], s[48:49]
	s_cbranch_execz .LBB73_101
; %bb.100:
	v_mad_i32_i24 v9, v2, -6, v8
	ds_read_u16 v9, v9 offset:4608
	v_lshlrev_b32_e32 v20, 1, v2
	v_mov_b32_e32 v21, 0
	s_waitcnt lgkmcnt(0)
	v_lshrrev_b32_sdwa v10, s88, v9 dst_sel:DWORD dst_unused:UNUSED_PAD src0_sel:DWORD src1_sel:WORD_0
	v_and_b32_e32 v10, s96, v10
	v_lshlrev_b32_e32 v10, 3, v10
	ds_read_b64 v[10:11], v10
	v_xor_b32_e32 v9, 0xffff8000, v9
	s_waitcnt lgkmcnt(0)
	v_lshl_add_u64 v[10:11], v[10:11], 1, s[78:79]
	v_lshl_add_u64 v[10:11], v[10:11], 0, v[20:21]
	global_store_short v[10:11], v9, off offset:2560
.LBB73_101:
	s_or_b64 exec, exec, s[50:51]
	v_add_u32_e32 v17, 0x600, v2
	;; [unrolled: 21-line block ×3, first 2 shown]
	v_cmp_gt_u32_e64 s[52:53], s90, v18
	s_and_saveexec_b64 s[54:55], s[52:53]
	s_cbranch_execz .LBB73_105
; %bb.104:
	v_lshlrev_b32_e32 v10, 1, v2
	ds_read_u16 v9, v10 offset:5632
	s_waitcnt lgkmcnt(0)
	v_lshrrev_b32_sdwa v11, s88, v9 dst_sel:DWORD dst_unused:UNUSED_PAD src0_sel:DWORD src1_sel:WORD_0
	v_and_b32_e32 v11, s96, v11
	v_lshlrev_b32_e32 v11, 3, v11
	ds_read_b64 v[20:21], v11
	v_mov_b32_e32 v11, 0
	v_xor_b32_e32 v9, 0xffff8000, v9
	s_waitcnt lgkmcnt(0)
	v_lshl_add_u64 v[20:21], v[20:21], 1, s[78:79]
	v_lshl_add_u64 v[10:11], v[20:21], 0, v[10:11]
	global_store_short v[10:11], v9, off offset:3584
.LBB73_105:
	s_or_b64 exec, exec, s[54:55]
	v_or_b32_e32 v20, 0x800, v2
	v_cmp_gt_u32_e64 s[54:55], s90, v20
	s_and_saveexec_b64 s[56:57], s[54:55]
	s_cbranch_execz .LBB73_107
; %bb.106:
	v_lshlrev_b32_e32 v9, 1, v2
	ds_read_u16 v9, v9 offset:6144
	v_lshlrev_b32_e32 v22, 1, v20
	v_mov_b32_e32 v23, 0
	s_waitcnt lgkmcnt(0)
	v_lshrrev_b32_sdwa v10, s88, v9 dst_sel:DWORD dst_unused:UNUSED_PAD src0_sel:DWORD src1_sel:WORD_0
	v_and_b32_e32 v10, s96, v10
	v_lshlrev_b32_e32 v10, 3, v10
	ds_read_b64 v[10:11], v10
	v_xor_b32_e32 v9, 0xffff8000, v9
	s_waitcnt lgkmcnt(0)
	v_lshl_add_u64 v[10:11], v[10:11], 1, s[78:79]
	v_lshl_add_u64 v[10:11], v[10:11], 0, v[22:23]
	global_store_short v[10:11], v9, off
.LBB73_107:
	s_or_b64 exec, exec, s[56:57]
	v_add_u32_e32 v21, 0x900, v2
	v_cmp_gt_u32_e64 s[56:57], s90, v21
	s_and_saveexec_b64 s[58:59], s[56:57]
	s_cbranch_execz .LBB73_109
; %bb.108:
	v_lshlrev_b32_e32 v9, 1, v2
	ds_read_u16 v9, v9 offset:6656
	v_lshlrev_b32_e32 v22, 1, v21
	v_mov_b32_e32 v23, 0
	s_waitcnt lgkmcnt(0)
	v_lshrrev_b32_sdwa v10, s88, v9 dst_sel:DWORD dst_unused:UNUSED_PAD src0_sel:DWORD src1_sel:WORD_0
	v_and_b32_e32 v10, s96, v10
	v_lshlrev_b32_e32 v10, 3, v10
	ds_read_b64 v[10:11], v10
	v_xor_b32_e32 v9, 0xffff8000, v9
	s_waitcnt lgkmcnt(0)
	v_lshl_add_u64 v[10:11], v[10:11], 1, s[78:79]
	v_lshl_add_u64 v[10:11], v[10:11], 0, v[22:23]
	global_store_short v[10:11], v9, off
.LBB73_109:
	s_or_b64 exec, exec, s[58:59]
	v_add_u32_e32 v22, 0xa00, v2
	;; [unrolled: 21-line block ×3, first 2 shown]
	v_cmp_gt_u32_e64 s[60:61], s90, v23
	s_and_saveexec_b64 s[62:63], s[60:61]
	s_cbranch_execz .LBB73_113
; %bb.112:
	v_lshlrev_b32_e32 v9, 1, v2
	ds_read_u16 v9, v9 offset:7680
	v_lshlrev_b32_e32 v24, 1, v23
	v_mov_b32_e32 v25, 0
	s_waitcnt lgkmcnt(0)
	v_lshrrev_b32_sdwa v10, s88, v9 dst_sel:DWORD dst_unused:UNUSED_PAD src0_sel:DWORD src1_sel:WORD_0
	v_and_b32_e32 v10, s96, v10
	v_lshlrev_b32_e32 v10, 3, v10
	ds_read_b64 v[10:11], v10
	v_xor_b32_e32 v9, 0xffff8000, v9
	s_waitcnt lgkmcnt(0)
	v_lshl_add_u64 v[10:11], v[10:11], 1, s[78:79]
	v_lshl_add_u64 v[10:11], v[10:11], 0, v[24:25]
	global_store_short v[10:11], v9, off
.LBB73_113:
	s_or_b64 exec, exec, s[62:63]
	v_or_b32_e32 v24, 0xc00, v2
	v_cmp_gt_u32_e64 s[62:63], s90, v24
	s_and_saveexec_b64 s[64:65], s[62:63]
	s_cbranch_execz .LBB73_115
; %bb.114:
	v_lshlrev_b32_e32 v9, 1, v2
	ds_read_u16 v9, v9 offset:8192
	v_lshlrev_b32_e32 v26, 1, v24
	v_mov_b32_e32 v27, 0
	s_waitcnt lgkmcnt(0)
	v_lshrrev_b32_sdwa v10, s88, v9 dst_sel:DWORD dst_unused:UNUSED_PAD src0_sel:DWORD src1_sel:WORD_0
	v_and_b32_e32 v10, s96, v10
	v_lshlrev_b32_e32 v10, 3, v10
	ds_read_b64 v[10:11], v10
	v_xor_b32_e32 v9, 0xffff8000, v9
	s_waitcnt lgkmcnt(0)
	v_lshl_add_u64 v[10:11], v[10:11], 1, s[78:79]
	v_lshl_add_u64 v[10:11], v[10:11], 0, v[26:27]
	global_store_short v[10:11], v9, off
.LBB73_115:
	s_or_b64 exec, exec, s[64:65]
	v_add_u32_e32 v25, 0xd00, v2
	v_cmp_gt_u32_e64 s[64:65], s90, v25
	s_and_saveexec_b64 s[66:67], s[64:65]
	s_cbranch_execz .LBB73_117
; %bb.116:
	v_lshlrev_b32_e32 v9, 1, v2
	ds_read_u16 v9, v9 offset:8704
	v_lshlrev_b32_e32 v26, 1, v25
	v_mov_b32_e32 v27, 0
	s_waitcnt lgkmcnt(0)
	v_lshrrev_b32_sdwa v10, s88, v9 dst_sel:DWORD dst_unused:UNUSED_PAD src0_sel:DWORD src1_sel:WORD_0
	v_and_b32_e32 v10, s96, v10
	v_lshlrev_b32_e32 v10, 3, v10
	ds_read_b64 v[10:11], v10
	v_xor_b32_e32 v9, 0xffff8000, v9
	s_waitcnt lgkmcnt(0)
	v_lshl_add_u64 v[10:11], v[10:11], 1, s[78:79]
	v_lshl_add_u64 v[10:11], v[10:11], 0, v[26:27]
	global_store_short v[10:11], v9, off
.LBB73_117:
	s_or_b64 exec, exec, s[66:67]
	v_add_u32_e32 v26, 0xe00, v2
	v_cmp_gt_u32_e64 s[66:67], s90, v26
	s_and_saveexec_b64 s[68:69], s[66:67]
	s_cbranch_execz .LBB73_119
; %bb.118:
	v_lshlrev_b32_e32 v9, 1, v2
	ds_read_u16 v9, v9 offset:9216
	v_lshlrev_b32_e32 v46, 1, v26
	v_mov_b32_e32 v47, 0
	s_waitcnt lgkmcnt(0)
	v_lshrrev_b32_sdwa v10, s88, v9 dst_sel:DWORD dst_unused:UNUSED_PAD src0_sel:DWORD src1_sel:WORD_0
	v_and_b32_e32 v10, s96, v10
	v_lshlrev_b32_e32 v10, 3, v10
	ds_read_b64 v[10:11], v10
	v_xor_b32_e32 v9, 0xffff8000, v9
	s_waitcnt lgkmcnt(0)
	v_lshl_add_u64 v[10:11], v[10:11], 1, s[78:79]
	v_lshl_add_u64 v[10:11], v[10:11], 0, v[46:47]
	global_store_short v[10:11], v9, off
.LBB73_119:
	s_or_b64 exec, exec, s[68:69]
	v_add_u32_e32 v27, 0xf00, v2
	v_cmp_gt_u32_e64 s[68:69], s90, v27
	s_and_saveexec_b64 s[70:71], s[68:69]
	s_cbranch_execz .LBB73_121
; %bb.120:
	v_lshlrev_b32_e32 v9, 1, v2
	ds_read_u16 v9, v9 offset:9728
	v_lshlrev_b32_e32 v46, 1, v27
	v_mov_b32_e32 v47, 0
	s_waitcnt lgkmcnt(0)
	v_lshrrev_b32_sdwa v10, s88, v9 dst_sel:DWORD dst_unused:UNUSED_PAD src0_sel:DWORD src1_sel:WORD_0
	v_and_b32_e32 v10, s96, v10
	v_lshlrev_b32_e32 v10, 3, v10
	ds_read_b64 v[10:11], v10
	v_xor_b32_e32 v9, 0xffff8000, v9
	s_waitcnt lgkmcnt(0)
	v_lshl_add_u64 v[10:11], v[10:11], 1, s[78:79]
	v_lshl_add_u64 v[10:11], v[10:11], 0, v[46:47]
	global_store_short v[10:11], v9, off
.LBB73_121:
	s_or_b64 exec, exec, s[70:71]
	v_or_b32_e32 v41, 0x1000, v2
	v_cmp_gt_u32_e64 s[70:71], s90, v41
	s_and_saveexec_b64 s[72:73], s[70:71]
	s_cbranch_execz .LBB73_123
; %bb.122:
	v_lshlrev_b32_e32 v9, 1, v2
	ds_read_u16 v9, v9 offset:10240
	v_lshlrev_b32_e32 v46, 1, v41
	v_mov_b32_e32 v47, 0
	s_waitcnt lgkmcnt(0)
	v_lshrrev_b32_sdwa v10, s88, v9 dst_sel:DWORD dst_unused:UNUSED_PAD src0_sel:DWORD src1_sel:WORD_0
	v_and_b32_e32 v10, s96, v10
	v_lshlrev_b32_e32 v10, 3, v10
	ds_read_b64 v[10:11], v10
	v_xor_b32_e32 v9, 0xffff8000, v9
	s_waitcnt lgkmcnt(0)
	v_lshl_add_u64 v[10:11], v[10:11], 1, s[78:79]
	v_lshl_add_u64 v[10:11], v[10:11], 0, v[46:47]
	global_store_short v[10:11], v9, off
.LBB73_123:
	s_or_b64 exec, exec, s[72:73]
	v_add_u32_e32 v43, 0x1100, v2
	v_cmp_gt_u32_e64 s[72:73], s90, v43
	s_and_saveexec_b64 s[90:91], s[72:73]
	s_cbranch_execz .LBB73_125
; %bb.124:
	v_lshlrev_b32_e32 v9, 1, v2
	ds_read_u16 v9, v9 offset:10752
	v_lshlrev_b32_e32 v46, 1, v43
	v_mov_b32_e32 v47, 0
	s_waitcnt lgkmcnt(0)
	v_lshrrev_b32_sdwa v10, s88, v9 dst_sel:DWORD dst_unused:UNUSED_PAD src0_sel:DWORD src1_sel:WORD_0
	v_and_b32_e32 v10, s96, v10
	v_lshlrev_b32_e32 v10, 3, v10
	ds_read_b64 v[10:11], v10
	v_xor_b32_e32 v9, 0xffff8000, v9
	s_waitcnt lgkmcnt(0)
	v_lshl_add_u64 v[10:11], v[10:11], 1, s[78:79]
	v_lshl_add_u64 v[10:11], v[10:11], 0, v[46:47]
	global_store_short v[10:11], v9, off
.LBB73_125:
	s_or_b64 exec, exec, s[90:91]
	s_lshl_b64 s[90:91], s[92:93], 3
	s_add_u32 s90, s80, s90
	s_addc_u32 s91, s81, s91
	v_lshlrev_b32_e32 v10, 3, v3
	v_mov_b32_e32 v11, 0
	v_lshl_add_u64 v[46:47], s[90:91], 0, v[10:11]
	v_lshlrev_b32_e32 v10, 3, v14
	v_lshl_add_u64 v[10:11], v[46:47], 0, v[10:11]
                                        ; implicit-def: $vgpr60_vgpr61
	s_and_saveexec_b64 s[90:91], vcc
	s_xor_b64 s[90:91], exec, s[90:91]
	s_cbranch_execz .LBB73_143
; %bb.126:
	global_load_dwordx2 v[60:61], v[10:11], off
	s_or_b64 exec, exec, s[90:91]
                                        ; implicit-def: $vgpr62_vgpr63
	s_and_saveexec_b64 s[90:91], s[74:75]
	s_cbranch_execnz .LBB73_144
.LBB73_127:
	s_or_b64 exec, exec, s[90:91]
                                        ; implicit-def: $vgpr64_vgpr65
	s_and_saveexec_b64 s[74:75], s[4:5]
	s_cbranch_execz .LBB73_145
.LBB73_128:
	global_load_dwordx2 v[64:65], v[10:11], off offset:1024
	s_or_b64 exec, exec, s[74:75]
                                        ; implicit-def: $vgpr66_vgpr67
	s_and_saveexec_b64 s[4:5], s[10:11]
	s_cbranch_execnz .LBB73_146
.LBB73_129:
	s_or_b64 exec, exec, s[4:5]
                                        ; implicit-def: $vgpr68_vgpr69
	s_and_saveexec_b64 s[4:5], s[16:17]
	s_cbranch_execz .LBB73_147
.LBB73_130:
	global_load_dwordx2 v[68:69], v[10:11], off offset:2048
	s_or_b64 exec, exec, s[4:5]
                                        ; implicit-def: $vgpr70_vgpr71
	s_and_saveexec_b64 s[4:5], s[20:21]
	s_cbranch_execnz .LBB73_148
.LBB73_131:
	s_or_b64 exec, exec, s[4:5]
                                        ; implicit-def: $vgpr72_vgpr73
	s_and_saveexec_b64 s[4:5], s[24:25]
	s_cbranch_execz .LBB73_149
.LBB73_132:
	global_load_dwordx2 v[72:73], v[10:11], off offset:3072
	s_or_b64 exec, exec, s[4:5]
                                        ; implicit-def: $vgpr74_vgpr75
	s_and_saveexec_b64 s[4:5], s[30:31]
	s_cbranch_execnz .LBB73_150
.LBB73_133:
	s_or_b64 exec, exec, s[4:5]
                                        ; implicit-def: $vgpr76_vgpr77
	s_and_saveexec_b64 s[4:5], s[36:37]
	s_cbranch_execz .LBB73_151
.LBB73_134:
	v_add_co_u32_e32 v46, vcc, 0x1000, v10
	s_nop 1
	v_addc_co_u32_e32 v47, vcc, 0, v11, vcc
	global_load_dwordx2 v[76:77], v[46:47], off
	s_or_b64 exec, exec, s[4:5]
                                        ; implicit-def: $vgpr78_vgpr79
	s_and_saveexec_b64 s[4:5], s[34:35]
	s_cbranch_execnz .LBB73_152
.LBB73_135:
	s_or_b64 exec, exec, s[4:5]
                                        ; implicit-def: $vgpr80_vgpr81
	s_and_saveexec_b64 s[4:5], s[28:29]
	s_cbranch_execz .LBB73_153
.LBB73_136:
	v_add_co_u32_e32 v46, vcc, 0x1000, v10
	s_nop 1
	v_addc_co_u32_e32 v47, vcc, 0, v11, vcc
	global_load_dwordx2 v[80:81], v[46:47], off offset:1024
	s_or_b64 exec, exec, s[4:5]
                                        ; implicit-def: $vgpr82_vgpr83
	s_and_saveexec_b64 s[4:5], s[26:27]
	s_cbranch_execnz .LBB73_154
.LBB73_137:
	s_or_b64 exec, exec, s[4:5]
                                        ; implicit-def: $vgpr84_vgpr85
	s_and_saveexec_b64 s[4:5], s[22:23]
	s_cbranch_execz .LBB73_155
.LBB73_138:
	v_add_co_u32_e32 v46, vcc, 0x1000, v10
	s_nop 1
	v_addc_co_u32_e32 v47, vcc, 0, v11, vcc
	global_load_dwordx2 v[84:85], v[46:47], off offset:2048
	s_or_b64 exec, exec, s[4:5]
                                        ; implicit-def: $vgpr86_vgpr87
	s_and_saveexec_b64 s[4:5], s[18:19]
	s_cbranch_execnz .LBB73_156
.LBB73_139:
	s_or_b64 exec, exec, s[4:5]
                                        ; implicit-def: $vgpr88_vgpr89
	s_and_saveexec_b64 s[4:5], s[14:15]
	s_cbranch_execz .LBB73_157
.LBB73_140:
	v_add_co_u32_e32 v46, vcc, 0x1000, v10
	s_nop 1
	v_addc_co_u32_e32 v47, vcc, 0, v11, vcc
	global_load_dwordx2 v[88:89], v[46:47], off offset:3072
	s_or_b64 exec, exec, s[4:5]
                                        ; implicit-def: $vgpr90_vgpr91
	s_and_saveexec_b64 s[4:5], s[12:13]
	s_cbranch_execnz .LBB73_158
.LBB73_141:
	s_or_b64 exec, exec, s[4:5]
                                        ; implicit-def: $vgpr92_vgpr93
	s_and_saveexec_b64 s[4:5], s[8:9]
	s_cbranch_execz .LBB73_159
.LBB73_142:
	v_add_co_u32_e32 v46, vcc, 0x2000, v10
	s_nop 1
	v_addc_co_u32_e32 v47, vcc, 0, v11, vcc
	global_load_dwordx2 v[92:93], v[46:47], off
	s_or_b64 exec, exec, s[4:5]
                                        ; implicit-def: $vgpr94_vgpr95
	s_and_saveexec_b64 s[4:5], s[6:7]
	s_cbranch_execnz .LBB73_160
	s_branch .LBB73_161
.LBB73_143:
	s_or_b64 exec, exec, s[90:91]
                                        ; implicit-def: $vgpr62_vgpr63
	s_and_saveexec_b64 s[90:91], s[74:75]
	s_cbranch_execz .LBB73_127
.LBB73_144:
	global_load_dwordx2 v[62:63], v[10:11], off offset:512
	s_or_b64 exec, exec, s[90:91]
                                        ; implicit-def: $vgpr64_vgpr65
	s_and_saveexec_b64 s[74:75], s[4:5]
	s_cbranch_execnz .LBB73_128
.LBB73_145:
	s_or_b64 exec, exec, s[74:75]
                                        ; implicit-def: $vgpr66_vgpr67
	s_and_saveexec_b64 s[4:5], s[10:11]
	s_cbranch_execz .LBB73_129
.LBB73_146:
	global_load_dwordx2 v[66:67], v[10:11], off offset:1536
	s_or_b64 exec, exec, s[4:5]
                                        ; implicit-def: $vgpr68_vgpr69
	s_and_saveexec_b64 s[4:5], s[16:17]
	s_cbranch_execnz .LBB73_130
.LBB73_147:
	s_or_b64 exec, exec, s[4:5]
                                        ; implicit-def: $vgpr70_vgpr71
	s_and_saveexec_b64 s[4:5], s[20:21]
	s_cbranch_execz .LBB73_131
.LBB73_148:
	global_load_dwordx2 v[70:71], v[10:11], off offset:2560
	s_or_b64 exec, exec, s[4:5]
                                        ; implicit-def: $vgpr72_vgpr73
	s_and_saveexec_b64 s[4:5], s[24:25]
	s_cbranch_execnz .LBB73_132
.LBB73_149:
	s_or_b64 exec, exec, s[4:5]
                                        ; implicit-def: $vgpr74_vgpr75
	s_and_saveexec_b64 s[4:5], s[30:31]
	s_cbranch_execz .LBB73_133
.LBB73_150:
	global_load_dwordx2 v[74:75], v[10:11], off offset:3584
	s_or_b64 exec, exec, s[4:5]
                                        ; implicit-def: $vgpr76_vgpr77
	s_and_saveexec_b64 s[4:5], s[36:37]
	s_cbranch_execnz .LBB73_134
.LBB73_151:
	s_or_b64 exec, exec, s[4:5]
                                        ; implicit-def: $vgpr78_vgpr79
	s_and_saveexec_b64 s[4:5], s[34:35]
	s_cbranch_execz .LBB73_135
.LBB73_152:
	v_add_co_u32_e32 v46, vcc, 0x1000, v10
	s_nop 1
	v_addc_co_u32_e32 v47, vcc, 0, v11, vcc
	global_load_dwordx2 v[78:79], v[46:47], off offset:512
	s_or_b64 exec, exec, s[4:5]
                                        ; implicit-def: $vgpr80_vgpr81
	s_and_saveexec_b64 s[4:5], s[28:29]
	s_cbranch_execnz .LBB73_136
.LBB73_153:
	s_or_b64 exec, exec, s[4:5]
                                        ; implicit-def: $vgpr82_vgpr83
	s_and_saveexec_b64 s[4:5], s[26:27]
	s_cbranch_execz .LBB73_137
.LBB73_154:
	v_add_co_u32_e32 v46, vcc, 0x1000, v10
	s_nop 1
	v_addc_co_u32_e32 v47, vcc, 0, v11, vcc
	global_load_dwordx2 v[82:83], v[46:47], off offset:1536
	s_or_b64 exec, exec, s[4:5]
                                        ; implicit-def: $vgpr84_vgpr85
	s_and_saveexec_b64 s[4:5], s[22:23]
	s_cbranch_execnz .LBB73_138
.LBB73_155:
	s_or_b64 exec, exec, s[4:5]
                                        ; implicit-def: $vgpr86_vgpr87
	s_and_saveexec_b64 s[4:5], s[18:19]
	s_cbranch_execz .LBB73_139
.LBB73_156:
	v_add_co_u32_e32 v46, vcc, 0x1000, v10
	s_nop 1
	v_addc_co_u32_e32 v47, vcc, 0, v11, vcc
	global_load_dwordx2 v[86:87], v[46:47], off offset:2560
	s_or_b64 exec, exec, s[4:5]
                                        ; implicit-def: $vgpr88_vgpr89
	s_and_saveexec_b64 s[4:5], s[14:15]
	s_cbranch_execnz .LBB73_140
.LBB73_157:
	s_or_b64 exec, exec, s[4:5]
                                        ; implicit-def: $vgpr90_vgpr91
	s_and_saveexec_b64 s[4:5], s[12:13]
	s_cbranch_execz .LBB73_141
.LBB73_158:
	v_add_co_u32_e32 v46, vcc, 0x1000, v10
	s_nop 1
	v_addc_co_u32_e32 v47, vcc, 0, v11, vcc
	global_load_dwordx2 v[90:91], v[46:47], off offset:3584
	s_or_b64 exec, exec, s[4:5]
                                        ; implicit-def: $vgpr92_vgpr93
	s_and_saveexec_b64 s[4:5], s[8:9]
	s_cbranch_execnz .LBB73_142
.LBB73_159:
	s_or_b64 exec, exec, s[4:5]
                                        ; implicit-def: $vgpr94_vgpr95
	s_and_saveexec_b64 s[4:5], s[6:7]
	s_cbranch_execz .LBB73_161
.LBB73_160:
	v_add_co_u32_e32 v10, vcc, 0x2000, v10
	s_nop 1
	v_addc_co_u32_e32 v11, vcc, 0, v11, vcc
	global_load_dwordx2 v[94:95], v[10:11], off offset:512
.LBB73_161:
	s_or_b64 exec, exec, s[4:5]
	v_mov_b32_e32 v56, 0
	v_mov_b32_e32 v9, 0
	s_and_saveexec_b64 s[4:5], s[38:39]
	s_cbranch_execz .LBB73_163
; %bb.162:
	v_lshlrev_b32_e32 v3, 1, v2
	ds_read_u16 v3, v3 offset:2048
	s_waitcnt lgkmcnt(0)
	v_lshrrev_b32_e32 v3, s88, v3
	v_and_b32_e32 v9, s96, v3
.LBB73_163:
	s_or_b64 exec, exec, s[4:5]
	s_and_saveexec_b64 s[4:5], s[40:41]
	s_cbranch_execz .LBB73_165
; %bb.164:
	v_lshlrev_b32_e32 v3, 1, v2
	ds_read_u16 v3, v3 offset:2560
	s_waitcnt lgkmcnt(0)
	v_lshrrev_b32_e32 v3, s88, v3
	v_and_b32_e32 v56, s96, v3
.LBB73_165:
	s_or_b64 exec, exec, s[4:5]
	v_mov_b32_e32 v54, 0
	v_mov_b32_e32 v58, 0
	s_and_saveexec_b64 s[4:5], s[42:43]
	s_cbranch_execz .LBB73_167
; %bb.166:
	v_lshlrev_b32_e32 v3, 1, v2
	ds_read_u16 v3, v3 offset:3072
	s_waitcnt lgkmcnt(0)
	v_lshrrev_b32_e32 v3, s88, v3
	v_and_b32_e32 v58, s96, v3
.LBB73_167:
	s_or_b64 exec, exec, s[4:5]
	s_and_saveexec_b64 s[4:5], s[44:45]
	s_cbranch_execz .LBB73_169
; %bb.168:
	v_lshlrev_b32_e32 v3, 1, v2
	ds_read_u16 v3, v3 offset:3584
	s_waitcnt lgkmcnt(0)
	v_lshrrev_b32_e32 v3, s88, v3
	v_and_b32_e32 v54, s96, v3
.LBB73_169:
	;; [unrolled: 22-line block ×9, first 2 shown]
	s_or_b64 exec, exec, s[4:5]
	v_lshlrev_b32_e32 v2, 3, v48
	s_barrier
	s_waitcnt vmcnt(0)
	ds_write_b64 v2, v[60:61] offset:2048
	v_lshlrev_b32_e32 v2, 3, v45
	ds_write_b64 v2, v[62:63] offset:2048
	v_lshlrev_b32_e32 v2, 3, v42
	;; [unrolled: 2-line block ×17, first 2 shown]
	ds_write_b64 v2, v[94:95] offset:2048
	s_waitcnt lgkmcnt(0)
	s_barrier
	s_and_saveexec_b64 s[4:5], s[38:39]
	s_cbranch_execz .LBB73_274
; %bb.198:
	v_lshlrev_b32_e32 v2, 3, v9
	ds_read_b64 v[28:29], v2
	ds_read_b64 v[30:31], v8 offset:2048
	v_mov_b32_e32 v9, 0
	s_waitcnt lgkmcnt(1)
	v_lshl_add_u64 v[28:29], v[28:29], 3, s[82:83]
	v_lshl_add_u64 v[28:29], v[28:29], 0, v[8:9]
	s_waitcnt lgkmcnt(0)
	global_store_dwordx2 v[28:29], v[30:31], off
	s_or_b64 exec, exec, s[4:5]
	s_and_saveexec_b64 s[4:5], s[40:41]
	s_cbranch_execnz .LBB73_275
.LBB73_199:
	s_or_b64 exec, exec, s[4:5]
	s_and_saveexec_b64 s[4:5], s[42:43]
	s_cbranch_execz .LBB73_276
.LBB73_200:
	v_lshlrev_b32_e32 v2, 3, v58
	ds_read_b64 v[28:29], v2
	ds_read_b64 v[30:31], v8 offset:6144
	v_lshlrev_b32_e32 v32, 3, v12
	v_mov_b32_e32 v33, 0
	s_waitcnt lgkmcnt(1)
	v_lshl_add_u64 v[28:29], v[28:29], 3, s[82:83]
	v_lshl_add_u64 v[28:29], v[28:29], 0, v[32:33]
	s_waitcnt lgkmcnt(0)
	global_store_dwordx2 v[28:29], v[30:31], off
	s_or_b64 exec, exec, s[4:5]
	s_and_saveexec_b64 s[4:5], s[44:45]
	s_cbranch_execnz .LBB73_277
.LBB73_201:
	s_or_b64 exec, exec, s[4:5]
	s_and_saveexec_b64 s[4:5], s[46:47]
	s_cbranch_execz .LBB73_278
.LBB73_202:
	v_lshlrev_b32_e32 v2, 3, v57
	ds_read_b64 v[12:13], v2
	ds_read_b64 v[28:29], v8 offset:10240
	v_lshlrev_b32_e32 v30, 3, v15
	v_mov_b32_e32 v31, 0
	s_waitcnt lgkmcnt(1)
	v_lshl_add_u64 v[12:13], v[12:13], 3, s[82:83]
	v_lshl_add_u64 v[12:13], v[12:13], 0, v[30:31]
	s_waitcnt lgkmcnt(0)
	global_store_dwordx2 v[12:13], v[28:29], off
	s_or_b64 exec, exec, s[4:5]
	s_and_saveexec_b64 s[4:5], s[48:49]
	s_cbranch_execnz .LBB73_279
.LBB73_203:
	s_or_b64 exec, exec, s[4:5]
	s_and_saveexec_b64 s[4:5], s[50:51]
	s_cbranch_execz .LBB73_280
.LBB73_204:
	v_lshlrev_b32_e32 v2, 3, v55
	ds_read_b64 v[12:13], v2
	ds_read_b64 v[28:29], v8 offset:14336
	v_lshlrev_b32_e32 v16, 3, v17
	v_mov_b32_e32 v17, 0
	s_waitcnt lgkmcnt(1)
	v_lshl_add_u64 v[12:13], v[12:13], 3, s[82:83]
	v_lshl_add_u64 v[12:13], v[12:13], 0, v[16:17]
	s_waitcnt lgkmcnt(0)
	global_store_dwordx2 v[12:13], v[28:29], off
	s_or_b64 exec, exec, s[4:5]
	s_and_saveexec_b64 s[4:5], s[52:53]
	s_cbranch_execnz .LBB73_281
.LBB73_205:
	s_or_b64 exec, exec, s[4:5]
	s_and_saveexec_b64 s[4:5], s[54:55]
	s_cbranch_execz .LBB73_282
.LBB73_206:
	v_lshlrev_b32_e32 v2, 3, v53
	ds_read_b64 v[12:13], v2
	ds_read_b64 v[16:17], v8 offset:18432
	v_lshlrev_b32_e32 v18, 3, v20
	v_mov_b32_e32 v19, 0
	s_waitcnt lgkmcnt(1)
	v_lshl_add_u64 v[12:13], v[12:13], 3, s[82:83]
	v_lshl_add_u64 v[12:13], v[12:13], 0, v[18:19]
	s_waitcnt lgkmcnt(0)
	global_store_dwordx2 v[12:13], v[16:17], off
	s_or_b64 exec, exec, s[4:5]
	s_and_saveexec_b64 s[4:5], s[56:57]
	s_cbranch_execnz .LBB73_283
.LBB73_207:
	s_or_b64 exec, exec, s[4:5]
	s_and_saveexec_b64 s[4:5], s[58:59]
	s_cbranch_execz .LBB73_284
.LBB73_208:
	v_lshlrev_b32_e32 v2, 3, v51
	ds_read_b64 v[12:13], v2
	ds_read_b64 v[16:17], v8 offset:22528
	v_lshlrev_b32_e32 v18, 3, v22
	v_mov_b32_e32 v19, 0
	s_waitcnt lgkmcnt(1)
	v_lshl_add_u64 v[12:13], v[12:13], 3, s[82:83]
	v_lshl_add_u64 v[12:13], v[12:13], 0, v[18:19]
	s_waitcnt lgkmcnt(0)
	global_store_dwordx2 v[12:13], v[16:17], off
	s_or_b64 exec, exec, s[4:5]
	s_and_saveexec_b64 s[4:5], s[60:61]
	s_cbranch_execnz .LBB73_285
.LBB73_209:
	s_or_b64 exec, exec, s[4:5]
	s_and_saveexec_b64 s[4:5], s[62:63]
	s_cbranch_execz .LBB73_286
.LBB73_210:
	v_lshlrev_b32_e32 v2, 3, v49
	ds_read_b64 v[12:13], v2
	ds_read_b64 v[16:17], v8 offset:26624
	v_lshlrev_b32_e32 v18, 3, v24
	v_mov_b32_e32 v19, 0
	s_waitcnt lgkmcnt(1)
	v_lshl_add_u64 v[12:13], v[12:13], 3, s[82:83]
	v_lshl_add_u64 v[12:13], v[12:13], 0, v[18:19]
	s_waitcnt lgkmcnt(0)
	global_store_dwordx2 v[12:13], v[16:17], off
	s_or_b64 exec, exec, s[4:5]
	s_and_saveexec_b64 s[4:5], s[64:65]
	s_cbranch_execnz .LBB73_287
.LBB73_211:
	s_or_b64 exec, exec, s[4:5]
	s_and_saveexec_b64 s[4:5], s[66:67]
	s_cbranch_execz .LBB73_288
.LBB73_212:
	v_lshlrev_b32_e32 v2, 3, v46
	ds_read_b64 v[12:13], v2
	ds_read_b64 v[16:17], v8 offset:30720
	v_lshlrev_b32_e32 v18, 3, v26
	v_mov_b32_e32 v19, 0
	s_waitcnt lgkmcnt(1)
	v_lshl_add_u64 v[12:13], v[12:13], 3, s[82:83]
	v_lshl_add_u64 v[12:13], v[12:13], 0, v[18:19]
	s_waitcnt lgkmcnt(0)
	global_store_dwordx2 v[12:13], v[16:17], off
	s_or_b64 exec, exec, s[4:5]
	s_and_saveexec_b64 s[4:5], s[68:69]
	s_cbranch_execnz .LBB73_289
.LBB73_213:
	s_or_b64 exec, exec, s[4:5]
	s_and_saveexec_b64 s[4:5], s[70:71]
	s_cbranch_execz .LBB73_290
.LBB73_214:
	v_lshlrev_b32_e32 v2, 3, v14
	ds_read_b64 v[10:11], v2
	ds_read_b64 v[12:13], v8 offset:34816
	v_lshlrev_b32_e32 v14, 3, v41
	v_mov_b32_e32 v15, 0
	s_waitcnt lgkmcnt(1)
	v_lshl_add_u64 v[10:11], v[10:11], 3, s[82:83]
	v_lshl_add_u64 v[10:11], v[10:11], 0, v[14:15]
	s_waitcnt lgkmcnt(0)
	global_store_dwordx2 v[10:11], v[12:13], off
	s_or_b64 exec, exec, s[4:5]
	s_and_saveexec_b64 s[4:5], s[72:73]
	s_cbranch_execnz .LBB73_291
.LBB73_215:
	s_or_b64 exec, exec, s[4:5]
	s_add_i32 s33, s33, -1
	s_cmp_eq_u32 s2, s33
	s_cbranch_scc0 .LBB73_217
.LBB73_216:
	ds_read_b64 v[2:3], v8
	v_mov_b32_e32 v7, 0
	v_lshl_add_u64 v[4:5], v[6:7], 0, v[4:5]
	s_waitcnt lgkmcnt(0)
	v_lshl_add_u64 v[2:3], v[4:5], 0, v[2:3]
	global_store_dwordx2 v8, v[2:3], s[86:87]
.LBB73_217:
	s_mov_b64 s[4:5], 0
.LBB73_218:
	s_and_b64 vcc, exec, s[4:5]
	s_cbranch_vccz .LBB73_273
; %bb.219:
	s_mov_b32 s93, 0
	s_lshl_b64 s[4:5], s[92:93], 1
	s_add_u32 s4, s76, s4
	v_mbcnt_hi_u32_b32 v12, -1, v1
	s_addc_u32 s5, s77, s5
	v_mov_b32_e32 v5, 0
	v_lshlrev_b32_e32 v4, 1, v12
	v_lshl_add_u64 v[6:7], s[4:5], 0, v[4:5]
	s_load_dword s8, s[0:1], 0x50
	s_load_dword s4, s[0:1], 0x5c
	v_and_b32_e32 v8, 0xc0, v0
	v_mul_u32_u24_e32 v3, 18, v8
	s_add_u32 s0, s0, 0x50
	v_lshlrev_b32_e32 v4, 1, v3
	s_addc_u32 s1, s1, 0
	s_waitcnt lgkmcnt(0)
	s_lshr_b32 s4, s4, 16
	v_lshl_add_u64 v[16:17], v[6:7], 0, v[4:5]
	s_cmp_lt_u32 s2, s8
	global_load_ushort v1, v[16:17], off
	s_cselect_b32 s5, 12, 18
	s_add_u32 s0, s0, s5
	s_addc_u32 s1, s1, 0
	global_load_ushort v9, v5, s[0:1]
	v_and_b32_e32 v2, 0x3ff, v0
	v_mul_u32_u24_e32 v6, 20, v2
	ds_write2_b32 v6, v5, v5 offset0:4 offset1:5
	ds_write2_b32 v6, v5, v5 offset0:6 offset1:7
	ds_write_b32 v6, v5 offset:32
	global_load_ushort v10, v[16:17], off offset:128
	global_load_ushort v15, v[16:17], off offset:256
	global_load_ushort v21, v[16:17], off offset:384
	global_load_ushort v26, v[16:17], off offset:512
	global_load_ushort v31, v[16:17], off offset:640
	global_load_ushort v36, v[16:17], off offset:768
	global_load_ushort v41, v[16:17], off offset:896
	global_load_ushort v46, v[16:17], off offset:1024
	global_load_ushort v51, v[16:17], off offset:1152
	global_load_ushort v54, v[16:17], off offset:1280
	global_load_ushort v49, v[16:17], off offset:1408
	global_load_ushort v44, v[16:17], off offset:1536
	global_load_ushort v40, v[16:17], off offset:1664
	global_load_ushort v35, v[16:17], off offset:1792
	global_load_ushort v30, v[16:17], off offset:1920
	global_load_ushort v25, v[16:17], off offset:2048
	global_load_ushort v19, v[16:17], off offset:2176
	v_bfe_u32 v4, v0, 10, 10
	v_bfe_u32 v7, v0, 20, 10
	v_mad_u32_u24 v11, v7, s4, v4
	s_lshl_b32 s0, -1, s89
	v_mov_b32_e32 v0, v5
	s_not_b32 s9, s0
	v_mov_b32_e32 v22, v5
	v_mov_b32_e32 v28, v5
	s_waitcnt lgkmcnt(0)
	s_barrier
	s_waitcnt vmcnt(18)
	; wave barrier
	v_xor_b32_e32 v7, 0xffff8000, v1
	v_lshrrev_b32_sdwa v1, s88, v7 dst_sel:DWORD dst_unused:UNUSED_PAD src0_sel:DWORD src1_sel:WORD_0
	v_bitop3_b32 v13, v1, s0, v1 bitop3:0x30
	v_and_b32_e32 v4, 1, v13
	v_lshlrev_b32_e32 v1, 30, v13
	s_waitcnt vmcnt(17)
	v_mad_u64_u32 v[32:33], s[0:1], v11, v9, v[2:3]
	v_lshlrev_b32_e32 v23, 29, v13
	v_lshl_add_u64 v[38:39], v[4:5], 0, -1
	v_cmp_ne_u32_e32 vcc, 0, v4
	v_cmp_gt_i64_e64 s[0:1], 0, v[0:1]
	v_not_b32_e32 v0, v1
	v_lshlrev_b32_e32 v29, 28, v13
	v_not_b32_e32 v1, v23
	v_xor_b32_e32 v14, vcc_lo, v38
	v_ashrrev_i32_e32 v0, 31, v0
	v_cmp_gt_i64_e64 s[4:5], 0, v[22:23]
	v_not_b32_e32 v4, v29
	v_ashrrev_i32_e32 v1, 31, v1
	v_and_b32_e32 v14, exec_lo, v14
	v_xor_b32_e32 v16, s1, v0
	v_xor_b32_e32 v0, s0, v0
	v_cmp_gt_i64_e64 s[6:7], 0, v[28:29]
	v_xor_b32_e32 v11, vcc_hi, v39
	v_ashrrev_i32_e32 v4, 31, v4
	v_xor_b32_e32 v18, s5, v1
	v_xor_b32_e32 v1, s4, v1
	v_and_b32_e32 v0, v14, v0
	v_lshlrev_b32_e32 v17, 27, v13
	v_and_b32_e32 v11, exec_hi, v11
	v_xor_b32_e32 v22, s7, v4
	v_xor_b32_e32 v4, s6, v4
	v_and_b32_e32 v0, v0, v1
	v_and_b32_e32 v11, v11, v16
	;; [unrolled: 1-line block ×3, first 2 shown]
	v_mov_b32_e32 v16, v5
	v_not_b32_e32 v4, v17
	v_and_b32_e32 v11, v11, v18
	v_cmp_gt_i64_e32 vcc, 0, v[16:17]
	v_ashrrev_i32_e32 v4, 31, v4
	v_and_b32_e32 v1, v11, v22
	v_xor_b32_e32 v11, vcc_hi, v4
	v_xor_b32_e32 v4, vcc_lo, v4
	v_and_b32_e32 v11, v1, v11
	v_and_b32_e32 v4, v0, v4
	v_lshlrev_b32_e32 v1, 26, v13
	v_mov_b32_e32 v0, v5
	v_cmp_gt_i64_e32 vcc, 0, v[0:1]
	v_not_b32_e32 v0, v1
	v_ashrrev_i32_e32 v0, 31, v0
	v_xor_b32_e32 v1, vcc_hi, v0
	v_xor_b32_e32 v0, vcc_lo, v0
	v_and_b32_e32 v11, v11, v1
	v_and_b32_e32 v4, v4, v0
	v_lshlrev_b32_e32 v1, 25, v13
	v_mov_b32_e32 v0, v5
	v_cmp_gt_i64_e32 vcc, 0, v[0:1]
	v_not_b32_e32 v0, v1
	v_ashrrev_i32_e32 v0, 31, v0
	;; [unrolled: 9-line block ×3, first 2 shown]
	v_xor_b32_e32 v1, vcc_hi, v0
	v_xor_b32_e32 v0, vcc_lo, v0
	v_and_b32_e32 v0, v4, v0
	v_and_b32_e32 v1, v11, v1
	v_mbcnt_lo_u32_b32 v4, v0, 0
	v_lshrrev_b32_e32 v9, 6, v32
	v_mbcnt_hi_u32_b32 v11, v1, v4
	v_lshlrev_b32_e32 v20, 2, v9
	v_cmp_eq_u32_e32 vcc, 0, v11
	v_cmp_ne_u64_e64 s[0:1], 0, v[0:1]
	v_mad_u32_u24 v9, v13, 20, v20
	s_and_b64 s[4:5], s[0:1], vcc
	s_and_saveexec_b64 s[0:1], s[4:5]
; %bb.220:
	v_bcnt_u32_b32 v0, v0, 0
	v_bcnt_u32_b32 v0, v1, v0
	ds_write_b32 v9, v0 offset:16
; %bb.221:
	s_or_b64 exec, exec, s[0:1]
	s_waitcnt vmcnt(16)
	v_xor_b32_e32 v10, 0xffff8000, v10
	v_lshrrev_b32_sdwa v0, s88, v10 dst_sel:DWORD dst_unused:UNUSED_PAD src0_sel:DWORD src1_sel:WORD_0
	v_and_b32_e32 v16, s9, v0
	v_and_b32_e32 v4, 1, v16
	v_lshl_add_u64 v[0:1], v[4:5], 0, -1
	v_cmp_ne_u32_e32 vcc, 0, v4
	v_mad_u32_u24 v14, v16, 20, v20
	s_nop 0
	v_xor_b32_e32 v1, vcc_hi, v1
	v_xor_b32_e32 v0, vcc_lo, v0
	v_and_b32_e32 v4, exec_hi, v1
	v_and_b32_e32 v17, exec_lo, v0
	v_lshlrev_b32_e32 v1, 30, v16
	v_mov_b32_e32 v0, v5
	v_cmp_gt_i64_e32 vcc, 0, v[0:1]
	v_not_b32_e32 v0, v1
	v_ashrrev_i32_e32 v0, 31, v0
	v_xor_b32_e32 v1, vcc_hi, v0
	v_xor_b32_e32 v0, vcc_lo, v0
	v_and_b32_e32 v4, v4, v1
	v_and_b32_e32 v17, v17, v0
	v_lshlrev_b32_e32 v1, 29, v16
	v_mov_b32_e32 v0, v5
	v_cmp_gt_i64_e32 vcc, 0, v[0:1]
	v_not_b32_e32 v0, v1
	v_ashrrev_i32_e32 v0, 31, v0
	v_xor_b32_e32 v1, vcc_hi, v0
	v_xor_b32_e32 v0, vcc_lo, v0
	v_and_b32_e32 v4, v4, v1
	v_and_b32_e32 v17, v17, v0
	;; [unrolled: 9-line block ×6, first 2 shown]
	v_lshlrev_b32_e32 v1, 24, v16
	v_mov_b32_e32 v0, v5
	v_cmp_gt_i64_e32 vcc, 0, v[0:1]
	v_not_b32_e32 v0, v1
	v_ashrrev_i32_e32 v0, 31, v0
	v_xor_b32_e32 v1, vcc_hi, v0
	v_xor_b32_e32 v0, vcc_lo, v0
	; wave barrier
	ds_read_b32 v13, v14 offset:16
	v_and_b32_e32 v0, v17, v0
	v_and_b32_e32 v1, v4, v1
	v_mbcnt_lo_u32_b32 v4, v0, 0
	v_mbcnt_hi_u32_b32 v16, v1, v4
	v_cmp_eq_u32_e32 vcc, 0, v16
	v_cmp_ne_u64_e64 s[0:1], 0, v[0:1]
	s_and_b64 s[4:5], s[0:1], vcc
	; wave barrier
	s_and_saveexec_b64 s[0:1], s[4:5]
	s_cbranch_execz .LBB73_223
; %bb.222:
	v_bcnt_u32_b32 v0, v0, 0
	v_bcnt_u32_b32 v0, v1, v0
	s_waitcnt lgkmcnt(0)
	v_add_u32_e32 v0, v13, v0
	ds_write_b32 v14, v0 offset:16
.LBB73_223:
	s_or_b64 exec, exec, s[0:1]
	s_waitcnt vmcnt(15)
	v_xor_b32_e32 v15, 0xffff8000, v15
	v_lshrrev_b32_sdwa v0, s88, v15 dst_sel:DWORD dst_unused:UNUSED_PAD src0_sel:DWORD src1_sel:WORD_0
	v_and_b32_e32 v22, s9, v0
	v_and_b32_e32 v0, 1, v22
	v_mov_b32_e32 v1, 0
	v_lshl_add_u64 v[4:5], v[0:1], 0, -1
	v_cmp_ne_u32_e32 vcc, 0, v0
	v_mad_u32_u24 v18, v22, 20, v20
	s_nop 0
	v_xor_b32_e32 v4, vcc_lo, v4
	v_xor_b32_e32 v0, vcc_hi, v5
	v_and_b32_e32 v23, exec_lo, v4
	v_lshlrev_b32_e32 v5, 30, v22
	v_mov_b32_e32 v4, v1
	v_cmp_gt_i64_e32 vcc, 0, v[4:5]
	v_not_b32_e32 v4, v5
	v_ashrrev_i32_e32 v4, 31, v4
	v_and_b32_e32 v0, exec_hi, v0
	v_xor_b32_e32 v5, vcc_hi, v4
	v_xor_b32_e32 v4, vcc_lo, v4
	v_and_b32_e32 v0, v0, v5
	v_and_b32_e32 v23, v23, v4
	v_lshlrev_b32_e32 v5, 29, v22
	v_mov_b32_e32 v4, v1
	v_cmp_gt_i64_e32 vcc, 0, v[4:5]
	v_not_b32_e32 v4, v5
	v_ashrrev_i32_e32 v4, 31, v4
	v_xor_b32_e32 v5, vcc_hi, v4
	v_xor_b32_e32 v4, vcc_lo, v4
	v_and_b32_e32 v0, v0, v5
	v_and_b32_e32 v23, v23, v4
	v_lshlrev_b32_e32 v5, 28, v22
	v_mov_b32_e32 v4, v1
	v_cmp_gt_i64_e32 vcc, 0, v[4:5]
	v_not_b32_e32 v4, v5
	v_ashrrev_i32_e32 v4, 31, v4
	;; [unrolled: 9-line block ×6, first 2 shown]
	v_xor_b32_e32 v5, vcc_hi, v4
	v_xor_b32_e32 v4, vcc_lo, v4
	; wave barrier
	ds_read_b32 v17, v18 offset:16
	v_and_b32_e32 v4, v23, v4
	v_and_b32_e32 v5, v0, v5
	v_mbcnt_lo_u32_b32 v0, v4, 0
	v_mbcnt_hi_u32_b32 v22, v5, v0
	v_cmp_eq_u32_e32 vcc, 0, v22
	v_cmp_ne_u64_e64 s[0:1], 0, v[4:5]
	s_and_b64 s[4:5], s[0:1], vcc
	; wave barrier
	s_and_saveexec_b64 s[0:1], s[4:5]
	s_cbranch_execz .LBB73_225
; %bb.224:
	v_bcnt_u32_b32 v0, v4, 0
	v_bcnt_u32_b32 v0, v5, v0
	s_waitcnt lgkmcnt(0)
	v_add_u32_e32 v0, v17, v0
	ds_write_b32 v18, v0 offset:16
.LBB73_225:
	s_or_b64 exec, exec, s[0:1]
	s_waitcnt vmcnt(14)
	v_xor_b32_e32 v21, 0xffff8000, v21
	v_lshrrev_b32_sdwa v0, s88, v21 dst_sel:DWORD dst_unused:UNUSED_PAD src0_sel:DWORD src1_sel:WORD_0
	v_and_b32_e32 v27, s9, v0
	v_and_b32_e32 v0, 1, v27
	v_lshl_add_u64 v[4:5], v[0:1], 0, -1
	v_cmp_ne_u32_e32 vcc, 0, v0
	v_mad_u32_u24 v24, v27, 20, v20
	s_nop 0
	v_xor_b32_e32 v4, vcc_lo, v4
	v_xor_b32_e32 v0, vcc_hi, v5
	v_and_b32_e32 v28, exec_lo, v4
	v_lshlrev_b32_e32 v5, 30, v27
	v_mov_b32_e32 v4, v1
	v_cmp_gt_i64_e32 vcc, 0, v[4:5]
	v_not_b32_e32 v4, v5
	v_ashrrev_i32_e32 v4, 31, v4
	v_and_b32_e32 v0, exec_hi, v0
	v_xor_b32_e32 v5, vcc_hi, v4
	v_xor_b32_e32 v4, vcc_lo, v4
	v_and_b32_e32 v0, v0, v5
	v_and_b32_e32 v28, v28, v4
	v_lshlrev_b32_e32 v5, 29, v27
	v_mov_b32_e32 v4, v1
	v_cmp_gt_i64_e32 vcc, 0, v[4:5]
	v_not_b32_e32 v4, v5
	v_ashrrev_i32_e32 v4, 31, v4
	v_xor_b32_e32 v5, vcc_hi, v4
	v_xor_b32_e32 v4, vcc_lo, v4
	v_and_b32_e32 v0, v0, v5
	v_and_b32_e32 v28, v28, v4
	v_lshlrev_b32_e32 v5, 28, v27
	v_mov_b32_e32 v4, v1
	v_cmp_gt_i64_e32 vcc, 0, v[4:5]
	v_not_b32_e32 v4, v5
	v_ashrrev_i32_e32 v4, 31, v4
	;; [unrolled: 9-line block ×5, first 2 shown]
	v_xor_b32_e32 v5, vcc_hi, v4
	v_xor_b32_e32 v4, vcc_lo, v4
	v_and_b32_e32 v0, v0, v5
	v_lshlrev_b32_e32 v5, 24, v27
	v_and_b32_e32 v28, v28, v4
	v_mov_b32_e32 v4, v1
	v_not_b32_e32 v1, v5
	v_cmp_gt_i64_e32 vcc, 0, v[4:5]
	v_ashrrev_i32_e32 v1, 31, v1
	; wave barrier
	s_nop 0
	v_xor_b32_e32 v4, vcc_hi, v1
	v_xor_b32_e32 v5, vcc_lo, v1
	ds_read_b32 v23, v24 offset:16
	v_and_b32_e32 v1, v0, v4
	v_and_b32_e32 v0, v28, v5
	v_mbcnt_lo_u32_b32 v4, v0, 0
	v_mbcnt_hi_u32_b32 v27, v1, v4
	v_cmp_eq_u32_e32 vcc, 0, v27
	v_cmp_ne_u64_e64 s[0:1], 0, v[0:1]
	s_and_b64 s[4:5], s[0:1], vcc
	; wave barrier
	s_and_saveexec_b64 s[0:1], s[4:5]
	s_cbranch_execz .LBB73_227
; %bb.226:
	v_bcnt_u32_b32 v0, v0, 0
	v_bcnt_u32_b32 v0, v1, v0
	s_waitcnt lgkmcnt(0)
	v_add_u32_e32 v0, v23, v0
	ds_write_b32 v24, v0 offset:16
.LBB73_227:
	s_or_b64 exec, exec, s[0:1]
	s_waitcnt vmcnt(13)
	v_xor_b32_e32 v26, 0xffff8000, v26
	v_lshrrev_b32_sdwa v0, s88, v26 dst_sel:DWORD dst_unused:UNUSED_PAD src0_sel:DWORD src1_sel:WORD_0
	v_and_b32_e32 v32, s9, v0
	v_and_b32_e32 v0, 1, v32
	v_mov_b32_e32 v1, 0
	v_lshl_add_u64 v[4:5], v[0:1], 0, -1
	v_cmp_ne_u32_e32 vcc, 0, v0
	v_mad_u32_u24 v29, v32, 20, v20
	s_nop 0
	v_xor_b32_e32 v4, vcc_lo, v4
	v_xor_b32_e32 v0, vcc_hi, v5
	v_and_b32_e32 v33, exec_lo, v4
	v_lshlrev_b32_e32 v5, 30, v32
	v_mov_b32_e32 v4, v1
	v_cmp_gt_i64_e32 vcc, 0, v[4:5]
	v_not_b32_e32 v4, v5
	v_ashrrev_i32_e32 v4, 31, v4
	v_and_b32_e32 v0, exec_hi, v0
	v_xor_b32_e32 v5, vcc_hi, v4
	v_xor_b32_e32 v4, vcc_lo, v4
	v_and_b32_e32 v0, v0, v5
	v_and_b32_e32 v33, v33, v4
	v_lshlrev_b32_e32 v5, 29, v32
	v_mov_b32_e32 v4, v1
	v_cmp_gt_i64_e32 vcc, 0, v[4:5]
	v_not_b32_e32 v4, v5
	v_ashrrev_i32_e32 v4, 31, v4
	v_xor_b32_e32 v5, vcc_hi, v4
	v_xor_b32_e32 v4, vcc_lo, v4
	v_and_b32_e32 v0, v0, v5
	v_and_b32_e32 v33, v33, v4
	v_lshlrev_b32_e32 v5, 28, v32
	v_mov_b32_e32 v4, v1
	v_cmp_gt_i64_e32 vcc, 0, v[4:5]
	v_not_b32_e32 v4, v5
	v_ashrrev_i32_e32 v4, 31, v4
	;; [unrolled: 9-line block ×6, first 2 shown]
	v_xor_b32_e32 v5, vcc_hi, v4
	v_xor_b32_e32 v4, vcc_lo, v4
	; wave barrier
	ds_read_b32 v28, v29 offset:16
	v_and_b32_e32 v4, v33, v4
	v_and_b32_e32 v5, v0, v5
	v_mbcnt_lo_u32_b32 v0, v4, 0
	v_mbcnt_hi_u32_b32 v32, v5, v0
	v_cmp_eq_u32_e32 vcc, 0, v32
	v_cmp_ne_u64_e64 s[0:1], 0, v[4:5]
	s_and_b64 s[4:5], s[0:1], vcc
	; wave barrier
	s_and_saveexec_b64 s[0:1], s[4:5]
	s_cbranch_execz .LBB73_229
; %bb.228:
	v_bcnt_u32_b32 v0, v4, 0
	v_bcnt_u32_b32 v0, v5, v0
	s_waitcnt lgkmcnt(0)
	v_add_u32_e32 v0, v28, v0
	ds_write_b32 v29, v0 offset:16
.LBB73_229:
	s_or_b64 exec, exec, s[0:1]
	s_waitcnt vmcnt(12)
	v_xor_b32_e32 v31, 0xffff8000, v31
	v_lshrrev_b32_sdwa v0, s88, v31 dst_sel:DWORD dst_unused:UNUSED_PAD src0_sel:DWORD src1_sel:WORD_0
	v_and_b32_e32 v37, s9, v0
	v_and_b32_e32 v0, 1, v37
	v_lshl_add_u64 v[4:5], v[0:1], 0, -1
	v_cmp_ne_u32_e32 vcc, 0, v0
	v_mad_u32_u24 v34, v37, 20, v20
	s_nop 0
	v_xor_b32_e32 v4, vcc_lo, v4
	v_xor_b32_e32 v0, vcc_hi, v5
	v_and_b32_e32 v38, exec_lo, v4
	v_lshlrev_b32_e32 v5, 30, v37
	v_mov_b32_e32 v4, v1
	v_cmp_gt_i64_e32 vcc, 0, v[4:5]
	v_not_b32_e32 v4, v5
	v_ashrrev_i32_e32 v4, 31, v4
	v_and_b32_e32 v0, exec_hi, v0
	v_xor_b32_e32 v5, vcc_hi, v4
	v_xor_b32_e32 v4, vcc_lo, v4
	v_and_b32_e32 v0, v0, v5
	v_and_b32_e32 v38, v38, v4
	v_lshlrev_b32_e32 v5, 29, v37
	v_mov_b32_e32 v4, v1
	v_cmp_gt_i64_e32 vcc, 0, v[4:5]
	v_not_b32_e32 v4, v5
	v_ashrrev_i32_e32 v4, 31, v4
	v_xor_b32_e32 v5, vcc_hi, v4
	v_xor_b32_e32 v4, vcc_lo, v4
	v_and_b32_e32 v0, v0, v5
	v_and_b32_e32 v38, v38, v4
	v_lshlrev_b32_e32 v5, 28, v37
	v_mov_b32_e32 v4, v1
	v_cmp_gt_i64_e32 vcc, 0, v[4:5]
	v_not_b32_e32 v4, v5
	v_ashrrev_i32_e32 v4, 31, v4
	;; [unrolled: 9-line block ×5, first 2 shown]
	v_xor_b32_e32 v5, vcc_hi, v4
	v_xor_b32_e32 v4, vcc_lo, v4
	v_and_b32_e32 v0, v0, v5
	v_lshlrev_b32_e32 v5, 24, v37
	v_and_b32_e32 v38, v38, v4
	v_mov_b32_e32 v4, v1
	v_not_b32_e32 v1, v5
	v_cmp_gt_i64_e32 vcc, 0, v[4:5]
	v_ashrrev_i32_e32 v1, 31, v1
	; wave barrier
	s_nop 0
	v_xor_b32_e32 v4, vcc_hi, v1
	v_xor_b32_e32 v5, vcc_lo, v1
	ds_read_b32 v33, v34 offset:16
	v_and_b32_e32 v1, v0, v4
	v_and_b32_e32 v0, v38, v5
	v_mbcnt_lo_u32_b32 v4, v0, 0
	v_mbcnt_hi_u32_b32 v37, v1, v4
	v_cmp_eq_u32_e32 vcc, 0, v37
	v_cmp_ne_u64_e64 s[0:1], 0, v[0:1]
	s_and_b64 s[4:5], s[0:1], vcc
	; wave barrier
	s_and_saveexec_b64 s[0:1], s[4:5]
	s_cbranch_execz .LBB73_231
; %bb.230:
	v_bcnt_u32_b32 v0, v0, 0
	v_bcnt_u32_b32 v0, v1, v0
	s_waitcnt lgkmcnt(0)
	v_add_u32_e32 v0, v33, v0
	ds_write_b32 v34, v0 offset:16
.LBB73_231:
	s_or_b64 exec, exec, s[0:1]
	s_waitcnt vmcnt(11)
	v_xor_b32_e32 v36, 0xffff8000, v36
	v_lshrrev_b32_sdwa v0, s88, v36 dst_sel:DWORD dst_unused:UNUSED_PAD src0_sel:DWORD src1_sel:WORD_0
	v_and_b32_e32 v42, s9, v0
	v_and_b32_e32 v0, 1, v42
	v_mov_b32_e32 v1, 0
	v_lshl_add_u64 v[4:5], v[0:1], 0, -1
	v_cmp_ne_u32_e32 vcc, 0, v0
	v_mad_u32_u24 v39, v42, 20, v20
	s_nop 0
	v_xor_b32_e32 v4, vcc_lo, v4
	v_xor_b32_e32 v0, vcc_hi, v5
	v_and_b32_e32 v43, exec_lo, v4
	v_lshlrev_b32_e32 v5, 30, v42
	v_mov_b32_e32 v4, v1
	v_cmp_gt_i64_e32 vcc, 0, v[4:5]
	v_not_b32_e32 v4, v5
	v_ashrrev_i32_e32 v4, 31, v4
	v_and_b32_e32 v0, exec_hi, v0
	v_xor_b32_e32 v5, vcc_hi, v4
	v_xor_b32_e32 v4, vcc_lo, v4
	v_and_b32_e32 v0, v0, v5
	v_and_b32_e32 v43, v43, v4
	v_lshlrev_b32_e32 v5, 29, v42
	v_mov_b32_e32 v4, v1
	v_cmp_gt_i64_e32 vcc, 0, v[4:5]
	v_not_b32_e32 v4, v5
	v_ashrrev_i32_e32 v4, 31, v4
	v_xor_b32_e32 v5, vcc_hi, v4
	v_xor_b32_e32 v4, vcc_lo, v4
	v_and_b32_e32 v0, v0, v5
	v_and_b32_e32 v43, v43, v4
	v_lshlrev_b32_e32 v5, 28, v42
	v_mov_b32_e32 v4, v1
	v_cmp_gt_i64_e32 vcc, 0, v[4:5]
	v_not_b32_e32 v4, v5
	v_ashrrev_i32_e32 v4, 31, v4
	;; [unrolled: 9-line block ×6, first 2 shown]
	v_xor_b32_e32 v5, vcc_hi, v4
	v_xor_b32_e32 v4, vcc_lo, v4
	; wave barrier
	ds_read_b32 v38, v39 offset:16
	v_and_b32_e32 v4, v43, v4
	v_and_b32_e32 v5, v0, v5
	v_mbcnt_lo_u32_b32 v0, v4, 0
	v_mbcnt_hi_u32_b32 v42, v5, v0
	v_cmp_eq_u32_e32 vcc, 0, v42
	v_cmp_ne_u64_e64 s[0:1], 0, v[4:5]
	s_and_b64 s[4:5], s[0:1], vcc
	; wave barrier
	s_and_saveexec_b64 s[0:1], s[4:5]
	s_cbranch_execz .LBB73_233
; %bb.232:
	v_bcnt_u32_b32 v0, v4, 0
	v_bcnt_u32_b32 v0, v5, v0
	s_waitcnt lgkmcnt(0)
	v_add_u32_e32 v0, v38, v0
	ds_write_b32 v39, v0 offset:16
.LBB73_233:
	s_or_b64 exec, exec, s[0:1]
	s_waitcnt vmcnt(10)
	v_xor_b32_e32 v41, 0xffff8000, v41
	v_lshrrev_b32_sdwa v0, s88, v41 dst_sel:DWORD dst_unused:UNUSED_PAD src0_sel:DWORD src1_sel:WORD_0
	v_and_b32_e32 v47, s9, v0
	v_and_b32_e32 v0, 1, v47
	v_lshl_add_u64 v[4:5], v[0:1], 0, -1
	v_cmp_ne_u32_e32 vcc, 0, v0
	v_mad_u32_u24 v45, v47, 20, v20
	s_nop 0
	v_xor_b32_e32 v4, vcc_lo, v4
	v_xor_b32_e32 v0, vcc_hi, v5
	v_and_b32_e32 v48, exec_lo, v4
	v_lshlrev_b32_e32 v5, 30, v47
	v_mov_b32_e32 v4, v1
	v_cmp_gt_i64_e32 vcc, 0, v[4:5]
	v_not_b32_e32 v4, v5
	v_ashrrev_i32_e32 v4, 31, v4
	v_and_b32_e32 v0, exec_hi, v0
	v_xor_b32_e32 v5, vcc_hi, v4
	v_xor_b32_e32 v4, vcc_lo, v4
	v_and_b32_e32 v0, v0, v5
	v_and_b32_e32 v48, v48, v4
	v_lshlrev_b32_e32 v5, 29, v47
	v_mov_b32_e32 v4, v1
	v_cmp_gt_i64_e32 vcc, 0, v[4:5]
	v_not_b32_e32 v4, v5
	v_ashrrev_i32_e32 v4, 31, v4
	v_xor_b32_e32 v5, vcc_hi, v4
	v_xor_b32_e32 v4, vcc_lo, v4
	v_and_b32_e32 v0, v0, v5
	v_and_b32_e32 v48, v48, v4
	v_lshlrev_b32_e32 v5, 28, v47
	v_mov_b32_e32 v4, v1
	v_cmp_gt_i64_e32 vcc, 0, v[4:5]
	v_not_b32_e32 v4, v5
	v_ashrrev_i32_e32 v4, 31, v4
	;; [unrolled: 9-line block ×5, first 2 shown]
	v_xor_b32_e32 v5, vcc_hi, v4
	v_xor_b32_e32 v4, vcc_lo, v4
	v_and_b32_e32 v0, v0, v5
	v_lshlrev_b32_e32 v5, 24, v47
	v_and_b32_e32 v48, v48, v4
	v_mov_b32_e32 v4, v1
	v_not_b32_e32 v1, v5
	v_cmp_gt_i64_e32 vcc, 0, v[4:5]
	v_ashrrev_i32_e32 v1, 31, v1
	; wave barrier
	s_nop 0
	v_xor_b32_e32 v4, vcc_hi, v1
	v_xor_b32_e32 v5, vcc_lo, v1
	ds_read_b32 v43, v45 offset:16
	v_and_b32_e32 v1, v0, v4
	v_and_b32_e32 v0, v48, v5
	v_mbcnt_lo_u32_b32 v4, v0, 0
	v_mbcnt_hi_u32_b32 v47, v1, v4
	v_cmp_eq_u32_e32 vcc, 0, v47
	v_cmp_ne_u64_e64 s[0:1], 0, v[0:1]
	s_and_b64 s[4:5], s[0:1], vcc
	; wave barrier
	s_and_saveexec_b64 s[0:1], s[4:5]
	s_cbranch_execz .LBB73_235
; %bb.234:
	v_bcnt_u32_b32 v0, v0, 0
	v_bcnt_u32_b32 v0, v1, v0
	s_waitcnt lgkmcnt(0)
	v_add_u32_e32 v0, v43, v0
	ds_write_b32 v45, v0 offset:16
.LBB73_235:
	s_or_b64 exec, exec, s[0:1]
	s_waitcnt vmcnt(9)
	v_xor_b32_e32 v46, 0xffff8000, v46
	v_lshrrev_b32_sdwa v0, s88, v46 dst_sel:DWORD dst_unused:UNUSED_PAD src0_sel:DWORD src1_sel:WORD_0
	v_and_b32_e32 v52, s9, v0
	v_and_b32_e32 v0, 1, v52
	v_mov_b32_e32 v1, 0
	v_lshl_add_u64 v[4:5], v[0:1], 0, -1
	v_cmp_ne_u32_e32 vcc, 0, v0
	v_mad_u32_u24 v50, v52, 20, v20
	s_nop 0
	v_xor_b32_e32 v4, vcc_lo, v4
	v_xor_b32_e32 v0, vcc_hi, v5
	v_and_b32_e32 v53, exec_lo, v4
	v_lshlrev_b32_e32 v5, 30, v52
	v_mov_b32_e32 v4, v1
	v_cmp_gt_i64_e32 vcc, 0, v[4:5]
	v_not_b32_e32 v4, v5
	v_ashrrev_i32_e32 v4, 31, v4
	v_and_b32_e32 v0, exec_hi, v0
	v_xor_b32_e32 v5, vcc_hi, v4
	v_xor_b32_e32 v4, vcc_lo, v4
	v_and_b32_e32 v0, v0, v5
	v_and_b32_e32 v53, v53, v4
	v_lshlrev_b32_e32 v5, 29, v52
	v_mov_b32_e32 v4, v1
	v_cmp_gt_i64_e32 vcc, 0, v[4:5]
	v_not_b32_e32 v4, v5
	v_ashrrev_i32_e32 v4, 31, v4
	v_xor_b32_e32 v5, vcc_hi, v4
	v_xor_b32_e32 v4, vcc_lo, v4
	v_and_b32_e32 v0, v0, v5
	v_and_b32_e32 v53, v53, v4
	v_lshlrev_b32_e32 v5, 28, v52
	v_mov_b32_e32 v4, v1
	v_cmp_gt_i64_e32 vcc, 0, v[4:5]
	v_not_b32_e32 v4, v5
	v_ashrrev_i32_e32 v4, 31, v4
	;; [unrolled: 9-line block ×6, first 2 shown]
	v_xor_b32_e32 v5, vcc_hi, v4
	v_xor_b32_e32 v4, vcc_lo, v4
	; wave barrier
	ds_read_b32 v48, v50 offset:16
	v_and_b32_e32 v4, v53, v4
	v_and_b32_e32 v5, v0, v5
	v_mbcnt_lo_u32_b32 v0, v4, 0
	v_mbcnt_hi_u32_b32 v52, v5, v0
	v_cmp_eq_u32_e32 vcc, 0, v52
	v_cmp_ne_u64_e64 s[0:1], 0, v[4:5]
	s_and_b64 s[4:5], s[0:1], vcc
	; wave barrier
	s_and_saveexec_b64 s[0:1], s[4:5]
	s_cbranch_execz .LBB73_237
; %bb.236:
	v_bcnt_u32_b32 v0, v4, 0
	v_bcnt_u32_b32 v0, v5, v0
	s_waitcnt lgkmcnt(0)
	v_add_u32_e32 v0, v48, v0
	ds_write_b32 v50, v0 offset:16
.LBB73_237:
	s_or_b64 exec, exec, s[0:1]
	s_waitcnt vmcnt(8)
	v_xor_b32_e32 v51, 0xffff8000, v51
	v_lshrrev_b32_sdwa v0, s88, v51 dst_sel:DWORD dst_unused:UNUSED_PAD src0_sel:DWORD src1_sel:WORD_0
	v_and_b32_e32 v56, s9, v0
	v_and_b32_e32 v0, 1, v56
	v_lshl_add_u64 v[4:5], v[0:1], 0, -1
	v_cmp_ne_u32_e32 vcc, 0, v0
	v_mad_u32_u24 v55, v56, 20, v20
	s_nop 0
	v_xor_b32_e32 v4, vcc_lo, v4
	v_xor_b32_e32 v0, vcc_hi, v5
	v_and_b32_e32 v57, exec_lo, v4
	v_lshlrev_b32_e32 v5, 30, v56
	v_mov_b32_e32 v4, v1
	v_cmp_gt_i64_e32 vcc, 0, v[4:5]
	v_not_b32_e32 v4, v5
	v_ashrrev_i32_e32 v4, 31, v4
	v_and_b32_e32 v0, exec_hi, v0
	v_xor_b32_e32 v5, vcc_hi, v4
	v_xor_b32_e32 v4, vcc_lo, v4
	v_and_b32_e32 v0, v0, v5
	v_and_b32_e32 v57, v57, v4
	v_lshlrev_b32_e32 v5, 29, v56
	v_mov_b32_e32 v4, v1
	v_cmp_gt_i64_e32 vcc, 0, v[4:5]
	v_not_b32_e32 v4, v5
	v_ashrrev_i32_e32 v4, 31, v4
	v_xor_b32_e32 v5, vcc_hi, v4
	v_xor_b32_e32 v4, vcc_lo, v4
	v_and_b32_e32 v0, v0, v5
	v_and_b32_e32 v57, v57, v4
	v_lshlrev_b32_e32 v5, 28, v56
	v_mov_b32_e32 v4, v1
	v_cmp_gt_i64_e32 vcc, 0, v[4:5]
	v_not_b32_e32 v4, v5
	v_ashrrev_i32_e32 v4, 31, v4
	;; [unrolled: 9-line block ×5, first 2 shown]
	v_xor_b32_e32 v5, vcc_hi, v4
	v_xor_b32_e32 v4, vcc_lo, v4
	v_and_b32_e32 v0, v0, v5
	v_lshlrev_b32_e32 v5, 24, v56
	v_and_b32_e32 v57, v57, v4
	v_mov_b32_e32 v4, v1
	v_not_b32_e32 v1, v5
	v_cmp_gt_i64_e32 vcc, 0, v[4:5]
	v_ashrrev_i32_e32 v1, 31, v1
	; wave barrier
	s_nop 0
	v_xor_b32_e32 v4, vcc_hi, v1
	v_xor_b32_e32 v5, vcc_lo, v1
	ds_read_b32 v53, v55 offset:16
	v_and_b32_e32 v1, v0, v4
	v_and_b32_e32 v0, v57, v5
	v_mbcnt_lo_u32_b32 v4, v0, 0
	v_mbcnt_hi_u32_b32 v56, v1, v4
	v_cmp_eq_u32_e32 vcc, 0, v56
	v_cmp_ne_u64_e64 s[0:1], 0, v[0:1]
	s_and_b64 s[4:5], s[0:1], vcc
	; wave barrier
	s_and_saveexec_b64 s[0:1], s[4:5]
	s_cbranch_execz .LBB73_239
; %bb.238:
	v_bcnt_u32_b32 v0, v0, 0
	v_bcnt_u32_b32 v0, v1, v0
	s_waitcnt lgkmcnt(0)
	v_add_u32_e32 v0, v53, v0
	ds_write_b32 v55, v0 offset:16
.LBB73_239:
	s_or_b64 exec, exec, s[0:1]
	s_waitcnt vmcnt(7)
	v_xor_b32_e32 v54, 0xffff8000, v54
	v_lshrrev_b32_sdwa v0, s88, v54 dst_sel:DWORD dst_unused:UNUSED_PAD src0_sel:DWORD src1_sel:WORD_0
	v_and_b32_e32 v59, s9, v0
	v_and_b32_e32 v0, 1, v59
	v_mov_b32_e32 v1, 0
	v_lshl_add_u64 v[4:5], v[0:1], 0, -1
	v_cmp_ne_u32_e32 vcc, 0, v0
	v_mad_u32_u24 v58, v59, 20, v20
	s_nop 0
	v_xor_b32_e32 v4, vcc_lo, v4
	v_xor_b32_e32 v0, vcc_hi, v5
	v_and_b32_e32 v60, exec_lo, v4
	v_lshlrev_b32_e32 v5, 30, v59
	v_mov_b32_e32 v4, v1
	v_cmp_gt_i64_e32 vcc, 0, v[4:5]
	v_not_b32_e32 v4, v5
	v_ashrrev_i32_e32 v4, 31, v4
	v_and_b32_e32 v0, exec_hi, v0
	v_xor_b32_e32 v5, vcc_hi, v4
	v_xor_b32_e32 v4, vcc_lo, v4
	v_and_b32_e32 v0, v0, v5
	v_and_b32_e32 v60, v60, v4
	v_lshlrev_b32_e32 v5, 29, v59
	v_mov_b32_e32 v4, v1
	v_cmp_gt_i64_e32 vcc, 0, v[4:5]
	v_not_b32_e32 v4, v5
	v_ashrrev_i32_e32 v4, 31, v4
	v_xor_b32_e32 v5, vcc_hi, v4
	v_xor_b32_e32 v4, vcc_lo, v4
	v_and_b32_e32 v0, v0, v5
	v_and_b32_e32 v60, v60, v4
	v_lshlrev_b32_e32 v5, 28, v59
	v_mov_b32_e32 v4, v1
	v_cmp_gt_i64_e32 vcc, 0, v[4:5]
	v_not_b32_e32 v4, v5
	v_ashrrev_i32_e32 v4, 31, v4
	;; [unrolled: 9-line block ×6, first 2 shown]
	v_xor_b32_e32 v5, vcc_hi, v4
	v_xor_b32_e32 v4, vcc_lo, v4
	; wave barrier
	ds_read_b32 v57, v58 offset:16
	v_and_b32_e32 v4, v60, v4
	v_and_b32_e32 v5, v0, v5
	v_mbcnt_lo_u32_b32 v0, v4, 0
	v_mbcnt_hi_u32_b32 v59, v5, v0
	v_cmp_eq_u32_e32 vcc, 0, v59
	v_cmp_ne_u64_e64 s[0:1], 0, v[4:5]
	s_and_b64 s[4:5], s[0:1], vcc
	; wave barrier
	s_and_saveexec_b64 s[0:1], s[4:5]
	s_cbranch_execz .LBB73_241
; %bb.240:
	v_bcnt_u32_b32 v0, v4, 0
	v_bcnt_u32_b32 v0, v5, v0
	s_waitcnt lgkmcnt(0)
	v_add_u32_e32 v0, v57, v0
	ds_write_b32 v58, v0 offset:16
.LBB73_241:
	s_or_b64 exec, exec, s[0:1]
	s_waitcnt vmcnt(6)
	v_xor_b32_e32 v49, 0xffff8000, v49
	v_lshrrev_b32_sdwa v0, s88, v49 dst_sel:DWORD dst_unused:UNUSED_PAD src0_sel:DWORD src1_sel:WORD_0
	v_and_b32_e32 v62, s9, v0
	v_and_b32_e32 v0, 1, v62
	v_lshl_add_u64 v[4:5], v[0:1], 0, -1
	v_cmp_ne_u32_e32 vcc, 0, v0
	v_mad_u32_u24 v61, v62, 20, v20
	s_nop 0
	v_xor_b32_e32 v4, vcc_lo, v4
	v_xor_b32_e32 v0, vcc_hi, v5
	v_and_b32_e32 v63, exec_lo, v4
	v_lshlrev_b32_e32 v5, 30, v62
	v_mov_b32_e32 v4, v1
	v_cmp_gt_i64_e32 vcc, 0, v[4:5]
	v_not_b32_e32 v4, v5
	v_ashrrev_i32_e32 v4, 31, v4
	v_and_b32_e32 v0, exec_hi, v0
	v_xor_b32_e32 v5, vcc_hi, v4
	v_xor_b32_e32 v4, vcc_lo, v4
	v_and_b32_e32 v0, v0, v5
	v_and_b32_e32 v63, v63, v4
	v_lshlrev_b32_e32 v5, 29, v62
	v_mov_b32_e32 v4, v1
	v_cmp_gt_i64_e32 vcc, 0, v[4:5]
	v_not_b32_e32 v4, v5
	v_ashrrev_i32_e32 v4, 31, v4
	v_xor_b32_e32 v5, vcc_hi, v4
	v_xor_b32_e32 v4, vcc_lo, v4
	v_and_b32_e32 v0, v0, v5
	v_and_b32_e32 v63, v63, v4
	v_lshlrev_b32_e32 v5, 28, v62
	v_mov_b32_e32 v4, v1
	v_cmp_gt_i64_e32 vcc, 0, v[4:5]
	v_not_b32_e32 v4, v5
	v_ashrrev_i32_e32 v4, 31, v4
	;; [unrolled: 9-line block ×5, first 2 shown]
	v_xor_b32_e32 v5, vcc_hi, v4
	v_xor_b32_e32 v4, vcc_lo, v4
	v_and_b32_e32 v0, v0, v5
	v_lshlrev_b32_e32 v5, 24, v62
	v_and_b32_e32 v63, v63, v4
	v_mov_b32_e32 v4, v1
	v_not_b32_e32 v1, v5
	v_cmp_gt_i64_e32 vcc, 0, v[4:5]
	v_ashrrev_i32_e32 v1, 31, v1
	; wave barrier
	s_nop 0
	v_xor_b32_e32 v4, vcc_hi, v1
	v_xor_b32_e32 v5, vcc_lo, v1
	ds_read_b32 v60, v61 offset:16
	v_and_b32_e32 v1, v0, v4
	v_and_b32_e32 v0, v63, v5
	v_mbcnt_lo_u32_b32 v4, v0, 0
	v_mbcnt_hi_u32_b32 v62, v1, v4
	v_cmp_eq_u32_e32 vcc, 0, v62
	v_cmp_ne_u64_e64 s[0:1], 0, v[0:1]
	s_and_b64 s[4:5], s[0:1], vcc
	; wave barrier
	s_and_saveexec_b64 s[0:1], s[4:5]
	s_cbranch_execz .LBB73_243
; %bb.242:
	v_bcnt_u32_b32 v0, v0, 0
	v_bcnt_u32_b32 v0, v1, v0
	s_waitcnt lgkmcnt(0)
	v_add_u32_e32 v0, v60, v0
	ds_write_b32 v61, v0 offset:16
.LBB73_243:
	s_or_b64 exec, exec, s[0:1]
	s_waitcnt vmcnt(5)
	v_xor_b32_e32 v44, 0xffff8000, v44
	v_lshrrev_b32_sdwa v0, s88, v44 dst_sel:DWORD dst_unused:UNUSED_PAD src0_sel:DWORD src1_sel:WORD_0
	v_and_b32_e32 v65, s9, v0
	v_and_b32_e32 v0, 1, v65
	v_mov_b32_e32 v1, 0
	v_lshl_add_u64 v[4:5], v[0:1], 0, -1
	v_cmp_ne_u32_e32 vcc, 0, v0
	v_mad_u32_u24 v64, v65, 20, v20
	s_nop 0
	v_xor_b32_e32 v4, vcc_lo, v4
	v_xor_b32_e32 v0, vcc_hi, v5
	v_and_b32_e32 v66, exec_lo, v4
	v_lshlrev_b32_e32 v5, 30, v65
	v_mov_b32_e32 v4, v1
	v_cmp_gt_i64_e32 vcc, 0, v[4:5]
	v_not_b32_e32 v4, v5
	v_ashrrev_i32_e32 v4, 31, v4
	v_and_b32_e32 v0, exec_hi, v0
	v_xor_b32_e32 v5, vcc_hi, v4
	v_xor_b32_e32 v4, vcc_lo, v4
	v_and_b32_e32 v0, v0, v5
	v_and_b32_e32 v66, v66, v4
	v_lshlrev_b32_e32 v5, 29, v65
	v_mov_b32_e32 v4, v1
	v_cmp_gt_i64_e32 vcc, 0, v[4:5]
	v_not_b32_e32 v4, v5
	v_ashrrev_i32_e32 v4, 31, v4
	v_xor_b32_e32 v5, vcc_hi, v4
	v_xor_b32_e32 v4, vcc_lo, v4
	v_and_b32_e32 v0, v0, v5
	v_and_b32_e32 v66, v66, v4
	v_lshlrev_b32_e32 v5, 28, v65
	v_mov_b32_e32 v4, v1
	v_cmp_gt_i64_e32 vcc, 0, v[4:5]
	v_not_b32_e32 v4, v5
	v_ashrrev_i32_e32 v4, 31, v4
	;; [unrolled: 9-line block ×6, first 2 shown]
	v_xor_b32_e32 v5, vcc_hi, v4
	v_xor_b32_e32 v4, vcc_lo, v4
	; wave barrier
	ds_read_b32 v63, v64 offset:16
	v_and_b32_e32 v4, v66, v4
	v_and_b32_e32 v5, v0, v5
	v_mbcnt_lo_u32_b32 v0, v4, 0
	v_mbcnt_hi_u32_b32 v65, v5, v0
	v_cmp_eq_u32_e32 vcc, 0, v65
	v_cmp_ne_u64_e64 s[0:1], 0, v[4:5]
	s_and_b64 s[4:5], s[0:1], vcc
	; wave barrier
	s_and_saveexec_b64 s[0:1], s[4:5]
	s_cbranch_execz .LBB73_245
; %bb.244:
	v_bcnt_u32_b32 v0, v4, 0
	v_bcnt_u32_b32 v0, v5, v0
	s_waitcnt lgkmcnt(0)
	v_add_u32_e32 v0, v63, v0
	ds_write_b32 v64, v0 offset:16
.LBB73_245:
	s_or_b64 exec, exec, s[0:1]
	s_waitcnt vmcnt(4)
	v_xor_b32_e32 v40, 0xffff8000, v40
	v_lshrrev_b32_sdwa v0, s88, v40 dst_sel:DWORD dst_unused:UNUSED_PAD src0_sel:DWORD src1_sel:WORD_0
	v_and_b32_e32 v68, s9, v0
	v_and_b32_e32 v0, 1, v68
	v_lshl_add_u64 v[4:5], v[0:1], 0, -1
	v_cmp_ne_u32_e32 vcc, 0, v0
	v_mad_u32_u24 v67, v68, 20, v20
	s_nop 0
	v_xor_b32_e32 v4, vcc_lo, v4
	v_xor_b32_e32 v0, vcc_hi, v5
	v_and_b32_e32 v69, exec_lo, v4
	v_lshlrev_b32_e32 v5, 30, v68
	v_mov_b32_e32 v4, v1
	v_cmp_gt_i64_e32 vcc, 0, v[4:5]
	v_not_b32_e32 v4, v5
	v_ashrrev_i32_e32 v4, 31, v4
	v_and_b32_e32 v0, exec_hi, v0
	v_xor_b32_e32 v5, vcc_hi, v4
	v_xor_b32_e32 v4, vcc_lo, v4
	v_and_b32_e32 v0, v0, v5
	v_and_b32_e32 v69, v69, v4
	v_lshlrev_b32_e32 v5, 29, v68
	v_mov_b32_e32 v4, v1
	v_cmp_gt_i64_e32 vcc, 0, v[4:5]
	v_not_b32_e32 v4, v5
	v_ashrrev_i32_e32 v4, 31, v4
	v_xor_b32_e32 v5, vcc_hi, v4
	v_xor_b32_e32 v4, vcc_lo, v4
	v_and_b32_e32 v0, v0, v5
	v_and_b32_e32 v69, v69, v4
	v_lshlrev_b32_e32 v5, 28, v68
	v_mov_b32_e32 v4, v1
	v_cmp_gt_i64_e32 vcc, 0, v[4:5]
	v_not_b32_e32 v4, v5
	v_ashrrev_i32_e32 v4, 31, v4
	;; [unrolled: 9-line block ×5, first 2 shown]
	v_xor_b32_e32 v5, vcc_hi, v4
	v_xor_b32_e32 v4, vcc_lo, v4
	v_and_b32_e32 v0, v0, v5
	v_lshlrev_b32_e32 v5, 24, v68
	v_and_b32_e32 v69, v69, v4
	v_mov_b32_e32 v4, v1
	v_not_b32_e32 v1, v5
	v_cmp_gt_i64_e32 vcc, 0, v[4:5]
	v_ashrrev_i32_e32 v1, 31, v1
	; wave barrier
	s_nop 0
	v_xor_b32_e32 v4, vcc_hi, v1
	v_xor_b32_e32 v5, vcc_lo, v1
	ds_read_b32 v66, v67 offset:16
	v_and_b32_e32 v1, v0, v4
	v_and_b32_e32 v0, v69, v5
	v_mbcnt_lo_u32_b32 v4, v0, 0
	v_mbcnt_hi_u32_b32 v68, v1, v4
	v_cmp_eq_u32_e32 vcc, 0, v68
	v_cmp_ne_u64_e64 s[0:1], 0, v[0:1]
	s_and_b64 s[4:5], s[0:1], vcc
	; wave barrier
	s_and_saveexec_b64 s[0:1], s[4:5]
	s_cbranch_execz .LBB73_247
; %bb.246:
	v_bcnt_u32_b32 v0, v0, 0
	v_bcnt_u32_b32 v0, v1, v0
	s_waitcnt lgkmcnt(0)
	v_add_u32_e32 v0, v66, v0
	ds_write_b32 v67, v0 offset:16
.LBB73_247:
	s_or_b64 exec, exec, s[0:1]
	s_waitcnt vmcnt(3)
	v_xor_b32_e32 v35, 0xffff8000, v35
	v_lshrrev_b32_sdwa v0, s88, v35 dst_sel:DWORD dst_unused:UNUSED_PAD src0_sel:DWORD src1_sel:WORD_0
	v_and_b32_e32 v71, s9, v0
	v_and_b32_e32 v0, 1, v71
	v_mov_b32_e32 v1, 0
	v_lshl_add_u64 v[4:5], v[0:1], 0, -1
	v_cmp_ne_u32_e32 vcc, 0, v0
	v_mad_u32_u24 v70, v71, 20, v20
	s_nop 0
	v_xor_b32_e32 v4, vcc_lo, v4
	v_xor_b32_e32 v0, vcc_hi, v5
	v_and_b32_e32 v72, exec_lo, v4
	v_lshlrev_b32_e32 v5, 30, v71
	v_mov_b32_e32 v4, v1
	v_cmp_gt_i64_e32 vcc, 0, v[4:5]
	v_not_b32_e32 v4, v5
	v_ashrrev_i32_e32 v4, 31, v4
	v_and_b32_e32 v0, exec_hi, v0
	v_xor_b32_e32 v5, vcc_hi, v4
	v_xor_b32_e32 v4, vcc_lo, v4
	v_and_b32_e32 v0, v0, v5
	v_and_b32_e32 v72, v72, v4
	v_lshlrev_b32_e32 v5, 29, v71
	v_mov_b32_e32 v4, v1
	v_cmp_gt_i64_e32 vcc, 0, v[4:5]
	v_not_b32_e32 v4, v5
	v_ashrrev_i32_e32 v4, 31, v4
	v_xor_b32_e32 v5, vcc_hi, v4
	v_xor_b32_e32 v4, vcc_lo, v4
	v_and_b32_e32 v0, v0, v5
	v_and_b32_e32 v72, v72, v4
	v_lshlrev_b32_e32 v5, 28, v71
	v_mov_b32_e32 v4, v1
	v_cmp_gt_i64_e32 vcc, 0, v[4:5]
	v_not_b32_e32 v4, v5
	v_ashrrev_i32_e32 v4, 31, v4
	;; [unrolled: 9-line block ×6, first 2 shown]
	v_xor_b32_e32 v5, vcc_hi, v4
	v_xor_b32_e32 v4, vcc_lo, v4
	; wave barrier
	ds_read_b32 v69, v70 offset:16
	v_and_b32_e32 v4, v72, v4
	v_and_b32_e32 v5, v0, v5
	v_mbcnt_lo_u32_b32 v0, v4, 0
	v_mbcnt_hi_u32_b32 v72, v5, v0
	v_cmp_eq_u32_e32 vcc, 0, v72
	v_cmp_ne_u64_e64 s[0:1], 0, v[4:5]
	s_and_b64 s[4:5], s[0:1], vcc
	; wave barrier
	s_and_saveexec_b64 s[0:1], s[4:5]
	s_cbranch_execz .LBB73_249
; %bb.248:
	v_bcnt_u32_b32 v0, v4, 0
	v_bcnt_u32_b32 v0, v5, v0
	s_waitcnt lgkmcnt(0)
	v_add_u32_e32 v0, v69, v0
	ds_write_b32 v70, v0 offset:16
.LBB73_249:
	s_or_b64 exec, exec, s[0:1]
	s_waitcnt vmcnt(2)
	v_xor_b32_e32 v71, 0xffff8000, v30
	v_lshrrev_b32_sdwa v0, s88, v71 dst_sel:DWORD dst_unused:UNUSED_PAD src0_sel:DWORD src1_sel:WORD_0
	v_and_b32_e32 v74, s9, v0
	v_and_b32_e32 v0, 1, v74
	v_lshl_add_u64 v[4:5], v[0:1], 0, -1
	v_cmp_ne_u32_e32 vcc, 0, v0
	v_mad_u32_u24 v30, v74, 20, v20
	s_nop 0
	v_xor_b32_e32 v4, vcc_lo, v4
	v_xor_b32_e32 v0, vcc_hi, v5
	v_and_b32_e32 v75, exec_lo, v4
	v_lshlrev_b32_e32 v5, 30, v74
	v_mov_b32_e32 v4, v1
	v_cmp_gt_i64_e32 vcc, 0, v[4:5]
	v_not_b32_e32 v4, v5
	v_ashrrev_i32_e32 v4, 31, v4
	v_and_b32_e32 v0, exec_hi, v0
	v_xor_b32_e32 v5, vcc_hi, v4
	v_xor_b32_e32 v4, vcc_lo, v4
	v_and_b32_e32 v0, v0, v5
	v_and_b32_e32 v75, v75, v4
	v_lshlrev_b32_e32 v5, 29, v74
	v_mov_b32_e32 v4, v1
	v_cmp_gt_i64_e32 vcc, 0, v[4:5]
	v_not_b32_e32 v4, v5
	v_ashrrev_i32_e32 v4, 31, v4
	v_xor_b32_e32 v5, vcc_hi, v4
	v_xor_b32_e32 v4, vcc_lo, v4
	v_and_b32_e32 v0, v0, v5
	v_and_b32_e32 v75, v75, v4
	v_lshlrev_b32_e32 v5, 28, v74
	v_mov_b32_e32 v4, v1
	v_cmp_gt_i64_e32 vcc, 0, v[4:5]
	v_not_b32_e32 v4, v5
	v_ashrrev_i32_e32 v4, 31, v4
	;; [unrolled: 9-line block ×5, first 2 shown]
	v_xor_b32_e32 v5, vcc_hi, v4
	v_xor_b32_e32 v4, vcc_lo, v4
	v_and_b32_e32 v0, v0, v5
	v_lshlrev_b32_e32 v5, 24, v74
	v_and_b32_e32 v75, v75, v4
	v_mov_b32_e32 v4, v1
	v_not_b32_e32 v1, v5
	v_cmp_gt_i64_e32 vcc, 0, v[4:5]
	v_ashrrev_i32_e32 v1, 31, v1
	; wave barrier
	s_nop 0
	v_xor_b32_e32 v4, vcc_hi, v1
	v_xor_b32_e32 v5, vcc_lo, v1
	ds_read_b32 v73, v30 offset:16
	v_and_b32_e32 v1, v0, v4
	v_and_b32_e32 v0, v75, v5
	v_mbcnt_lo_u32_b32 v4, v0, 0
	v_mbcnt_hi_u32_b32 v75, v1, v4
	v_cmp_eq_u32_e32 vcc, 0, v75
	v_cmp_ne_u64_e64 s[0:1], 0, v[0:1]
	s_and_b64 s[4:5], s[0:1], vcc
	; wave barrier
	s_and_saveexec_b64 s[0:1], s[4:5]
	s_cbranch_execz .LBB73_251
; %bb.250:
	v_bcnt_u32_b32 v0, v0, 0
	v_bcnt_u32_b32 v0, v1, v0
	s_waitcnt lgkmcnt(0)
	v_add_u32_e32 v0, v73, v0
	ds_write_b32 v30, v0 offset:16
.LBB73_251:
	s_or_b64 exec, exec, s[0:1]
	s_waitcnt vmcnt(1)
	v_xor_b32_e32 v74, 0xffff8000, v25
	v_lshrrev_b32_sdwa v0, s88, v74 dst_sel:DWORD dst_unused:UNUSED_PAD src0_sel:DWORD src1_sel:WORD_0
	v_and_b32_e32 v77, s9, v0
	v_and_b32_e32 v0, 1, v77
	v_mov_b32_e32 v1, 0
	v_lshl_add_u64 v[4:5], v[0:1], 0, -1
	v_cmp_ne_u32_e32 vcc, 0, v0
	v_mad_u32_u24 v25, v77, 20, v20
	s_nop 0
	v_xor_b32_e32 v4, vcc_lo, v4
	v_xor_b32_e32 v0, vcc_hi, v5
	v_and_b32_e32 v78, exec_lo, v4
	v_lshlrev_b32_e32 v5, 30, v77
	v_mov_b32_e32 v4, v1
	v_cmp_gt_i64_e32 vcc, 0, v[4:5]
	v_not_b32_e32 v4, v5
	v_ashrrev_i32_e32 v4, 31, v4
	v_and_b32_e32 v0, exec_hi, v0
	v_xor_b32_e32 v5, vcc_hi, v4
	v_xor_b32_e32 v4, vcc_lo, v4
	v_and_b32_e32 v0, v0, v5
	v_and_b32_e32 v78, v78, v4
	v_lshlrev_b32_e32 v5, 29, v77
	v_mov_b32_e32 v4, v1
	v_cmp_gt_i64_e32 vcc, 0, v[4:5]
	v_not_b32_e32 v4, v5
	v_ashrrev_i32_e32 v4, 31, v4
	v_xor_b32_e32 v5, vcc_hi, v4
	v_xor_b32_e32 v4, vcc_lo, v4
	v_and_b32_e32 v0, v0, v5
	v_and_b32_e32 v78, v78, v4
	v_lshlrev_b32_e32 v5, 28, v77
	v_mov_b32_e32 v4, v1
	v_cmp_gt_i64_e32 vcc, 0, v[4:5]
	v_not_b32_e32 v4, v5
	v_ashrrev_i32_e32 v4, 31, v4
	;; [unrolled: 9-line block ×6, first 2 shown]
	v_xor_b32_e32 v5, vcc_hi, v4
	v_xor_b32_e32 v4, vcc_lo, v4
	; wave barrier
	ds_read_b32 v76, v25 offset:16
	v_and_b32_e32 v4, v78, v4
	v_and_b32_e32 v5, v0, v5
	v_mbcnt_lo_u32_b32 v0, v4, 0
	v_mbcnt_hi_u32_b32 v78, v5, v0
	v_cmp_eq_u32_e32 vcc, 0, v78
	v_cmp_ne_u64_e64 s[0:1], 0, v[4:5]
	s_and_b64 s[4:5], s[0:1], vcc
	; wave barrier
	s_and_saveexec_b64 s[0:1], s[4:5]
	s_cbranch_execz .LBB73_253
; %bb.252:
	v_bcnt_u32_b32 v0, v4, 0
	v_bcnt_u32_b32 v0, v5, v0
	s_waitcnt lgkmcnt(0)
	v_add_u32_e32 v0, v76, v0
	ds_write_b32 v25, v0 offset:16
.LBB73_253:
	s_or_b64 exec, exec, s[0:1]
	s_waitcnt vmcnt(0)
	v_xor_b32_e32 v77, 0xffff8000, v19
	v_lshrrev_b32_sdwa v0, s88, v77 dst_sel:DWORD dst_unused:UNUSED_PAD src0_sel:DWORD src1_sel:WORD_0
	v_and_b32_e32 v80, s9, v0
	v_and_b32_e32 v0, 1, v80
	v_lshl_add_u64 v[4:5], v[0:1], 0, -1
	v_cmp_ne_u32_e32 vcc, 0, v0
	v_mad_u32_u24 v19, v80, 20, v20
	s_nop 0
	v_xor_b32_e32 v4, vcc_lo, v4
	v_xor_b32_e32 v0, vcc_hi, v5
	v_and_b32_e32 v20, exec_lo, v4
	v_lshlrev_b32_e32 v5, 30, v80
	v_mov_b32_e32 v4, v1
	v_cmp_gt_i64_e32 vcc, 0, v[4:5]
	v_not_b32_e32 v4, v5
	v_ashrrev_i32_e32 v4, 31, v4
	v_and_b32_e32 v0, exec_hi, v0
	v_xor_b32_e32 v5, vcc_hi, v4
	v_xor_b32_e32 v4, vcc_lo, v4
	v_and_b32_e32 v0, v0, v5
	v_and_b32_e32 v20, v20, v4
	v_lshlrev_b32_e32 v5, 29, v80
	v_mov_b32_e32 v4, v1
	v_cmp_gt_i64_e32 vcc, 0, v[4:5]
	v_not_b32_e32 v4, v5
	v_ashrrev_i32_e32 v4, 31, v4
	v_xor_b32_e32 v5, vcc_hi, v4
	v_xor_b32_e32 v4, vcc_lo, v4
	v_and_b32_e32 v0, v0, v5
	v_and_b32_e32 v20, v20, v4
	v_lshlrev_b32_e32 v5, 28, v80
	v_mov_b32_e32 v4, v1
	v_cmp_gt_i64_e32 vcc, 0, v[4:5]
	v_not_b32_e32 v4, v5
	v_ashrrev_i32_e32 v4, 31, v4
	v_xor_b32_e32 v5, vcc_hi, v4
	v_xor_b32_e32 v4, vcc_lo, v4
	v_and_b32_e32 v0, v0, v5
	v_and_b32_e32 v20, v20, v4
	v_lshlrev_b32_e32 v5, 27, v80
	v_mov_b32_e32 v4, v1
	v_cmp_gt_i64_e32 vcc, 0, v[4:5]
	v_not_b32_e32 v4, v5
	v_ashrrev_i32_e32 v4, 31, v4
	v_xor_b32_e32 v5, vcc_hi, v4
	v_xor_b32_e32 v4, vcc_lo, v4
	v_and_b32_e32 v0, v0, v5
	v_and_b32_e32 v20, v20, v4
	v_lshlrev_b32_e32 v5, 26, v80
	v_mov_b32_e32 v4, v1
	v_cmp_gt_i64_e32 vcc, 0, v[4:5]
	v_not_b32_e32 v4, v5
	v_ashrrev_i32_e32 v4, 31, v4
	v_xor_b32_e32 v5, vcc_hi, v4
	v_xor_b32_e32 v4, vcc_lo, v4
	v_and_b32_e32 v0, v0, v5
	v_and_b32_e32 v20, v20, v4
	v_lshlrev_b32_e32 v5, 25, v80
	v_mov_b32_e32 v4, v1
	v_cmp_gt_i64_e32 vcc, 0, v[4:5]
	v_not_b32_e32 v4, v5
	v_ashrrev_i32_e32 v4, 31, v4
	v_xor_b32_e32 v5, vcc_hi, v4
	v_xor_b32_e32 v4, vcc_lo, v4
	v_and_b32_e32 v0, v0, v5
	v_lshlrev_b32_e32 v5, 24, v80
	v_and_b32_e32 v20, v20, v4
	v_mov_b32_e32 v4, v1
	v_not_b32_e32 v1, v5
	v_cmp_gt_i64_e32 vcc, 0, v[4:5]
	v_ashrrev_i32_e32 v1, 31, v1
	; wave barrier
	s_nop 0
	v_xor_b32_e32 v4, vcc_hi, v1
	v_xor_b32_e32 v5, vcc_lo, v1
	ds_read_b32 v79, v19 offset:16
	v_and_b32_e32 v1, v0, v4
	v_and_b32_e32 v0, v20, v5
	v_mbcnt_lo_u32_b32 v4, v0, 0
	v_mbcnt_hi_u32_b32 v80, v1, v4
	v_cmp_eq_u32_e32 vcc, 0, v80
	v_cmp_ne_u64_e64 s[0:1], 0, v[0:1]
	s_and_b64 s[4:5], s[0:1], vcc
	; wave barrier
	s_and_saveexec_b64 s[0:1], s[4:5]
	s_cbranch_execz .LBB73_255
; %bb.254:
	v_bcnt_u32_b32 v0, v0, 0
	v_bcnt_u32_b32 v0, v1, v0
	s_waitcnt lgkmcnt(0)
	v_add_u32_e32 v0, v79, v0
	ds_write_b32 v19, v0 offset:16
.LBB73_255:
	s_or_b64 exec, exec, s[0:1]
	; wave barrier
	s_waitcnt lgkmcnt(0)
	s_barrier
	ds_read2_b32 v[4:5], v6 offset0:4 offset1:5
	ds_read2_b32 v[0:1], v6 offset0:6 offset1:7
	ds_read_b32 v20, v6 offset:32
	v_min_u32_e32 v8, 0xc0, v8
	v_or_b32_e32 v8, 63, v8
	s_waitcnt lgkmcnt(1)
	v_add3_u32 v81, v5, v4, v0
	s_waitcnt lgkmcnt(0)
	v_add3_u32 v20, v81, v1, v20
	v_and_b32_e32 v81, 15, v12
	v_cmp_ne_u32_e32 vcc, 0, v81
	v_mov_b32_dpp v82, v20 row_shr:1 row_mask:0xf bank_mask:0xf
	s_nop 0
	v_cndmask_b32_e32 v82, 0, v82, vcc
	v_add_u32_e32 v20, v82, v20
	v_cmp_lt_u32_e32 vcc, 1, v81
	s_nop 0
	v_mov_b32_dpp v82, v20 row_shr:2 row_mask:0xf bank_mask:0xf
	v_cndmask_b32_e32 v82, 0, v82, vcc
	v_add_u32_e32 v20, v20, v82
	v_cmp_lt_u32_e32 vcc, 3, v81
	s_nop 0
	v_mov_b32_dpp v82, v20 row_shr:4 row_mask:0xf bank_mask:0xf
	;; [unrolled: 5-line block ×3, first 2 shown]
	v_cndmask_b32_e32 v81, 0, v82, vcc
	v_add_u32_e32 v20, v20, v81
	v_bfe_i32 v82, v12, 4, 1
	v_cmp_lt_u32_e32 vcc, 31, v12
	v_mov_b32_dpp v81, v20 row_bcast:15 row_mask:0xf bank_mask:0xf
	v_and_b32_e32 v81, v82, v81
	v_add_u32_e32 v20, v20, v81
	s_nop 1
	v_mov_b32_dpp v81, v20 row_bcast:31 row_mask:0xf bank_mask:0xf
	v_cndmask_b32_e32 v81, 0, v81, vcc
	v_add_u32_e32 v20, v20, v81
	v_lshrrev_b32_e32 v81, 6, v2
	v_cmp_eq_u32_e32 vcc, v2, v8
	s_and_saveexec_b64 s[0:1], vcc
; %bb.256:
	v_lshlrev_b32_e32 v8, 2, v81
	ds_write_b32 v8, v20
; %bb.257:
	s_or_b64 exec, exec, s[0:1]
	v_cmp_gt_u32_e32 vcc, 4, v2
	s_waitcnt lgkmcnt(0)
	s_barrier
	s_and_saveexec_b64 s[0:1], vcc
	s_cbranch_execz .LBB73_259
; %bb.258:
	v_lshlrev_b32_e32 v8, 2, v2
	ds_read_b32 v82, v8
	v_and_b32_e32 v83, 3, v12
	v_cmp_ne_u32_e32 vcc, 0, v83
	s_waitcnt lgkmcnt(0)
	v_mov_b32_dpp v84, v82 row_shr:1 row_mask:0xf bank_mask:0xf
	v_cndmask_b32_e32 v84, 0, v84, vcc
	v_add_u32_e32 v82, v84, v82
	v_cmp_lt_u32_e32 vcc, 1, v83
	s_nop 0
	v_mov_b32_dpp v84, v82 row_shr:2 row_mask:0xf bank_mask:0xf
	v_cndmask_b32_e32 v83, 0, v84, vcc
	v_add_u32_e32 v82, v82, v83
	ds_write_b32 v8, v82
.LBB73_259:
	s_or_b64 exec, exec, s[0:1]
	v_cmp_lt_u32_e32 vcc, 63, v2
	v_mov_b32_e32 v8, 0
	s_waitcnt lgkmcnt(0)
	s_barrier
	s_and_saveexec_b64 s[0:1], vcc
; %bb.260:
	v_lshl_add_u32 v8, v81, 2, -4
	ds_read_b32 v8, v8
; %bb.261:
	s_or_b64 exec, exec, s[0:1]
	v_add_u32_e32 v81, -1, v12
	v_and_b32_e32 v82, 64, v12
	v_cmp_lt_i32_e32 vcc, v81, v82
	s_waitcnt lgkmcnt(0)
	v_add_u32_e32 v20, v8, v20
	s_movk_i32 s0, 0x100
	v_cndmask_b32_e32 v81, v81, v12, vcc
	v_lshlrev_b32_e32 v81, 2, v81
	ds_bpermute_b32 v20, v81, v20
	v_cmp_eq_u32_e32 vcc, 0, v12
	s_waitcnt lgkmcnt(0)
	s_nop 0
	v_cndmask_b32_e32 v8, v20, v8, vcc
	v_cmp_ne_u32_e32 vcc, 0, v2
	s_nop 1
	v_cndmask_b32_e32 v8, 0, v8, vcc
	v_add_u32_e32 v4, v8, v4
	v_add_u32_e32 v5, v4, v5
	;; [unrolled: 1-line block ×4, first 2 shown]
	ds_write2_b32 v6, v8, v4 offset0:4 offset1:5
	ds_write2_b32 v6, v5, v0 offset0:6 offset1:7
	ds_write_b32 v6, v1 offset:32
	s_waitcnt lgkmcnt(0)
	s_barrier
	ds_read_b32 v4, v45 offset:16
	ds_read_b32 v5, v50 offset:16
	;; [unrolled: 1-line block ×19, first 2 shown]
	v_add_u32_e32 v6, 1, v2
	v_cmp_ne_u32_e32 vcc, s0, v6
	v_mov_b32_e32 v1, 0x1200
	s_and_saveexec_b64 s[0:1], vcc
; %bb.262:
	v_mul_u32_u24_e32 v1, 20, v6
	ds_read_b32 v1, v1 offset:16
; %bb.263:
	s_or_b64 exec, exec, s[0:1]
	s_waitcnt lgkmcnt(7)
	v_add_u32_e32 v39, v9, v11
	s_waitcnt lgkmcnt(6)
	v_add3_u32 v34, v16, v13, v14
	s_waitcnt lgkmcnt(3)
	v_add3_u32 v28, v32, v28, v24
	v_add3_u32 v24, v47, v43, v4
	v_lshlrev_b32_e32 v4, 1, v39
	v_add3_u32 v30, v22, v17, v18
	s_waitcnt lgkmcnt(0)
	s_barrier
	ds_write_b16 v4, v7 offset:2048
	v_lshlrev_b32_e32 v4, 1, v34
	v_add3_u32 v29, v27, v23, v19
	ds_write_b16 v4, v10 offset:2048
	v_lshlrev_b32_e32 v4, 1, v30
	ds_write_b16 v4, v15 offset:2048
	v_lshlrev_b32_e32 v4, 1, v29
	v_add3_u32 v27, v37, v33, v25
	ds_write_b16 v4, v21 offset:2048
	v_lshlrev_b32_e32 v4, 1, v28
	v_add3_u32 v25, v42, v38, v70
	ds_write_b16 v4, v26 offset:2048
	v_lshlrev_b32_e32 v4, 1, v27
	ds_write_b16 v4, v31 offset:2048
	v_lshlrev_b32_e32 v4, 1, v25
	v_add3_u32 v23, v52, v48, v5
	ds_write_b16 v4, v36 offset:2048
	v_lshlrev_b32_e32 v4, 1, v24
	v_add3_u32 v22, v56, v53, v8
	;; [unrolled: 3-line block ×10, first 2 shown]
	ds_write_b16 v4, v71 offset:2048
	v_lshlrev_b32_e32 v4, 1, v13
	ds_write_b16 v4, v74 offset:2048
	v_lshlrev_b32_e32 v4, 1, v5
	ds_write_b16 v4, v77 offset:2048
	v_sub_u32_e32 v4, v1, v0
	v_lshl_add_u32 v6, s2, 8, v2
	v_mov_b32_e32 v7, 0
	v_lshl_add_u64 v[8:9], v[6:7], 2, s[94:95]
	v_or_b32_e32 v1, 2.0, v4
	s_mov_b64 s[0:1], 0
	s_brev_b32 s10, -4
	v_mov_b32_e32 v15, 0
	s_waitcnt lgkmcnt(0)
	s_barrier
	global_store_dword v[8:9], v1, off sc1
                                        ; implicit-def: $sgpr4_sgpr5
	s_branch .LBB73_266
.LBB73_264:                             ;   in Loop: Header=BB73_266 Depth=1
	s_or_b64 exec, exec, s[6:7]
.LBB73_265:                             ;   in Loop: Header=BB73_266 Depth=1
	s_or_b64 exec, exec, s[4:5]
	v_and_b32_e32 v6, 0x3fffffff, v1
	v_add_u32_e32 v15, v6, v15
	v_cmp_gt_i32_e64 s[4:5], -2.0, v1
	s_and_b64 s[6:7], exec, s[4:5]
	s_or_b64 s[0:1], s[6:7], s[0:1]
	s_andn2_b64 exec, exec, s[0:1]
	s_cbranch_execz .LBB73_271
.LBB73_266:                             ; =>This Loop Header: Depth=1
                                        ;     Child Loop BB73_269 Depth 2
	s_or_b64 s[4:5], s[4:5], exec
	s_cmp_eq_u32 s3, 0
	s_cbranch_scc1 .LBB73_270
; %bb.267:                              ;   in Loop: Header=BB73_266 Depth=1
	s_add_i32 s3, s3, -1
	v_lshl_add_u32 v6, s3, 8, v2
	v_lshl_add_u64 v[10:11], v[6:7], 2, s[94:95]
	global_load_dword v1, v[10:11], off sc1
	s_waitcnt vmcnt(0)
	v_cmp_gt_u32_e32 vcc, 2.0, v1
	s_and_saveexec_b64 s[4:5], vcc
	s_cbranch_execz .LBB73_265
; %bb.268:                              ;   in Loop: Header=BB73_266 Depth=1
	s_mov_b64 s[6:7], 0
.LBB73_269:                             ;   Parent Loop BB73_266 Depth=1
                                        ; =>  This Inner Loop Header: Depth=2
	global_load_dword v1, v[10:11], off sc1
	s_waitcnt vmcnt(0)
	v_cmp_lt_u32_e32 vcc, s10, v1
	s_or_b64 s[6:7], vcc, s[6:7]
	s_andn2_b64 exec, exec, s[6:7]
	s_cbranch_execnz .LBB73_269
	s_branch .LBB73_264
.LBB73_270:                             ;   in Loop: Header=BB73_266 Depth=1
                                        ; implicit-def: $sgpr3
	s_and_b64 s[6:7], exec, s[4:5]
	s_or_b64 s[0:1], s[6:7], s[0:1]
	s_andn2_b64 exec, exec, s[0:1]
	s_cbranch_execnz .LBB73_266
.LBB73_271:
	s_or_b64 exec, exec, s[0:1]
	v_add_u32_e32 v1, v15, v4
	v_or_b32_e32 v1, 0x80000000, v1
	v_lshlrev_b32_e32 v6, 3, v2
	global_store_dword v[8:9], v1, off sc1
	global_load_dwordx2 v[10:11], v6, s[84:85]
	v_sub_co_u32_e32 v32, vcc, v15, v0
	v_mad_i32_i24 v15, v2, -6, v6
	s_nop 0
	v_subb_co_u32_e64 v33, s[0:1], 0, 0, vcc
	v_mov_b32_e32 v1, 0
	v_lshlrev_b32_e32 v8, 1, v2
	v_mov_b32_e32 v9, v1
	v_or_b32_e32 v93, 0xc00, v2
	s_lshl_b64 s[0:1], s[92:93], 3
	s_add_u32 s0, s80, s0
	s_addc_u32 s1, s81, s1
	s_movk_i32 s3, 0x1000
	v_add_u32_e32 v94, 0xd00, v2
	v_lshlrev_b32_e32 v60, 1, v94
	v_mov_b32_e32 v61, v1
	v_add_u32_e32 v95, 0xe00, v2
	v_lshlrev_b32_e32 v76, 1, v95
	v_mov_b32_e32 v77, v1
	v_mov_b32_e32 v7, v1
	s_add_i32 s8, s8, -1
	s_cmp_lg_u32 s2, s8
	s_waitcnt vmcnt(0)
	v_lshl_add_u64 v[10:11], v[32:33], 0, v[10:11]
	ds_write_b64 v6, v[10:11]
	s_waitcnt lgkmcnt(0)
	s_barrier
	ds_read_u16 v10, v15 offset:2048
	ds_read_u16 v11, v15 offset:2560
	;; [unrolled: 1-line block ×16, first 2 shown]
	s_waitcnt lgkmcnt(14)
	v_lshrrev_b32_sdwa v36, s88, v10 dst_sel:DWORD dst_unused:UNUSED_PAD src0_sel:DWORD src1_sel:WORD_0
	v_xor_b32_e32 v53, 0xffff8000, v10
	v_lshrrev_b32_sdwa v10, s88, v11 dst_sel:DWORD dst_unused:UNUSED_PAD src0_sel:DWORD src1_sel:WORD_0
	v_xor_b32_e32 v54, 0xffff8000, v11
	s_waitcnt lgkmcnt(13)
	v_lshrrev_b32_sdwa v11, s88, v21 dst_sel:DWORD dst_unused:UNUSED_PAD src0_sel:DWORD src1_sel:WORD_0
	s_waitcnt lgkmcnt(12)
	v_lshrrev_b32_sdwa v37, s88, v26 dst_sel:DWORD dst_unused:UNUSED_PAD src0_sel:DWORD src1_sel:WORD_0
	;; [unrolled: 2-line block ×4, first 2 shown]
	v_xor_b32_e32 v55, 0xffff8000, v32
	s_waitcnt lgkmcnt(9)
	v_lshrrev_b32_sdwa v32, s88, v33 dst_sel:DWORD dst_unused:UNUSED_PAD src0_sel:DWORD src1_sel:WORD_0
	v_xor_b32_e32 v56, 0xffff8000, v33
	s_waitcnt lgkmcnt(8)
	v_lshrrev_b32_sdwa v33, s88, v35 dst_sel:DWORD dst_unused:UNUSED_PAD src0_sel:DWORD src1_sel:WORD_0
	s_waitcnt lgkmcnt(7)
	v_lshrrev_b32_sdwa v42, s88, v38 dst_sel:DWORD dst_unused:UNUSED_PAD src0_sel:DWORD src1_sel:WORD_0
	;; [unrolled: 2-line block ×3, first 2 shown]
	v_and_b32_e32 v36, s9, v36
	v_and_b32_e32 v10, s9, v10
	;; [unrolled: 1-line block ×10, first 2 shown]
	v_lshlrev_b32_e32 v79, 3, v36
	v_lshlrev_b32_e32 v80, 3, v10
	;; [unrolled: 1-line block ×10, first 2 shown]
	ds_read_b64 v[10:11], v79
	ds_read_b64 v[32:33], v80
	;; [unrolled: 1-line block ×7, first 2 shown]
	ds_read_u16 v89, v15 offset:10240
	ds_read_u16 v15, v15 offset:10752
	s_waitcnt lgkmcnt(8)
	v_lshl_add_u64 v[10:11], v[10:11], 1, s[78:79]
	s_waitcnt lgkmcnt(7)
	v_lshl_add_u64 v[32:33], v[32:33], 1, s[78:79]
	;; [unrolled: 2-line block ×6, first 2 shown]
	v_lshl_add_u64 v[10:11], v[10:11], 0, v[8:9]
	v_xor_b32_e32 v21, 0xffff8000, v21
	v_xor_b32_e32 v26, 0xffff8000, v26
	;; [unrolled: 1-line block ×3, first 2 shown]
	v_lshl_add_u64 v[32:33], v[32:33], 0, v[8:9]
	v_lshl_add_u64 v[36:37], v[36:37], 0, v[8:9]
	;; [unrolled: 1-line block ×5, first 2 shown]
	global_store_short v[10:11], v53, off
	global_store_short v[32:33], v54, off offset:512
	global_store_short v[36:37], v21, off offset:1024
	;; [unrolled: 1-line block ×5, first 2 shown]
	ds_read_b64 v[10:11], v86
	ds_read_b64 v[32:33], v87
	;; [unrolled: 1-line block ×3, first 2 shown]
	s_waitcnt lgkmcnt(5)
	v_lshl_add_u64 v[40:41], v[46:47], 1, s[78:79]
	v_lshl_add_u64 v[40:41], v[40:41], 0, v[8:9]
	s_waitcnt lgkmcnt(2)
	v_lshl_add_u64 v[10:11], v[10:11], 1, s[78:79]
	v_xor_b32_e32 v21, 0xffff8000, v35
	v_lshl_add_u64 v[8:9], v[10:11], 0, v[8:9]
	global_store_short v[40:41], v56, off offset:3072
	global_store_short v[8:9], v21, off offset:3584
	v_or_b32_e32 v21, 0x800, v2
	s_waitcnt lgkmcnt(1)
	v_lshl_add_u64 v[8:9], v[32:33], 1, s[78:79]
	v_lshlrev_b32_e32 v10, 1, v21
	v_mov_b32_e32 v11, v1
	v_xor_b32_e32 v26, 0xffff8000, v38
	v_lshl_add_u64 v[8:9], v[8:9], 0, v[10:11]
	global_store_short v[8:9], v26, off
	v_add_u32_e32 v26, 0x900, v2
	s_waitcnt lgkmcnt(0)
	v_lshl_add_u64 v[8:9], v[36:37], 1, s[78:79]
	v_lshlrev_b32_e32 v10, 1, v26
	v_xor_b32_e32 v31, 0xffff8000, v48
	v_lshl_add_u64 v[8:9], v[8:9], 0, v[10:11]
	global_store_short v[8:9], v31, off
	v_lshrrev_b32_sdwa v8, s88, v49 dst_sel:DWORD dst_unused:UNUSED_PAD src0_sel:DWORD src1_sel:WORD_0
	v_and_b32_e32 v8, s9, v8
	v_lshlrev_b32_e32 v38, 3, v8
	v_lshrrev_b32_sdwa v10, s88, v50 dst_sel:DWORD dst_unused:UNUSED_PAD src0_sel:DWORD src1_sel:WORD_0
	ds_read_b64 v[8:9], v38
	v_and_b32_e32 v10, s9, v10
	v_lshlrev_b32_e32 v90, 3, v10
	v_lshrrev_b32_sdwa v10, s88, v51 dst_sel:DWORD dst_unused:UNUSED_PAD src0_sel:DWORD src1_sel:WORD_0
	v_and_b32_e32 v10, s9, v10
	v_lshlrev_b32_e32 v91, 3, v10
	v_lshrrev_b32_sdwa v10, s88, v52 dst_sel:DWORD dst_unused:UNUSED_PAD src0_sel:DWORD src1_sel:WORD_0
	v_add_u32_e32 v31, 0xa00, v2
	v_and_b32_e32 v10, s9, v10
	v_lshlrev_b32_e32 v92, 3, v10
	ds_read_b64 v[10:11], v90
	ds_read_b64 v[32:33], v91
	;; [unrolled: 1-line block ×3, first 2 shown]
	s_waitcnt lgkmcnt(3)
	v_lshl_add_u64 v[8:9], v[8:9], 1, s[78:79]
	v_lshlrev_b32_e32 v40, 1, v31
	v_mov_b32_e32 v41, v1
	v_xor_b32_e32 v35, 0xffff8000, v49
	v_lshl_add_u64 v[8:9], v[8:9], 0, v[40:41]
	global_store_short v[8:9], v35, off
	v_add_u32_e32 v35, 0xb00, v2
	s_waitcnt lgkmcnt(2)
	v_lshl_add_u64 v[8:9], v[10:11], 1, s[78:79]
	v_lshlrev_b32_e32 v10, 1, v35
	v_mov_b32_e32 v11, v1
	v_xor_b32_e32 v40, 0xffff8000, v50
	v_lshl_add_u64 v[8:9], v[8:9], 0, v[10:11]
	global_store_short v[8:9], v40, off
	s_waitcnt lgkmcnt(1)
	v_lshl_add_u64 v[8:9], v[32:33], 1, s[78:79]
	v_lshlrev_b32_e32 v10, 1, v93
	v_xor_b32_e32 v40, 0xffff8000, v51
	v_lshl_add_u64 v[8:9], v[8:9], 0, v[10:11]
	global_store_short v[8:9], v40, off
	v_lshlrev_b32_e32 v8, 3, v12
	v_mov_b32_e32 v9, v1
	v_lshl_add_u64 v[8:9], s[0:1], 0, v[8:9]
	v_lshlrev_b32_e32 v10, 3, v3
	v_lshl_add_u64 v[8:9], v[8:9], 0, v[10:11]
	s_movk_i32 s0, 0x2000
	v_xor_b32_e32 v66, 0xffff8000, v52
	v_add_co_u32_e32 v52, vcc, s0, v8
	global_load_dwordx2 v[10:11], v[8:9], off
	global_load_dwordx2 v[32:33], v[8:9], off offset:512
	global_load_dwordx2 v[40:41], v[8:9], off offset:1024
	;; [unrolled: 1-line block ×7, first 2 shown]
	v_addc_co_u32_e32 v53, vcc, 0, v9, vcc
	v_add_co_u32_e32 v8, vcc, s3, v8
	global_load_dwordx2 v[54:55], v[52:53], off offset:-4096
	s_nop 0
	v_addc_co_u32_e32 v9, vcc, 0, v9, vcc
	global_load_dwordx2 v[56:57], v[8:9], off offset:512
	global_load_dwordx2 v[58:59], v[8:9], off offset:1024
	;; [unrolled: 1-line block ×4, first 2 shown]
	s_waitcnt lgkmcnt(0)
	v_lshl_add_u64 v[36:37], v[36:37], 1, s[78:79]
	v_lshl_add_u64 v[36:37], v[36:37], 0, v[60:61]
	global_load_dwordx2 v[60:61], v[8:9], off offset:2560
	v_lshrrev_b32_sdwa v3, s88, v68 dst_sel:DWORD dst_unused:UNUSED_PAD src0_sel:DWORD src1_sel:WORD_0
	global_store_short v[36:37], v66, off
	global_load_dwordx2 v[36:37], v[8:9], off offset:3072
	v_and_b32_e32 v3, s9, v3
	global_load_dwordx2 v[8:9], v[8:9], off offset:3584
	v_lshlrev_b32_e32 v96, 3, v3
	global_load_dwordx2 v[66:67], v[52:53], off
	v_lshrrev_b32_sdwa v3, s88, v78 dst_sel:DWORD dst_unused:UNUSED_PAD src0_sel:DWORD src1_sel:WORD_0
	global_load_dwordx2 v[52:53], v[52:53], off offset:512
	v_and_b32_e32 v3, s9, v3
	v_xor_b32_e32 v12, 0xffff8000, v68
	ds_read_b64 v[68:69], v96
	v_lshlrev_b32_e32 v97, 3, v3
	v_lshrrev_b32_sdwa v3, s88, v89 dst_sel:DWORD dst_unused:UNUSED_PAD src0_sel:DWORD src1_sel:WORD_0
	v_and_b32_e32 v3, s9, v3
	v_lshlrev_b32_e32 v98, 3, v3
	v_lshrrev_b32_sdwa v3, s88, v15 dst_sel:DWORD dst_unused:UNUSED_PAD src0_sel:DWORD src1_sel:WORD_0
	v_and_b32_e32 v3, s9, v3
	v_lshlrev_b32_e32 v99, 3, v3
	ds_read_b64 v[70:71], v97
	ds_read_b64 v[72:73], v98
	;; [unrolled: 1-line block ×3, first 2 shown]
	s_waitcnt lgkmcnt(3)
	v_lshl_add_u64 v[68:69], v[68:69], 1, s[78:79]
	v_lshl_add_u64 v[68:69], v[68:69], 0, v[76:77]
	v_add_u32_e32 v76, 0xf00, v2
	global_store_short v[68:69], v12, off
	s_waitcnt lgkmcnt(2)
	v_lshl_add_u64 v[68:69], v[70:71], 1, s[78:79]
	v_lshlrev_b32_e32 v70, 1, v76
	v_mov_b32_e32 v71, v1
	v_xor_b32_e32 v3, 0xffff8000, v78
	v_lshl_add_u64 v[68:69], v[68:69], 0, v[70:71]
	v_or_b32_e32 v77, 0x1000, v2
	global_store_short v[68:69], v3, off
	s_waitcnt lgkmcnt(1)
	v_lshl_add_u64 v[68:69], v[72:73], 1, s[78:79]
	v_lshlrev_b32_e32 v70, 1, v77
	v_xor_b32_e32 v3, 0xffff8000, v89
	v_lshl_add_u64 v[68:69], v[68:69], 0, v[70:71]
	v_add_u32_e32 v70, 0x1100, v2
	global_store_short v[68:69], v3, off
	s_waitcnt lgkmcnt(0)
	v_lshl_add_u64 v[2:3], v[74:75], 1, s[78:79]
	v_lshlrev_b32_e32 v68, 1, v70
	v_mov_b32_e32 v69, v1
	v_xor_b32_e32 v12, 0xffff8000, v15
	v_lshl_add_u64 v[2:3], v[2:3], 0, v[68:69]
	global_store_short v[2:3], v12, off
	v_lshlrev_b32_e32 v2, 3, v39
	s_barrier
	s_waitcnt vmcnt(22)
	ds_write_b64 v2, v[10:11] offset:2048
	v_lshlrev_b32_e32 v2, 3, v34
	s_waitcnt vmcnt(21)
	ds_write_b64 v2, v[32:33] offset:2048
	v_lshlrev_b32_e32 v2, 3, v30
	;; [unrolled: 3-line block ×17, first 2 shown]
	s_waitcnt vmcnt(4)
	ds_write_b64 v2, v[52:53] offset:2048
	s_waitcnt lgkmcnt(0)
	s_barrier
	ds_read_b64 v[2:3], v79
	ds_read2st64_b64 v[8:11], v6 offset0:4 offset1:8
	ds_read_b64 v[12:13], v80
	ds_read_b64 v[14:15], v81
	;; [unrolled: 1-line block ×3, first 2 shown]
	s_waitcnt lgkmcnt(4)
	v_lshl_add_u64 v[2:3], v[2:3], 3, s[82:83]
	v_lshl_add_u64 v[2:3], v[2:3], 0, v[6:7]
	s_waitcnt lgkmcnt(3)
	global_store_dwordx2 v[2:3], v[8:9], off
	s_waitcnt lgkmcnt(2)
	v_lshl_add_u64 v[2:3], v[12:13], 3, s[82:83]
	v_lshl_add_u64 v[2:3], v[2:3], 0, v[6:7]
	global_store_dwordx2 v[2:3], v[10:11], off offset:2048
	ds_read2st64_b64 v[8:11], v6 offset0:12 offset1:16
	s_waitcnt lgkmcnt(2)
	v_lshl_add_u64 v[2:3], v[14:15], 3, s[82:83]
	v_add_u32_e32 v12, 0x1000, v6
	v_mov_b32_e32 v13, v1
	v_lshl_add_u64 v[2:3], v[2:3], 0, v[12:13]
	s_waitcnt lgkmcnt(0)
	global_store_dwordx2 v[2:3], v[8:9], off
	v_lshl_add_u64 v[2:3], v[16:17], 3, s[82:83]
	v_add_u32_e32 v8, 0x1800, v6
	v_mov_b32_e32 v9, v1
	v_lshl_add_u64 v[2:3], v[2:3], 0, v[8:9]
	global_store_dwordx2 v[2:3], v[10:11], off
	ds_read_b64 v[2:3], v83
	ds_read2st64_b64 v[8:11], v6 offset0:20 offset1:24
	ds_read_b64 v[12:13], v84
	ds_read_b64 v[14:15], v85
	;; [unrolled: 1-line block ×3, first 2 shown]
	s_waitcnt lgkmcnt(4)
	v_lshl_add_u64 v[2:3], v[2:3], 3, s[82:83]
	v_or_b32_e32 v18, 0x2000, v6
	v_mov_b32_e32 v19, v1
	v_lshl_add_u64 v[2:3], v[2:3], 0, v[18:19]
	s_waitcnt lgkmcnt(3)
	global_store_dwordx2 v[2:3], v[8:9], off
	s_waitcnt lgkmcnt(2)
	v_lshl_add_u64 v[2:3], v[12:13], 3, s[82:83]
	v_add_u32_e32 v8, 0x2800, v6
	v_mov_b32_e32 v9, v1
	v_lshl_add_u64 v[2:3], v[2:3], 0, v[8:9]
	global_store_dwordx2 v[2:3], v[10:11], off
	ds_read2st64_b64 v[8:11], v6 offset0:28 offset1:32
	s_waitcnt lgkmcnt(2)
	v_lshl_add_u64 v[2:3], v[14:15], 3, s[82:83]
	v_add_u32_e32 v12, 0x3000, v6
	v_mov_b32_e32 v13, v1
	v_lshl_add_u64 v[2:3], v[2:3], 0, v[12:13]
	s_waitcnt lgkmcnt(0)
	global_store_dwordx2 v[2:3], v[8:9], off
	v_lshl_add_u64 v[2:3], v[16:17], 3, s[82:83]
	v_add_u32_e32 v8, 0x3800, v6
	v_mov_b32_e32 v9, v1
	v_lshl_add_u64 v[2:3], v[2:3], 0, v[8:9]
	global_store_dwordx2 v[2:3], v[10:11], off
	ds_read_b64 v[2:3], v87
	ds_read2st64_b64 v[8:11], v6 offset0:36 offset1:40
	ds_read_b64 v[12:13], v88
	ds_read_b64 v[14:15], v38
	;; [unrolled: 1-line block ×3, first 2 shown]
	s_waitcnt lgkmcnt(4)
	v_lshl_add_u64 v[2:3], v[2:3], 3, s[82:83]
	v_lshlrev_b32_e32 v18, 3, v21
	v_lshl_add_u64 v[2:3], v[2:3], 0, v[18:19]
	s_waitcnt lgkmcnt(3)
	global_store_dwordx2 v[2:3], v[8:9], off
	s_waitcnt lgkmcnt(2)
	v_lshl_add_u64 v[2:3], v[12:13], 3, s[82:83]
	v_lshlrev_b32_e32 v8, 3, v26
	v_mov_b32_e32 v9, v1
	v_lshl_add_u64 v[2:3], v[2:3], 0, v[8:9]
	global_store_dwordx2 v[2:3], v[10:11], off
	ds_read2st64_b64 v[8:11], v6 offset0:44 offset1:48
	s_waitcnt lgkmcnt(2)
	v_lshl_add_u64 v[2:3], v[14:15], 3, s[82:83]
	v_lshlrev_b32_e32 v12, 3, v31
	v_mov_b32_e32 v13, v1
	v_lshl_add_u64 v[2:3], v[2:3], 0, v[12:13]
	s_waitcnt lgkmcnt(0)
	global_store_dwordx2 v[2:3], v[8:9], off
	v_lshl_add_u64 v[2:3], v[16:17], 3, s[82:83]
	v_lshlrev_b32_e32 v8, 3, v35
	v_mov_b32_e32 v9, v1
	v_lshl_add_u64 v[2:3], v[2:3], 0, v[8:9]
	global_store_dwordx2 v[2:3], v[10:11], off
	ds_read_b64 v[2:3], v91
	ds_read2st64_b64 v[8:11], v6 offset0:52 offset1:56
	ds_read_b64 v[12:13], v92
	ds_read_b64 v[14:15], v96
	;; [unrolled: 1-line block ×3, first 2 shown]
	s_waitcnt lgkmcnt(4)
	v_lshl_add_u64 v[2:3], v[2:3], 3, s[82:83]
	v_lshlrev_b32_e32 v18, 3, v93
	v_lshl_add_u64 v[2:3], v[2:3], 0, v[18:19]
	s_waitcnt lgkmcnt(3)
	global_store_dwordx2 v[2:3], v[8:9], off
	s_waitcnt lgkmcnt(2)
	v_lshl_add_u64 v[2:3], v[12:13], 3, s[82:83]
	v_lshlrev_b32_e32 v8, 3, v94
	v_mov_b32_e32 v9, v1
	v_lshl_add_u64 v[2:3], v[2:3], 0, v[8:9]
	global_store_dwordx2 v[2:3], v[10:11], off
	ds_read2st64_b64 v[8:11], v6 offset0:60 offset1:64
	s_waitcnt lgkmcnt(2)
	v_lshl_add_u64 v[2:3], v[14:15], 3, s[82:83]
	v_lshlrev_b32_e32 v12, 3, v95
	v_mov_b32_e32 v13, v1
	v_lshl_add_u64 v[2:3], v[2:3], 0, v[12:13]
	s_waitcnt lgkmcnt(0)
	global_store_dwordx2 v[2:3], v[8:9], off
	v_lshl_add_u64 v[2:3], v[16:17], 3, s[82:83]
	v_lshlrev_b32_e32 v8, 3, v76
	v_mov_b32_e32 v9, v1
	ds_read_b64 v[12:13], v98
	v_lshl_add_u64 v[2:3], v[2:3], 0, v[8:9]
	global_store_dwordx2 v[2:3], v[10:11], off
	ds_read2st64_b64 v[8:11], v6 offset0:68 offset1:72
	ds_read_b64 v[2:3], v99
	v_lshlrev_b32_e32 v14, 3, v77
	s_waitcnt lgkmcnt(2)
	v_lshl_add_u64 v[12:13], v[12:13], 3, s[82:83]
	v_mov_b32_e32 v15, v1
	v_lshl_add_u64 v[12:13], v[12:13], 0, v[14:15]
	s_waitcnt lgkmcnt(1)
	global_store_dwordx2 v[12:13], v[8:9], off
	s_waitcnt lgkmcnt(0)
	v_lshl_add_u64 v[2:3], v[2:3], 3, s[82:83]
	v_lshlrev_b32_e32 v8, 3, v70
	v_mov_b32_e32 v9, v1
	v_lshl_add_u64 v[2:3], v[2:3], 0, v[8:9]
	global_store_dwordx2 v[2:3], v[10:11], off
	s_cbranch_scc1 .LBB73_273
; %bb.272:
	ds_read_b64 v[2:3], v6
	v_mov_b32_e32 v5, v1
	v_lshl_add_u64 v[0:1], v[4:5], 0, v[0:1]
	s_waitcnt lgkmcnt(0)
	v_lshl_add_u64 v[0:1], v[0:1], 0, v[2:3]
	global_store_dwordx2 v6, v[0:1], s[86:87]
.LBB73_273:
	s_endpgm
.LBB73_274:
	s_or_b64 exec, exec, s[4:5]
	s_and_saveexec_b64 s[4:5], s[40:41]
	s_cbranch_execz .LBB73_199
.LBB73_275:
	v_lshlrev_b32_e32 v2, 3, v56
	ds_read_b64 v[28:29], v2
	ds_read_b64 v[30:31], v8 offset:4096
	v_mov_b32_e32 v9, 0
	s_waitcnt lgkmcnt(1)
	v_lshl_add_u64 v[28:29], v[28:29], 3, s[82:83]
	v_lshl_add_u64 v[28:29], v[28:29], 0, v[8:9]
	s_waitcnt lgkmcnt(0)
	global_store_dwordx2 v[28:29], v[30:31], off offset:2048
	s_or_b64 exec, exec, s[4:5]
	s_and_saveexec_b64 s[4:5], s[42:43]
	s_cbranch_execnz .LBB73_200
.LBB73_276:
	s_or_b64 exec, exec, s[4:5]
	s_and_saveexec_b64 s[4:5], s[44:45]
	s_cbranch_execz .LBB73_201
.LBB73_277:
	v_lshlrev_b32_e32 v2, 3, v54
	ds_read_b64 v[28:29], v2
	ds_read_b64 v[30:31], v8 offset:8192
	v_lshlrev_b32_e32 v12, 3, v13
	v_mov_b32_e32 v13, 0
	s_waitcnt lgkmcnt(1)
	v_lshl_add_u64 v[28:29], v[28:29], 3, s[82:83]
	v_lshl_add_u64 v[12:13], v[28:29], 0, v[12:13]
	s_waitcnt lgkmcnt(0)
	global_store_dwordx2 v[12:13], v[30:31], off
	s_or_b64 exec, exec, s[4:5]
	s_and_saveexec_b64 s[4:5], s[46:47]
	s_cbranch_execnz .LBB73_202
.LBB73_278:
	s_or_b64 exec, exec, s[4:5]
	s_and_saveexec_b64 s[4:5], s[48:49]
	s_cbranch_execz .LBB73_203
.LBB73_279:
	v_lshlrev_b32_e32 v2, 3, v52
	ds_read_b64 v[12:13], v2
	ds_read_b64 v[28:29], v8 offset:12288
	v_lshlrev_b32_e32 v30, 3, v16
	v_mov_b32_e32 v31, 0
	s_waitcnt lgkmcnt(1)
	v_lshl_add_u64 v[12:13], v[12:13], 3, s[82:83]
	v_lshl_add_u64 v[12:13], v[12:13], 0, v[30:31]
	s_waitcnt lgkmcnt(0)
	global_store_dwordx2 v[12:13], v[28:29], off
	s_or_b64 exec, exec, s[4:5]
	s_and_saveexec_b64 s[4:5], s[50:51]
	s_cbranch_execnz .LBB73_204
.LBB73_280:
	s_or_b64 exec, exec, s[4:5]
	s_and_saveexec_b64 s[4:5], s[52:53]
	s_cbranch_execz .LBB73_205
.LBB73_281:
	v_lshlrev_b32_e32 v2, 3, v50
	ds_read_b64 v[12:13], v2
	ds_read_b64 v[16:17], v8 offset:16384
	v_lshlrev_b32_e32 v18, 3, v18
	v_mov_b32_e32 v19, 0
	s_waitcnt lgkmcnt(1)
	v_lshl_add_u64 v[12:13], v[12:13], 3, s[82:83]
	v_lshl_add_u64 v[12:13], v[12:13], 0, v[18:19]
	s_waitcnt lgkmcnt(0)
	global_store_dwordx2 v[12:13], v[16:17], off
	s_or_b64 exec, exec, s[4:5]
	s_and_saveexec_b64 s[4:5], s[54:55]
	s_cbranch_execnz .LBB73_206
.LBB73_282:
	s_or_b64 exec, exec, s[4:5]
	s_and_saveexec_b64 s[4:5], s[56:57]
	s_cbranch_execz .LBB73_207
.LBB73_283:
	v_lshlrev_b32_e32 v2, 3, v47
	ds_read_b64 v[12:13], v2
	ds_read_b64 v[16:17], v8 offset:20480
	v_lshlrev_b32_e32 v18, 3, v21
	v_mov_b32_e32 v19, 0
	s_waitcnt lgkmcnt(1)
	v_lshl_add_u64 v[12:13], v[12:13], 3, s[82:83]
	v_lshl_add_u64 v[12:13], v[12:13], 0, v[18:19]
	s_waitcnt lgkmcnt(0)
	global_store_dwordx2 v[12:13], v[16:17], off
	s_or_b64 exec, exec, s[4:5]
	s_and_saveexec_b64 s[4:5], s[58:59]
	s_cbranch_execnz .LBB73_208
.LBB73_284:
	s_or_b64 exec, exec, s[4:5]
	s_and_saveexec_b64 s[4:5], s[60:61]
	s_cbranch_execz .LBB73_209
.LBB73_285:
	v_lshlrev_b32_e32 v2, 3, v44
	ds_read_b64 v[12:13], v2
	ds_read_b64 v[16:17], v8 offset:24576
	v_lshlrev_b32_e32 v18, 3, v23
	v_mov_b32_e32 v19, 0
	s_waitcnt lgkmcnt(1)
	v_lshl_add_u64 v[12:13], v[12:13], 3, s[82:83]
	v_lshl_add_u64 v[12:13], v[12:13], 0, v[18:19]
	s_waitcnt lgkmcnt(0)
	global_store_dwordx2 v[12:13], v[16:17], off
	s_or_b64 exec, exec, s[4:5]
	s_and_saveexec_b64 s[4:5], s[62:63]
	s_cbranch_execnz .LBB73_210
.LBB73_286:
	s_or_b64 exec, exec, s[4:5]
	s_and_saveexec_b64 s[4:5], s[64:65]
	s_cbranch_execz .LBB73_211
.LBB73_287:
	v_lshlrev_b32_e32 v2, 3, v11
	ds_read_b64 v[12:13], v2
	ds_read_b64 v[16:17], v8 offset:28672
	v_lshlrev_b32_e32 v18, 3, v25
	v_mov_b32_e32 v19, 0
	s_waitcnt lgkmcnt(1)
	v_lshl_add_u64 v[12:13], v[12:13], 3, s[82:83]
	v_lshl_add_u64 v[12:13], v[12:13], 0, v[18:19]
	s_waitcnt lgkmcnt(0)
	global_store_dwordx2 v[12:13], v[16:17], off
	s_or_b64 exec, exec, s[4:5]
	s_and_saveexec_b64 s[4:5], s[66:67]
	s_cbranch_execnz .LBB73_212
.LBB73_288:
	s_or_b64 exec, exec, s[4:5]
	s_and_saveexec_b64 s[4:5], s[68:69]
	s_cbranch_execz .LBB73_213
.LBB73_289:
	v_lshlrev_b32_e32 v2, 3, v10
	ds_read_b64 v[10:11], v2
	ds_read_b64 v[12:13], v8 offset:32768
	v_lshlrev_b32_e32 v16, 3, v27
	v_mov_b32_e32 v17, 0
	s_waitcnt lgkmcnt(1)
	v_lshl_add_u64 v[10:11], v[10:11], 3, s[82:83]
	v_lshl_add_u64 v[10:11], v[10:11], 0, v[16:17]
	s_waitcnt lgkmcnt(0)
	global_store_dwordx2 v[10:11], v[12:13], off
	s_or_b64 exec, exec, s[4:5]
	s_and_saveexec_b64 s[4:5], s[70:71]
	s_cbranch_execnz .LBB73_214
.LBB73_290:
	s_or_b64 exec, exec, s[4:5]
	s_and_saveexec_b64 s[4:5], s[72:73]
	s_cbranch_execz .LBB73_215
.LBB73_291:
	v_lshlrev_b32_e32 v2, 3, v3
	ds_read_b64 v[2:3], v2
	ds_read_b64 v[10:11], v8 offset:36864
	v_lshlrev_b32_e32 v12, 3, v43
	v_mov_b32_e32 v13, 0
	s_waitcnt lgkmcnt(1)
	v_lshl_add_u64 v[2:3], v[2:3], 3, s[82:83]
	v_lshl_add_u64 v[2:3], v[2:3], 0, v[12:13]
	s_waitcnt lgkmcnt(0)
	global_store_dwordx2 v[2:3], v[10:11], off
	s_or_b64 exec, exec, s[4:5]
	s_add_i32 s33, s33, -1
	s_cmp_eq_u32 s2, s33
	s_cbranch_scc1 .LBB73_216
	s_branch .LBB73_217
	.section	.rodata,"a",@progbits
	.p2align	6, 0x0
	.amdhsa_kernel _ZN7rocprim17ROCPRIM_304000_NS6detail25onesweep_iteration_kernelINS1_34wrapped_radix_sort_onesweep_configINS0_14default_configEsN2at4cuda3cub6detail10OpaqueTypeILi8EEEEELb0EPsSC_PSA_SD_mNS0_19identity_decomposerEEEvT1_T2_T3_T4_jPT5_SK_PNS1_23onesweep_lookback_stateET6_jjj
		.amdhsa_group_segment_fixed_size 38912
		.amdhsa_private_segment_fixed_size 0
		.amdhsa_kernarg_size 336
		.amdhsa_user_sgpr_count 2
		.amdhsa_user_sgpr_dispatch_ptr 0
		.amdhsa_user_sgpr_queue_ptr 0
		.amdhsa_user_sgpr_kernarg_segment_ptr 1
		.amdhsa_user_sgpr_dispatch_id 0
		.amdhsa_user_sgpr_kernarg_preload_length 0
		.amdhsa_user_sgpr_kernarg_preload_offset 0
		.amdhsa_user_sgpr_private_segment_size 0
		.amdhsa_uses_dynamic_stack 0
		.amdhsa_enable_private_segment 0
		.amdhsa_system_sgpr_workgroup_id_x 1
		.amdhsa_system_sgpr_workgroup_id_y 0
		.amdhsa_system_sgpr_workgroup_id_z 0
		.amdhsa_system_sgpr_workgroup_info 0
		.amdhsa_system_vgpr_workitem_id 2
		.amdhsa_next_free_vgpr 100
		.amdhsa_next_free_sgpr 97
		.amdhsa_accum_offset 100
		.amdhsa_reserve_vcc 1
		.amdhsa_float_round_mode_32 0
		.amdhsa_float_round_mode_16_64 0
		.amdhsa_float_denorm_mode_32 3
		.amdhsa_float_denorm_mode_16_64 3
		.amdhsa_dx10_clamp 1
		.amdhsa_ieee_mode 1
		.amdhsa_fp16_overflow 0
		.amdhsa_tg_split 0
		.amdhsa_exception_fp_ieee_invalid_op 0
		.amdhsa_exception_fp_denorm_src 0
		.amdhsa_exception_fp_ieee_div_zero 0
		.amdhsa_exception_fp_ieee_overflow 0
		.amdhsa_exception_fp_ieee_underflow 0
		.amdhsa_exception_fp_ieee_inexact 0
		.amdhsa_exception_int_div_zero 0
	.end_amdhsa_kernel
	.section	.text._ZN7rocprim17ROCPRIM_304000_NS6detail25onesweep_iteration_kernelINS1_34wrapped_radix_sort_onesweep_configINS0_14default_configEsN2at4cuda3cub6detail10OpaqueTypeILi8EEEEELb0EPsSC_PSA_SD_mNS0_19identity_decomposerEEEvT1_T2_T3_T4_jPT5_SK_PNS1_23onesweep_lookback_stateET6_jjj,"axG",@progbits,_ZN7rocprim17ROCPRIM_304000_NS6detail25onesweep_iteration_kernelINS1_34wrapped_radix_sort_onesweep_configINS0_14default_configEsN2at4cuda3cub6detail10OpaqueTypeILi8EEEEELb0EPsSC_PSA_SD_mNS0_19identity_decomposerEEEvT1_T2_T3_T4_jPT5_SK_PNS1_23onesweep_lookback_stateET6_jjj,comdat
.Lfunc_end73:
	.size	_ZN7rocprim17ROCPRIM_304000_NS6detail25onesweep_iteration_kernelINS1_34wrapped_radix_sort_onesweep_configINS0_14default_configEsN2at4cuda3cub6detail10OpaqueTypeILi8EEEEELb0EPsSC_PSA_SD_mNS0_19identity_decomposerEEEvT1_T2_T3_T4_jPT5_SK_PNS1_23onesweep_lookback_stateET6_jjj, .Lfunc_end73-_ZN7rocprim17ROCPRIM_304000_NS6detail25onesweep_iteration_kernelINS1_34wrapped_radix_sort_onesweep_configINS0_14default_configEsN2at4cuda3cub6detail10OpaqueTypeILi8EEEEELb0EPsSC_PSA_SD_mNS0_19identity_decomposerEEEvT1_T2_T3_T4_jPT5_SK_PNS1_23onesweep_lookback_stateET6_jjj
                                        ; -- End function
	.set _ZN7rocprim17ROCPRIM_304000_NS6detail25onesweep_iteration_kernelINS1_34wrapped_radix_sort_onesweep_configINS0_14default_configEsN2at4cuda3cub6detail10OpaqueTypeILi8EEEEELb0EPsSC_PSA_SD_mNS0_19identity_decomposerEEEvT1_T2_T3_T4_jPT5_SK_PNS1_23onesweep_lookback_stateET6_jjj.num_vgpr, 100
	.set _ZN7rocprim17ROCPRIM_304000_NS6detail25onesweep_iteration_kernelINS1_34wrapped_radix_sort_onesweep_configINS0_14default_configEsN2at4cuda3cub6detail10OpaqueTypeILi8EEEEELb0EPsSC_PSA_SD_mNS0_19identity_decomposerEEEvT1_T2_T3_T4_jPT5_SK_PNS1_23onesweep_lookback_stateET6_jjj.num_agpr, 0
	.set _ZN7rocprim17ROCPRIM_304000_NS6detail25onesweep_iteration_kernelINS1_34wrapped_radix_sort_onesweep_configINS0_14default_configEsN2at4cuda3cub6detail10OpaqueTypeILi8EEEEELb0EPsSC_PSA_SD_mNS0_19identity_decomposerEEEvT1_T2_T3_T4_jPT5_SK_PNS1_23onesweep_lookback_stateET6_jjj.numbered_sgpr, 97
	.set _ZN7rocprim17ROCPRIM_304000_NS6detail25onesweep_iteration_kernelINS1_34wrapped_radix_sort_onesweep_configINS0_14default_configEsN2at4cuda3cub6detail10OpaqueTypeILi8EEEEELb0EPsSC_PSA_SD_mNS0_19identity_decomposerEEEvT1_T2_T3_T4_jPT5_SK_PNS1_23onesweep_lookback_stateET6_jjj.num_named_barrier, 0
	.set _ZN7rocprim17ROCPRIM_304000_NS6detail25onesweep_iteration_kernelINS1_34wrapped_radix_sort_onesweep_configINS0_14default_configEsN2at4cuda3cub6detail10OpaqueTypeILi8EEEEELb0EPsSC_PSA_SD_mNS0_19identity_decomposerEEEvT1_T2_T3_T4_jPT5_SK_PNS1_23onesweep_lookback_stateET6_jjj.private_seg_size, 0
	.set _ZN7rocprim17ROCPRIM_304000_NS6detail25onesweep_iteration_kernelINS1_34wrapped_radix_sort_onesweep_configINS0_14default_configEsN2at4cuda3cub6detail10OpaqueTypeILi8EEEEELb0EPsSC_PSA_SD_mNS0_19identity_decomposerEEEvT1_T2_T3_T4_jPT5_SK_PNS1_23onesweep_lookback_stateET6_jjj.uses_vcc, 1
	.set _ZN7rocprim17ROCPRIM_304000_NS6detail25onesweep_iteration_kernelINS1_34wrapped_radix_sort_onesweep_configINS0_14default_configEsN2at4cuda3cub6detail10OpaqueTypeILi8EEEEELb0EPsSC_PSA_SD_mNS0_19identity_decomposerEEEvT1_T2_T3_T4_jPT5_SK_PNS1_23onesweep_lookback_stateET6_jjj.uses_flat_scratch, 0
	.set _ZN7rocprim17ROCPRIM_304000_NS6detail25onesweep_iteration_kernelINS1_34wrapped_radix_sort_onesweep_configINS0_14default_configEsN2at4cuda3cub6detail10OpaqueTypeILi8EEEEELb0EPsSC_PSA_SD_mNS0_19identity_decomposerEEEvT1_T2_T3_T4_jPT5_SK_PNS1_23onesweep_lookback_stateET6_jjj.has_dyn_sized_stack, 0
	.set _ZN7rocprim17ROCPRIM_304000_NS6detail25onesweep_iteration_kernelINS1_34wrapped_radix_sort_onesweep_configINS0_14default_configEsN2at4cuda3cub6detail10OpaqueTypeILi8EEEEELb0EPsSC_PSA_SD_mNS0_19identity_decomposerEEEvT1_T2_T3_T4_jPT5_SK_PNS1_23onesweep_lookback_stateET6_jjj.has_recursion, 0
	.set _ZN7rocprim17ROCPRIM_304000_NS6detail25onesweep_iteration_kernelINS1_34wrapped_radix_sort_onesweep_configINS0_14default_configEsN2at4cuda3cub6detail10OpaqueTypeILi8EEEEELb0EPsSC_PSA_SD_mNS0_19identity_decomposerEEEvT1_T2_T3_T4_jPT5_SK_PNS1_23onesweep_lookback_stateET6_jjj.has_indirect_call, 0
	.section	.AMDGPU.csdata,"",@progbits
; Kernel info:
; codeLenInByte = 27716
; TotalNumSgprs: 103
; NumVgprs: 100
; NumAgprs: 0
; TotalNumVgprs: 100
; ScratchSize: 0
; MemoryBound: 0
; FloatMode: 240
; IeeeMode: 1
; LDSByteSize: 38912 bytes/workgroup (compile time only)
; SGPRBlocks: 12
; VGPRBlocks: 12
; NumSGPRsForWavesPerEU: 103
; NumVGPRsForWavesPerEU: 100
; AccumOffset: 100
; Occupancy: 4
; WaveLimiterHint : 1
; COMPUTE_PGM_RSRC2:SCRATCH_EN: 0
; COMPUTE_PGM_RSRC2:USER_SGPR: 2
; COMPUTE_PGM_RSRC2:TRAP_HANDLER: 0
; COMPUTE_PGM_RSRC2:TGID_X_EN: 1
; COMPUTE_PGM_RSRC2:TGID_Y_EN: 0
; COMPUTE_PGM_RSRC2:TGID_Z_EN: 0
; COMPUTE_PGM_RSRC2:TIDIG_COMP_CNT: 2
; COMPUTE_PGM_RSRC3_GFX90A:ACCUM_OFFSET: 24
; COMPUTE_PGM_RSRC3_GFX90A:TG_SPLIT: 0
	.section	.text._ZN7rocprim17ROCPRIM_304000_NS6detail28radix_sort_block_sort_kernelINS1_36wrapped_radix_sort_block_sort_configINS0_13kernel_configILj256ELj4ELj4294967295EEEiN2at4cuda3cub6detail10OpaqueTypeILi8EEEEELb1EPKiPiPKSB_PSB_NS0_19identity_decomposerEEEvT1_T2_T3_T4_jT5_jj,"axG",@progbits,_ZN7rocprim17ROCPRIM_304000_NS6detail28radix_sort_block_sort_kernelINS1_36wrapped_radix_sort_block_sort_configINS0_13kernel_configILj256ELj4ELj4294967295EEEiN2at4cuda3cub6detail10OpaqueTypeILi8EEEEELb1EPKiPiPKSB_PSB_NS0_19identity_decomposerEEEvT1_T2_T3_T4_jT5_jj,comdat
	.protected	_ZN7rocprim17ROCPRIM_304000_NS6detail28radix_sort_block_sort_kernelINS1_36wrapped_radix_sort_block_sort_configINS0_13kernel_configILj256ELj4ELj4294967295EEEiN2at4cuda3cub6detail10OpaqueTypeILi8EEEEELb1EPKiPiPKSB_PSB_NS0_19identity_decomposerEEEvT1_T2_T3_T4_jT5_jj ; -- Begin function _ZN7rocprim17ROCPRIM_304000_NS6detail28radix_sort_block_sort_kernelINS1_36wrapped_radix_sort_block_sort_configINS0_13kernel_configILj256ELj4ELj4294967295EEEiN2at4cuda3cub6detail10OpaqueTypeILi8EEEEELb1EPKiPiPKSB_PSB_NS0_19identity_decomposerEEEvT1_T2_T3_T4_jT5_jj
	.globl	_ZN7rocprim17ROCPRIM_304000_NS6detail28radix_sort_block_sort_kernelINS1_36wrapped_radix_sort_block_sort_configINS0_13kernel_configILj256ELj4ELj4294967295EEEiN2at4cuda3cub6detail10OpaqueTypeILi8EEEEELb1EPKiPiPKSB_PSB_NS0_19identity_decomposerEEEvT1_T2_T3_T4_jT5_jj
	.p2align	8
	.type	_ZN7rocprim17ROCPRIM_304000_NS6detail28radix_sort_block_sort_kernelINS1_36wrapped_radix_sort_block_sort_configINS0_13kernel_configILj256ELj4ELj4294967295EEEiN2at4cuda3cub6detail10OpaqueTypeILi8EEEEELb1EPKiPiPKSB_PSB_NS0_19identity_decomposerEEEvT1_T2_T3_T4_jT5_jj,@function
_ZN7rocprim17ROCPRIM_304000_NS6detail28radix_sort_block_sort_kernelINS1_36wrapped_radix_sort_block_sort_configINS0_13kernel_configILj256ELj4ELj4294967295EEEiN2at4cuda3cub6detail10OpaqueTypeILi8EEEEELb1EPKiPiPKSB_PSB_NS0_19identity_decomposerEEEvT1_T2_T3_T4_jT5_jj: ; @_ZN7rocprim17ROCPRIM_304000_NS6detail28radix_sort_block_sort_kernelINS1_36wrapped_radix_sort_block_sort_configINS0_13kernel_configILj256ELj4ELj4294967295EEEiN2at4cuda3cub6detail10OpaqueTypeILi8EEEEELb1EPKiPiPKSB_PSB_NS0_19identity_decomposerEEEvT1_T2_T3_T4_jT5_jj
; %bb.0:
	s_load_dword s4, s[0:1], 0x20
	s_load_dwordx8 s[36:43], s[0:1], 0x0
	s_lshl_b32 s28, s2, 10
	s_mov_b32 s29, 0
	v_and_b32_e32 v8, 0x3ff, v0
	s_waitcnt lgkmcnt(0)
	s_lshr_b32 s3, s4, 10
	s_cmp_lg_u32 s2, s3
	s_cselect_b64 s[30:31], -1, 0
	s_lshl_b64 s[34:35], s[28:29], 2
	v_mbcnt_lo_u32_b32 v1, -1, 0
	s_add_u32 s6, s36, s34
	v_mbcnt_hi_u32_b32 v1, -1, v1
	v_lshlrev_b32_e32 v10, 2, v8
	s_addc_u32 s7, s37, s35
	v_and_b32_e32 v11, 0x300, v10
	v_mov_b32_e32 v7, 0
	v_lshlrev_b32_e32 v6, 2, v1
	v_lshl_add_u64 v[2:3], s[6:7], 0, v[6:7]
	v_lshlrev_b32_e32 v6, 2, v11
	s_cmp_eq_u32 s2, s3
	v_lshl_add_u64 v[14:15], v[2:3], 0, v[6:7]
	v_lshlrev_b32_e32 v6, 3, v1
	v_lshlrev_b32_e32 v12, 3, v11
	v_add_u32_e32 v9, v1, v11
	s_cbranch_scc1 .LBB74_2
; %bb.1:
	s_lshl_b64 s[2:3], s[28:29], 3
	s_add_u32 s2, s40, s2
	s_addc_u32 s3, s41, s3
	v_lshl_add_u64 v[16:17], s[2:3], 0, v[6:7]
	v_mov_b32_e32 v13, v7
	v_lshl_add_u64 v[16:17], v[16:17], 0, v[12:13]
	global_load_dword v2, v[14:15], off
	global_load_dword v3, v[14:15], off offset:256
	global_load_dword v4, v[14:15], off offset:512
	;; [unrolled: 1-line block ×3, first 2 shown]
	global_load_dwordx2 v[46:47], v[16:17], off
	global_load_dwordx2 v[48:49], v[16:17], off offset:512
	global_load_dwordx2 v[50:51], v[16:17], off offset:1024
	;; [unrolled: 1-line block ×3, first 2 shown]
	v_add_u32_e32 v7, v1, v11
	v_add_u32_e32 v16, 64, v7
	;; [unrolled: 1-line block ×4, first 2 shown]
	s_sub_i32 s33, s4, s28
	s_cbranch_execz .LBB74_3
	s_branch .LBB74_17
.LBB74_2:
                                        ; implicit-def: $vgpr2_vgpr3_vgpr4_vgpr5
                                        ; implicit-def: $vgpr46_vgpr47
                                        ; implicit-def: $vgpr48_vgpr49
                                        ; implicit-def: $vgpr50_vgpr51
                                        ; implicit-def: $vgpr52_vgpr53
                                        ; implicit-def: $vgpr7
                                        ; implicit-def: $vgpr16
                                        ; implicit-def: $vgpr17
                                        ; implicit-def: $vgpr18
	s_sub_i32 s33, s4, s28
.LBB74_3:
	s_waitcnt vmcnt(7)
	v_bfrev_b32_e32 v2, 1
	v_cmp_gt_u32_e32 vcc, s33, v9
	s_waitcnt vmcnt(6)
	v_mov_b32_e32 v3, v2
	s_waitcnt vmcnt(5)
	v_mov_b32_e32 v4, v2
	;; [unrolled: 2-line block ×3, first 2 shown]
	s_and_saveexec_b64 s[2:3], vcc
	s_cbranch_execz .LBB74_5
; %bb.4:
	global_load_dword v16, v[14:15], off
	v_mov_b32_e32 v17, v2
	v_mov_b32_e32 v18, v2
	;; [unrolled: 1-line block ×3, first 2 shown]
	s_waitcnt vmcnt(0)
	v_mov_b64_e32 v[2:3], v[16:17]
	v_mov_b64_e32 v[4:5], v[18:19]
.LBB74_5:
	s_or_b64 exec, exec, s[2:3]
	v_add_u32_e32 v16, 64, v9
	v_cmp_gt_u32_e64 s[2:3], s33, v16
	s_and_saveexec_b64 s[4:5], s[2:3]
	s_cbranch_execz .LBB74_7
; %bb.6:
	global_load_dword v3, v[14:15], off offset:256
.LBB74_7:
	s_or_b64 exec, exec, s[4:5]
	v_add_u32_e32 v17, 0x80, v9
	v_cmp_gt_u32_e64 s[4:5], s33, v17
	s_and_saveexec_b64 s[6:7], s[4:5]
	s_cbranch_execz .LBB74_9
; %bb.8:
	global_load_dword v4, v[14:15], off offset:512
.LBB74_9:
	s_or_b64 exec, exec, s[6:7]
	v_add_u32_e32 v18, 0xc0, v9
	v_cmp_gt_u32_e64 s[6:7], s33, v18
	s_and_saveexec_b64 s[8:9], s[6:7]
	s_cbranch_execz .LBB74_11
; %bb.10:
	global_load_dword v5, v[14:15], off offset:768
.LBB74_11:
	s_or_b64 exec, exec, s[8:9]
	s_lshl_b64 s[8:9], s[28:29], 3
	s_add_u32 s8, s40, s8
	s_addc_u32 s9, s41, s9
	v_mov_b32_e32 v7, 0
	v_lshl_add_u64 v[14:15], s[8:9], 0, v[6:7]
	v_mov_b32_e32 v13, v7
	v_lshl_add_u64 v[6:7], v[14:15], 0, v[12:13]
                                        ; implicit-def: $vgpr46_vgpr47
	s_and_saveexec_b64 s[8:9], vcc
	s_cbranch_execnz .LBB74_54
; %bb.12:
	s_or_b64 exec, exec, s[8:9]
                                        ; implicit-def: $vgpr48_vgpr49
	s_and_saveexec_b64 s[8:9], s[2:3]
	s_cbranch_execnz .LBB74_55
.LBB74_13:
	s_or_b64 exec, exec, s[8:9]
                                        ; implicit-def: $vgpr50_vgpr51
	s_and_saveexec_b64 s[2:3], s[4:5]
	s_cbranch_execnz .LBB74_56
.LBB74_14:
	s_or_b64 exec, exec, s[2:3]
                                        ; implicit-def: $vgpr52_vgpr53
	s_and_saveexec_b64 s[2:3], s[6:7]
	s_cbranch_execz .LBB74_16
.LBB74_15:
	global_load_dwordx2 v[52:53], v[6:7], off offset:1536
.LBB74_16:
	s_or_b64 exec, exec, s[2:3]
	v_mov_b32_e32 v7, v9
.LBB74_17:
	s_load_dwordx2 s[36:37], s[0:1], 0x28
	s_waitcnt vmcnt(0)
	v_xor_b32_e32 v12, 0x7fffffff, v4
	s_load_dword s0, s[0:1], 0x3c
	v_bfe_u32 v4, v0, 10, 10
	v_bfe_u32 v0, v0, 20, 10
	v_xor_b32_e32 v38, 0x7fffffff, v5
	s_mov_b32 s26, 0
	s_waitcnt lgkmcnt(0)
	s_lshr_b32 s1, s0, 16
	s_and_b32 s0, s0, 0xffff
	v_mad_u32_u24 v0, v0, s1, v4
	v_mad_u64_u32 v[4:5], s[0:1], v0, s0, v[8:9]
	v_lshrrev_b32_e32 v0, 4, v4
	v_and_b32_e32 v11, 0xffffffc, v0
	v_and_b32_e32 v0, 15, v1
	v_cmp_eq_u32_e64 s[0:1], 0, v0
	v_cmp_lt_u32_e64 s[2:3], 1, v0
	v_cmp_lt_u32_e64 s[4:5], 3, v0
	;; [unrolled: 1-line block ×3, first 2 shown]
	v_and_b32_e32 v0, 16, v1
	v_cmp_eq_u32_e64 s[8:9], 0, v0
	v_and_b32_e32 v0, 0x3c0, v8
	v_min_u32_e32 v0, 0xc0, v0
	v_or_b32_e32 v0, 63, v0
	v_cmp_eq_u32_e64 s[12:13], v8, v0
	v_subrev_co_u32_e64 v0, s[18:19], 1, v1
	v_and_b32_e32 v4, 64, v1
	v_cmp_lt_i32_e32 vcc, v0, v4
	v_lshlrev_b32_e32 v26, 2, v7
	v_lshlrev_b32_e32 v27, 2, v16
	v_cndmask_b32_e32 v0, v0, v1, vcc
	v_lshlrev_b32_e32 v23, 2, v0
	v_lshrrev_b32_e32 v0, 4, v8
	v_and_b32_e32 v24, 60, v0
	v_and_b32_e32 v0, 3, v1
	v_lshlrev_b32_e32 v28, 2, v17
	v_lshlrev_b32_e32 v29, 2, v18
	s_mov_b32 s27, s26
	s_mov_b32 s44, s26
	;; [unrolled: 1-line block ×3, first 2 shown]
	v_xor_b32_e32 v2, 0x7fffffff, v2
	v_xor_b32_e32 v3, 0x7fffffff, v3
	s_add_i32 s40, s37, s36
	v_lshlrev_b32_e32 v9, 2, v10
	v_cmp_lt_u32_e64 s[10:11], 31, v1
	v_cmp_gt_u32_e64 s[14:15], 4, v8
	v_cmp_lt_u32_e64 s[16:17], 63, v8
	v_cmp_eq_u32_e64 s[20:21], 0, v8
	v_mul_i32_i24_e32 v22, -12, v8
	v_cmp_eq_u32_e64 s[22:23], 0, v0
	v_cmp_lt_u32_e64 s[24:25], 1, v0
	v_add_u32_e32 v25, -4, v24
	v_mov_b64_e32 v[4:5], s[26:27]
	v_mov_b64_e32 v[6:7], s[44:45]
	v_mov_b32_e32 v13, 0
	v_add_u32_e32 v30, v26, v26
	v_add_u32_e32 v31, v27, v27
	;; [unrolled: 1-line block ×4, first 2 shown]
	s_branch .LBB74_19
.LBB74_18:                              ;   in Loop: Header=BB74_19 Depth=1
	s_andn2_b64 vcc, exec, s[26:27]
	s_mov_b32 s37, s41
	s_cbranch_vccz .LBB74_35
.LBB74_19:                              ; =>This Inner Loop Header: Depth=1
	v_mov_b32_e32 v37, v2
	s_min_u32 s26, s37, 8
	s_lshl_b32 s41, -1, s26
	v_lshrrev_b32_e32 v0, s36, v37
	v_bitop3_b32 v2, v0, s41, v0 bitop3:0x30
	v_mov_b32_e32 v35, v12
	v_and_b32_e32 v12, 1, v2
	v_lshl_add_u64 v[0:1], v[12:13], 0, -1
	v_cmp_ne_u32_e32 vcc, 0, v12
	v_mov_b32_e32 v34, v38
	v_mov_b32_e32 v36, v3
	v_xor_b32_e32 v1, vcc_hi, v1
	v_xor_b32_e32 v0, vcc_lo, v0
	v_and_b32_e32 v12, exec_hi, v1
	v_and_b32_e32 v38, exec_lo, v0
	v_lshlrev_b32_e32 v1, 30, v2
	v_mov_b32_e32 v0, v13
	v_cmp_gt_i64_e32 vcc, 0, v[0:1]
	v_not_b32_e32 v0, v1
	v_ashrrev_i32_e32 v0, 31, v0
	v_xor_b32_e32 v1, vcc_hi, v0
	v_xor_b32_e32 v0, vcc_lo, v0
	v_and_b32_e32 v12, v12, v1
	v_and_b32_e32 v38, v38, v0
	v_lshlrev_b32_e32 v1, 29, v2
	v_mov_b32_e32 v0, v13
	v_cmp_gt_i64_e32 vcc, 0, v[0:1]
	v_not_b32_e32 v0, v1
	v_ashrrev_i32_e32 v0, 31, v0
	v_xor_b32_e32 v1, vcc_hi, v0
	v_xor_b32_e32 v0, vcc_lo, v0
	v_and_b32_e32 v12, v12, v1
	v_and_b32_e32 v38, v38, v0
	;; [unrolled: 9-line block ×6, first 2 shown]
	v_lshlrev_b32_e32 v1, 24, v2
	v_mov_b32_e32 v0, v13
	v_cmp_gt_i64_e32 vcc, 0, v[0:1]
	v_not_b32_e32 v0, v1
	v_ashrrev_i32_e32 v0, 31, v0
	v_xor_b32_e32 v1, vcc_hi, v0
	v_xor_b32_e32 v0, vcc_lo, v0
	v_and_b32_e32 v0, v38, v0
	v_lshlrev_b32_e32 v3, 4, v2
	v_and_b32_e32 v1, v12, v1
	v_mbcnt_lo_u32_b32 v2, v0, 0
	v_mbcnt_hi_u32_b32 v38, v1, v2
	v_cmp_eq_u32_e32 vcc, 0, v38
	v_cmp_ne_u64_e64 s[26:27], 0, v[0:1]
	v_mov_b64_e32 v[20:21], v[46:47]
	v_mov_b64_e32 v[18:19], v[48:49]
	;; [unrolled: 1-line block ×4, first 2 shown]
	s_and_b64 s[44:45], s[26:27], vcc
	v_add_u32_e32 v39, v11, v3
	ds_write2_b64 v9, v[4:5], v[6:7] offset0:2 offset1:3
	s_waitcnt lgkmcnt(0)
	s_barrier
	; wave barrier
	s_and_saveexec_b64 s[26:27], s[44:45]
; %bb.20:                               ;   in Loop: Header=BB74_19 Depth=1
	v_bcnt_u32_b32 v0, v0, 0
	v_bcnt_u32_b32 v0, v1, v0
	ds_write_b32 v39, v0 offset:16
; %bb.21:                               ;   in Loop: Header=BB74_19 Depth=1
	s_or_b64 exec, exec, s[26:27]
	s_not_b32 s41, s41
	v_lshrrev_b32_e32 v0, s36, v36
	v_and_b32_e32 v2, s41, v0
	v_lshlrev_b32_e32 v0, 4, v2
	v_and_b32_e32 v12, 1, v2
	v_add_u32_e32 v41, v11, v0
	v_lshl_add_u64 v[0:1], v[12:13], 0, -1
	v_cmp_ne_u32_e32 vcc, 0, v12
	; wave barrier
	s_nop 1
	v_xor_b32_e32 v1, vcc_hi, v1
	v_xor_b32_e32 v0, vcc_lo, v0
	v_and_b32_e32 v3, exec_hi, v1
	v_and_b32_e32 v12, exec_lo, v0
	v_lshlrev_b32_e32 v1, 30, v2
	v_mov_b32_e32 v0, v13
	v_cmp_gt_i64_e32 vcc, 0, v[0:1]
	v_not_b32_e32 v0, v1
	v_ashrrev_i32_e32 v0, 31, v0
	v_xor_b32_e32 v1, vcc_hi, v0
	v_xor_b32_e32 v0, vcc_lo, v0
	v_and_b32_e32 v3, v3, v1
	v_and_b32_e32 v12, v12, v0
	v_lshlrev_b32_e32 v1, 29, v2
	v_mov_b32_e32 v0, v13
	v_cmp_gt_i64_e32 vcc, 0, v[0:1]
	v_not_b32_e32 v0, v1
	v_ashrrev_i32_e32 v0, 31, v0
	v_xor_b32_e32 v1, vcc_hi, v0
	v_xor_b32_e32 v0, vcc_lo, v0
	v_and_b32_e32 v3, v3, v1
	v_and_b32_e32 v12, v12, v0
	;; [unrolled: 9-line block ×6, first 2 shown]
	v_lshlrev_b32_e32 v1, 24, v2
	v_mov_b32_e32 v0, v13
	v_cmp_gt_i64_e32 vcc, 0, v[0:1]
	v_not_b32_e32 v0, v1
	v_ashrrev_i32_e32 v0, 31, v0
	v_xor_b32_e32 v1, vcc_hi, v0
	v_xor_b32_e32 v0, vcc_lo, v0
	ds_read_b32 v40, v41 offset:16
	v_and_b32_e32 v0, v12, v0
	v_and_b32_e32 v1, v3, v1
	v_mbcnt_lo_u32_b32 v2, v0, 0
	v_mbcnt_hi_u32_b32 v42, v1, v2
	v_cmp_eq_u32_e32 vcc, 0, v42
	v_cmp_ne_u64_e64 s[26:27], 0, v[0:1]
	s_and_b64 s[44:45], s[26:27], vcc
	; wave barrier
	s_and_saveexec_b64 s[26:27], s[44:45]
	s_cbranch_execz .LBB74_23
; %bb.22:                               ;   in Loop: Header=BB74_19 Depth=1
	v_bcnt_u32_b32 v0, v0, 0
	v_bcnt_u32_b32 v0, v1, v0
	s_waitcnt lgkmcnt(0)
	v_add_u32_e32 v0, v40, v0
	ds_write_b32 v41, v0 offset:16
.LBB74_23:                              ;   in Loop: Header=BB74_19 Depth=1
	s_or_b64 exec, exec, s[26:27]
	v_lshrrev_b32_e32 v0, s36, v35
	v_and_b32_e32 v2, s41, v0
	v_lshlrev_b32_e32 v0, 4, v2
	v_and_b32_e32 v12, 1, v2
	v_add_u32_e32 v44, v11, v0
	v_lshl_add_u64 v[0:1], v[12:13], 0, -1
	v_cmp_ne_u32_e32 vcc, 0, v12
	; wave barrier
	s_nop 1
	v_xor_b32_e32 v1, vcc_hi, v1
	v_xor_b32_e32 v0, vcc_lo, v0
	v_and_b32_e32 v3, exec_hi, v1
	v_and_b32_e32 v12, exec_lo, v0
	v_lshlrev_b32_e32 v1, 30, v2
	v_mov_b32_e32 v0, v13
	v_cmp_gt_i64_e32 vcc, 0, v[0:1]
	v_not_b32_e32 v0, v1
	v_ashrrev_i32_e32 v0, 31, v0
	v_xor_b32_e32 v1, vcc_hi, v0
	v_xor_b32_e32 v0, vcc_lo, v0
	v_and_b32_e32 v3, v3, v1
	v_and_b32_e32 v12, v12, v0
	v_lshlrev_b32_e32 v1, 29, v2
	v_mov_b32_e32 v0, v13
	v_cmp_gt_i64_e32 vcc, 0, v[0:1]
	v_not_b32_e32 v0, v1
	v_ashrrev_i32_e32 v0, 31, v0
	v_xor_b32_e32 v1, vcc_hi, v0
	v_xor_b32_e32 v0, vcc_lo, v0
	v_and_b32_e32 v3, v3, v1
	v_and_b32_e32 v12, v12, v0
	v_lshlrev_b32_e32 v1, 28, v2
	v_mov_b32_e32 v0, v13
	v_cmp_gt_i64_e32 vcc, 0, v[0:1]
	v_not_b32_e32 v0, v1
	v_ashrrev_i32_e32 v0, 31, v0
	v_xor_b32_e32 v1, vcc_hi, v0
	v_xor_b32_e32 v0, vcc_lo, v0
	v_and_b32_e32 v3, v3, v1
	v_and_b32_e32 v12, v12, v0
	v_lshlrev_b32_e32 v1, 27, v2
	v_mov_b32_e32 v0, v13
	v_cmp_gt_i64_e32 vcc, 0, v[0:1]
	v_not_b32_e32 v0, v1
	v_ashrrev_i32_e32 v0, 31, v0
	v_xor_b32_e32 v1, vcc_hi, v0
	v_xor_b32_e32 v0, vcc_lo, v0
	v_and_b32_e32 v3, v3, v1
	v_and_b32_e32 v12, v12, v0
	v_lshlrev_b32_e32 v1, 26, v2
	v_mov_b32_e32 v0, v13
	v_cmp_gt_i64_e32 vcc, 0, v[0:1]
	v_not_b32_e32 v0, v1
	v_ashrrev_i32_e32 v0, 31, v0
	v_xor_b32_e32 v1, vcc_hi, v0
	v_xor_b32_e32 v0, vcc_lo, v0
	v_and_b32_e32 v3, v3, v1
	v_and_b32_e32 v12, v12, v0
	v_lshlrev_b32_e32 v1, 25, v2
	v_mov_b32_e32 v0, v13
	v_cmp_gt_i64_e32 vcc, 0, v[0:1]
	v_not_b32_e32 v0, v1
	v_ashrrev_i32_e32 v0, 31, v0
	v_xor_b32_e32 v1, vcc_hi, v0
	v_xor_b32_e32 v0, vcc_lo, v0
	v_and_b32_e32 v3, v3, v1
	v_and_b32_e32 v12, v12, v0
	v_lshlrev_b32_e32 v1, 24, v2
	v_mov_b32_e32 v0, v13
	v_cmp_gt_i64_e32 vcc, 0, v[0:1]
	v_not_b32_e32 v0, v1
	v_ashrrev_i32_e32 v0, 31, v0
	v_xor_b32_e32 v1, vcc_hi, v0
	v_xor_b32_e32 v0, vcc_lo, v0
	ds_read_b32 v43, v44 offset:16
	v_and_b32_e32 v0, v12, v0
	v_and_b32_e32 v1, v3, v1
	v_mbcnt_lo_u32_b32 v2, v0, 0
	v_mbcnt_hi_u32_b32 v45, v1, v2
	v_cmp_eq_u32_e32 vcc, 0, v45
	v_cmp_ne_u64_e64 s[26:27], 0, v[0:1]
	s_and_b64 s[44:45], s[26:27], vcc
	; wave barrier
	s_and_saveexec_b64 s[26:27], s[44:45]
	s_cbranch_execz .LBB74_25
; %bb.24:                               ;   in Loop: Header=BB74_19 Depth=1
	v_bcnt_u32_b32 v0, v0, 0
	v_bcnt_u32_b32 v0, v1, v0
	s_waitcnt lgkmcnt(0)
	v_add_u32_e32 v0, v43, v0
	ds_write_b32 v44, v0 offset:16
.LBB74_25:                              ;   in Loop: Header=BB74_19 Depth=1
	s_or_b64 exec, exec, s[26:27]
	v_lshrrev_b32_e32 v0, s36, v34
	v_and_b32_e32 v2, s41, v0
	v_lshlrev_b32_e32 v0, 4, v2
	v_and_b32_e32 v12, 1, v2
	v_add_u32_e32 v47, v11, v0
	v_lshl_add_u64 v[0:1], v[12:13], 0, -1
	v_cmp_ne_u32_e32 vcc, 0, v12
	; wave barrier
	s_nop 1
	v_xor_b32_e32 v1, vcc_hi, v1
	v_xor_b32_e32 v0, vcc_lo, v0
	v_and_b32_e32 v3, exec_hi, v1
	v_and_b32_e32 v12, exec_lo, v0
	v_lshlrev_b32_e32 v1, 30, v2
	v_mov_b32_e32 v0, v13
	v_cmp_gt_i64_e32 vcc, 0, v[0:1]
	v_not_b32_e32 v0, v1
	v_ashrrev_i32_e32 v0, 31, v0
	v_xor_b32_e32 v1, vcc_hi, v0
	v_xor_b32_e32 v0, vcc_lo, v0
	v_and_b32_e32 v3, v3, v1
	v_and_b32_e32 v12, v12, v0
	v_lshlrev_b32_e32 v1, 29, v2
	v_mov_b32_e32 v0, v13
	v_cmp_gt_i64_e32 vcc, 0, v[0:1]
	v_not_b32_e32 v0, v1
	v_ashrrev_i32_e32 v0, 31, v0
	v_xor_b32_e32 v1, vcc_hi, v0
	v_xor_b32_e32 v0, vcc_lo, v0
	v_and_b32_e32 v3, v3, v1
	v_and_b32_e32 v12, v12, v0
	;; [unrolled: 9-line block ×6, first 2 shown]
	v_lshlrev_b32_e32 v1, 24, v2
	v_mov_b32_e32 v0, v13
	v_cmp_gt_i64_e32 vcc, 0, v[0:1]
	v_not_b32_e32 v0, v1
	v_ashrrev_i32_e32 v0, 31, v0
	v_xor_b32_e32 v1, vcc_hi, v0
	v_xor_b32_e32 v0, vcc_lo, v0
	ds_read_b32 v46, v47 offset:16
	v_and_b32_e32 v0, v12, v0
	v_and_b32_e32 v1, v3, v1
	v_mbcnt_lo_u32_b32 v2, v0, 0
	v_mbcnt_hi_u32_b32 v12, v1, v2
	v_cmp_eq_u32_e32 vcc, 0, v12
	v_cmp_ne_u64_e64 s[26:27], 0, v[0:1]
	s_and_b64 s[44:45], s[26:27], vcc
	; wave barrier
	s_and_saveexec_b64 s[26:27], s[44:45]
	s_cbranch_execz .LBB74_27
; %bb.26:                               ;   in Loop: Header=BB74_19 Depth=1
	v_bcnt_u32_b32 v0, v0, 0
	v_bcnt_u32_b32 v0, v1, v0
	s_waitcnt lgkmcnt(0)
	v_add_u32_e32 v0, v46, v0
	ds_write_b32 v47, v0 offset:16
.LBB74_27:                              ;   in Loop: Header=BB74_19 Depth=1
	s_or_b64 exec, exec, s[26:27]
	; wave barrier
	s_waitcnt lgkmcnt(0)
	s_barrier
	ds_read2_b64 v[0:3], v9 offset0:2 offset1:3
	s_waitcnt lgkmcnt(0)
	v_add_u32_e32 v48, v1, v0
	v_add3_u32 v3, v48, v2, v3
	s_nop 1
	v_mov_b32_dpp v48, v3 row_shr:1 row_mask:0xf bank_mask:0xf
	v_cndmask_b32_e64 v48, v48, 0, s[0:1]
	v_add_u32_e32 v3, v48, v3
	s_nop 1
	v_mov_b32_dpp v48, v3 row_shr:2 row_mask:0xf bank_mask:0xf
	v_cndmask_b32_e64 v48, 0, v48, s[2:3]
	v_add_u32_e32 v3, v3, v48
	;; [unrolled: 4-line block ×4, first 2 shown]
	s_nop 1
	v_mov_b32_dpp v48, v3 row_bcast:15 row_mask:0xf bank_mask:0xf
	v_cndmask_b32_e64 v48, v48, 0, s[8:9]
	v_add_u32_e32 v3, v3, v48
	s_nop 1
	v_mov_b32_dpp v48, v3 row_bcast:31 row_mask:0xf bank_mask:0xf
	v_cndmask_b32_e64 v48, 0, v48, s[10:11]
	v_add_u32_e32 v3, v3, v48
	s_and_saveexec_b64 s[26:27], s[12:13]
; %bb.28:                               ;   in Loop: Header=BB74_19 Depth=1
	ds_write_b32 v24, v3
; %bb.29:                               ;   in Loop: Header=BB74_19 Depth=1
	s_or_b64 exec, exec, s[26:27]
	s_waitcnt lgkmcnt(0)
	s_barrier
	s_and_saveexec_b64 s[26:27], s[14:15]
	s_cbranch_execz .LBB74_31
; %bb.30:                               ;   in Loop: Header=BB74_19 Depth=1
	v_add_u32_e32 v48, v9, v22
	ds_read_b32 v49, v48
	s_waitcnt lgkmcnt(0)
	s_nop 0
	v_mov_b32_dpp v50, v49 row_shr:1 row_mask:0xf bank_mask:0xf
	v_cndmask_b32_e64 v50, v50, 0, s[22:23]
	v_add_u32_e32 v49, v50, v49
	s_nop 1
	v_mov_b32_dpp v50, v49 row_shr:2 row_mask:0xf bank_mask:0xf
	v_cndmask_b32_e64 v50, 0, v50, s[24:25]
	v_add_u32_e32 v49, v49, v50
	ds_write_b32 v48, v49
.LBB74_31:                              ;   in Loop: Header=BB74_19 Depth=1
	s_or_b64 exec, exec, s[26:27]
	v_mov_b32_e32 v48, 0
	s_waitcnt lgkmcnt(0)
	s_barrier
	s_and_saveexec_b64 s[26:27], s[16:17]
; %bb.32:                               ;   in Loop: Header=BB74_19 Depth=1
	ds_read_b32 v48, v25
; %bb.33:                               ;   in Loop: Header=BB74_19 Depth=1
	s_or_b64 exec, exec, s[26:27]
	s_waitcnt lgkmcnt(0)
	v_add_u32_e32 v3, v48, v3
	ds_bpermute_b32 v3, v23, v3
	s_add_i32 s36, s36, 8
	s_cmp_ge_u32 s36, s40
	s_mov_b64 s[26:27], -1
                                        ; implicit-def: $vgpr50_vgpr51
                                        ; implicit-def: $vgpr52_vgpr53
	s_waitcnt lgkmcnt(0)
	v_cndmask_b32_e64 v3, v3, v48, s[18:19]
	v_cndmask_b32_e64 v48, v3, 0, s[20:21]
	v_add_u32_e32 v49, v48, v0
	v_add_u32_e32 v0, v49, v1
	;; [unrolled: 1-line block ×3, first 2 shown]
	ds_write2_b64 v9, v[48:49], v[0:1] offset0:2 offset1:3
	s_waitcnt lgkmcnt(0)
	s_barrier
	ds_read_b32 v0, v39 offset:16
	ds_read_b32 v1, v41 offset:16
	;; [unrolled: 1-line block ×4, first 2 shown]
	s_waitcnt lgkmcnt(0)
	v_add_u32_e32 v41, v0, v38
	v_add3_u32 v39, v42, v40, v1
	v_add3_u32 v1, v45, v43, v2
	;; [unrolled: 1-line block ×3, first 2 shown]
	v_lshlrev_b32_e32 v44, 2, v41
	v_lshlrev_b32_e32 v43, 2, v39
	;; [unrolled: 1-line block ×4, first 2 shown]
	v_readfirstlane_b32 s41, v0
                                        ; implicit-def: $vgpr38
                                        ; implicit-def: $vgpr12
                                        ; implicit-def: $vgpr3
                                        ; implicit-def: $vgpr2
                                        ; implicit-def: $vgpr46_vgpr47
                                        ; implicit-def: $vgpr48_vgpr49
	s_cbranch_scc1 .LBB74_18
; %bb.34:                               ;   in Loop: Header=BB74_19 Depth=1
	v_lshl_add_u32 v45, v41, 2, v44
	s_barrier
	ds_write_b32 v44, v37
	ds_write_b32 v43, v36
	;; [unrolled: 1-line block ×4, first 2 shown]
	s_waitcnt lgkmcnt(0)
	s_barrier
	ds_read_b32 v2, v26
	ds_read_b32 v3, v27
	;; [unrolled: 1-line block ×4, first 2 shown]
	s_waitcnt lgkmcnt(0)
	s_barrier
	ds_write_b64 v45, v[20:21]
	v_lshl_add_u32 v45, v39, 2, v43
	ds_write_b64 v45, v[18:19]
	v_lshl_add_u32 v45, v1, 2, v42
	;; [unrolled: 2-line block ×3, first 2 shown]
	ds_write_b64 v45, v[14:15]
	s_waitcnt lgkmcnt(0)
	s_barrier
	ds_read_b64 v[46:47], v30
	ds_read_b64 v[48:49], v31
	;; [unrolled: 1-line block ×4, first 2 shown]
	s_add_i32 s41, s37, -8
	s_mov_b64 s[26:27], 0
	s_waitcnt lgkmcnt(0)
	s_barrier
	s_branch .LBB74_18
.LBB74_35:
	v_add_u32_e32 v2, v9, v22
	s_barrier
	ds_write_b32 v44, v37
	ds_write_b32 v43, v36
	;; [unrolled: 1-line block ×4, first 2 shown]
	s_waitcnt lgkmcnt(0)
	s_barrier
	ds_read2st64_b32 v[22:23], v2 offset1:4
	ds_read2st64_b32 v[24:25], v2 offset0:8 offset1:12
	v_lshl_add_u32 v2, v41, 2, v44
	s_waitcnt lgkmcnt(0)
	s_barrier
	ds_write_b64 v2, v[20:21]
	v_lshl_add_u32 v2, v39, 2, v43
	v_lshl_add_u32 v1, v1, 2, v42
	;; [unrolled: 1-line block ×3, first 2 shown]
	v_lshlrev_b32_e32 v12, 3, v8
	ds_write_b64 v2, v[18:19]
	ds_write_b64 v1, v[16:17]
	;; [unrolled: 1-line block ×3, first 2 shown]
	s_waitcnt lgkmcnt(0)
	s_barrier
	ds_read2st64_b64 v[4:7], v12 offset1:4
	ds_read2st64_b64 v[0:3], v12 offset0:8 offset1:12
	s_add_u32 s0, s38, s34
	s_addc_u32 s1, s39, s35
	v_mov_b32_e32 v11, 0
	v_xor_b32_e32 v18, 0x7fffffff, v22
	v_xor_b32_e32 v17, 0x7fffffff, v23
	v_xor_b32_e32 v16, 0x7fffffff, v24
	v_xor_b32_e32 v9, 0x7fffffff, v25
	s_andn2_b64 vcc, exec, s[30:31]
	v_lshl_add_u64 v[14:15], s[0:1], 0, v[10:11]
	s_cbranch_vccnz .LBB74_37
; %bb.36:
	s_lshl_b64 s[0:1], s[28:29], 3
	s_add_u32 s0, s42, s0
	s_addc_u32 s1, s43, s1
	v_mov_b32_e32 v13, v11
	v_lshl_add_u64 v[10:11], s[0:1], 0, v[12:13]
	v_add_co_u32_e32 v10, vcc, 0x1000, v10
	global_store_dword v[14:15], v18, off
	global_store_dword v[14:15], v17, off offset:1024
	global_store_dword v[14:15], v16, off offset:2048
	;; [unrolled: 1-line block ×3, first 2 shown]
	s_waitcnt lgkmcnt(1)
	global_store_dwordx2 v12, v[4:5], s[0:1]
	global_store_dwordx2 v12, v[6:7], s[0:1] offset:2048
	v_addc_co_u32_e32 v11, vcc, 0, v11, vcc
	s_mov_b64 s[4:5], -1
	s_waitcnt lgkmcnt(0)
	global_store_dwordx2 v[10:11], v[0:1], off
	s_cbranch_execz .LBB74_38
	s_branch .LBB74_51
.LBB74_37:
	s_mov_b64 s[4:5], 0
.LBB74_38:
	v_cmp_gt_u32_e32 vcc, s33, v8
	s_and_saveexec_b64 s[0:1], vcc
	s_cbranch_execz .LBB74_40
; %bb.39:
	global_store_dword v[14:15], v18, off
.LBB74_40:
	s_or_b64 exec, exec, s[0:1]
	v_add_u32_e32 v10, 0x100, v8
	v_cmp_gt_u32_e64 s[0:1], s33, v10
	s_and_saveexec_b64 s[2:3], s[0:1]
	s_cbranch_execz .LBB74_42
; %bb.41:
	global_store_dword v[14:15], v17, off offset:1024
.LBB74_42:
	s_or_b64 exec, exec, s[2:3]
	v_add_u32_e32 v10, 0x200, v8
	v_cmp_gt_u32_e64 s[2:3], s33, v10
	s_and_saveexec_b64 s[4:5], s[2:3]
	s_cbranch_execz .LBB74_44
; %bb.43:
	global_store_dword v[14:15], v16, off offset:2048
.LBB74_44:
	;; [unrolled: 8-line block ×3, first 2 shown]
	s_or_b64 exec, exec, s[6:7]
	s_lshl_b64 s[6:7], s[28:29], 3
	s_add_u32 s6, s42, s6
	s_addc_u32 s7, s43, s7
	v_mov_b32_e32 v13, 0
	v_lshl_add_u64 v[8:9], s[6:7], 0, v[12:13]
	s_and_saveexec_b64 s[6:7], vcc
	s_cbranch_execnz .LBB74_57
; %bb.47:
	s_or_b64 exec, exec, s[6:7]
	s_and_saveexec_b64 s[6:7], s[0:1]
	s_cbranch_execnz .LBB74_58
.LBB74_48:
	s_or_b64 exec, exec, s[6:7]
	s_and_saveexec_b64 s[0:1], s[2:3]
	s_cbranch_execz .LBB74_50
.LBB74_49:
	s_waitcnt lgkmcnt(1)
	v_add_co_u32_e32 v4, vcc, 0x1000, v8
	s_nop 1
	v_addc_co_u32_e32 v5, vcc, 0, v9, vcc
	s_waitcnt lgkmcnt(0)
	global_store_dwordx2 v[4:5], v[0:1], off
.LBB74_50:
	s_or_b64 exec, exec, s[0:1]
.LBB74_51:
	s_and_saveexec_b64 s[0:1], s[4:5]
	s_cbranch_execnz .LBB74_53
; %bb.52:
	s_endpgm
.LBB74_53:
	s_lshl_b64 s[0:1], s[28:29], 3
	s_add_u32 s0, s42, s0
	s_addc_u32 s1, s43, s1
	v_mov_b32_e32 v13, 0
	s_waitcnt lgkmcnt(0)
	v_lshl_add_u64 v[0:1], s[0:1], 0, v[12:13]
	v_add_co_u32_e32 v0, vcc, 0x1000, v0
	s_nop 1
	v_addc_co_u32_e32 v1, vcc, 0, v1, vcc
	global_store_dwordx2 v[0:1], v[2:3], off offset:2048
	s_endpgm
.LBB74_54:
	global_load_dwordx2 v[46:47], v[6:7], off
	s_or_b64 exec, exec, s[8:9]
                                        ; implicit-def: $vgpr48_vgpr49
	s_and_saveexec_b64 s[8:9], s[2:3]
	s_cbranch_execz .LBB74_13
.LBB74_55:
	global_load_dwordx2 v[48:49], v[6:7], off offset:512
	s_or_b64 exec, exec, s[8:9]
                                        ; implicit-def: $vgpr50_vgpr51
	s_and_saveexec_b64 s[2:3], s[4:5]
	s_cbranch_execz .LBB74_14
.LBB74_56:
	global_load_dwordx2 v[50:51], v[6:7], off offset:1024
	s_or_b64 exec, exec, s[2:3]
                                        ; implicit-def: $vgpr52_vgpr53
	s_and_saveexec_b64 s[2:3], s[6:7]
	s_cbranch_execnz .LBB74_15
	s_branch .LBB74_16
.LBB74_57:
	s_waitcnt lgkmcnt(1)
	global_store_dwordx2 v[8:9], v[4:5], off
	s_or_b64 exec, exec, s[6:7]
	s_and_saveexec_b64 s[6:7], s[0:1]
	s_cbranch_execz .LBB74_48
.LBB74_58:
	s_waitcnt lgkmcnt(1)
	global_store_dwordx2 v[8:9], v[6:7], off offset:2048
	s_or_b64 exec, exec, s[6:7]
	s_and_saveexec_b64 s[0:1], s[2:3]
	s_cbranch_execnz .LBB74_49
	s_branch .LBB74_50
	.section	.rodata,"a",@progbits
	.p2align	6, 0x0
	.amdhsa_kernel _ZN7rocprim17ROCPRIM_304000_NS6detail28radix_sort_block_sort_kernelINS1_36wrapped_radix_sort_block_sort_configINS0_13kernel_configILj256ELj4ELj4294967295EEEiN2at4cuda3cub6detail10OpaqueTypeILi8EEEEELb1EPKiPiPKSB_PSB_NS0_19identity_decomposerEEEvT1_T2_T3_T4_jT5_jj
		.amdhsa_group_segment_fixed_size 8192
		.amdhsa_private_segment_fixed_size 0
		.amdhsa_kernarg_size 304
		.amdhsa_user_sgpr_count 2
		.amdhsa_user_sgpr_dispatch_ptr 0
		.amdhsa_user_sgpr_queue_ptr 0
		.amdhsa_user_sgpr_kernarg_segment_ptr 1
		.amdhsa_user_sgpr_dispatch_id 0
		.amdhsa_user_sgpr_kernarg_preload_length 0
		.amdhsa_user_sgpr_kernarg_preload_offset 0
		.amdhsa_user_sgpr_private_segment_size 0
		.amdhsa_uses_dynamic_stack 0
		.amdhsa_enable_private_segment 0
		.amdhsa_system_sgpr_workgroup_id_x 1
		.amdhsa_system_sgpr_workgroup_id_y 0
		.amdhsa_system_sgpr_workgroup_id_z 0
		.amdhsa_system_sgpr_workgroup_info 0
		.amdhsa_system_vgpr_workitem_id 2
		.amdhsa_next_free_vgpr 54
		.amdhsa_next_free_sgpr 46
		.amdhsa_accum_offset 56
		.amdhsa_reserve_vcc 1
		.amdhsa_float_round_mode_32 0
		.amdhsa_float_round_mode_16_64 0
		.amdhsa_float_denorm_mode_32 3
		.amdhsa_float_denorm_mode_16_64 3
		.amdhsa_dx10_clamp 1
		.amdhsa_ieee_mode 1
		.amdhsa_fp16_overflow 0
		.amdhsa_tg_split 0
		.amdhsa_exception_fp_ieee_invalid_op 0
		.amdhsa_exception_fp_denorm_src 0
		.amdhsa_exception_fp_ieee_div_zero 0
		.amdhsa_exception_fp_ieee_overflow 0
		.amdhsa_exception_fp_ieee_underflow 0
		.amdhsa_exception_fp_ieee_inexact 0
		.amdhsa_exception_int_div_zero 0
	.end_amdhsa_kernel
	.section	.text._ZN7rocprim17ROCPRIM_304000_NS6detail28radix_sort_block_sort_kernelINS1_36wrapped_radix_sort_block_sort_configINS0_13kernel_configILj256ELj4ELj4294967295EEEiN2at4cuda3cub6detail10OpaqueTypeILi8EEEEELb1EPKiPiPKSB_PSB_NS0_19identity_decomposerEEEvT1_T2_T3_T4_jT5_jj,"axG",@progbits,_ZN7rocprim17ROCPRIM_304000_NS6detail28radix_sort_block_sort_kernelINS1_36wrapped_radix_sort_block_sort_configINS0_13kernel_configILj256ELj4ELj4294967295EEEiN2at4cuda3cub6detail10OpaqueTypeILi8EEEEELb1EPKiPiPKSB_PSB_NS0_19identity_decomposerEEEvT1_T2_T3_T4_jT5_jj,comdat
.Lfunc_end74:
	.size	_ZN7rocprim17ROCPRIM_304000_NS6detail28radix_sort_block_sort_kernelINS1_36wrapped_radix_sort_block_sort_configINS0_13kernel_configILj256ELj4ELj4294967295EEEiN2at4cuda3cub6detail10OpaqueTypeILi8EEEEELb1EPKiPiPKSB_PSB_NS0_19identity_decomposerEEEvT1_T2_T3_T4_jT5_jj, .Lfunc_end74-_ZN7rocprim17ROCPRIM_304000_NS6detail28radix_sort_block_sort_kernelINS1_36wrapped_radix_sort_block_sort_configINS0_13kernel_configILj256ELj4ELj4294967295EEEiN2at4cuda3cub6detail10OpaqueTypeILi8EEEEELb1EPKiPiPKSB_PSB_NS0_19identity_decomposerEEEvT1_T2_T3_T4_jT5_jj
                                        ; -- End function
	.set _ZN7rocprim17ROCPRIM_304000_NS6detail28radix_sort_block_sort_kernelINS1_36wrapped_radix_sort_block_sort_configINS0_13kernel_configILj256ELj4ELj4294967295EEEiN2at4cuda3cub6detail10OpaqueTypeILi8EEEEELb1EPKiPiPKSB_PSB_NS0_19identity_decomposerEEEvT1_T2_T3_T4_jT5_jj.num_vgpr, 54
	.set _ZN7rocprim17ROCPRIM_304000_NS6detail28radix_sort_block_sort_kernelINS1_36wrapped_radix_sort_block_sort_configINS0_13kernel_configILj256ELj4ELj4294967295EEEiN2at4cuda3cub6detail10OpaqueTypeILi8EEEEELb1EPKiPiPKSB_PSB_NS0_19identity_decomposerEEEvT1_T2_T3_T4_jT5_jj.num_agpr, 0
	.set _ZN7rocprim17ROCPRIM_304000_NS6detail28radix_sort_block_sort_kernelINS1_36wrapped_radix_sort_block_sort_configINS0_13kernel_configILj256ELj4ELj4294967295EEEiN2at4cuda3cub6detail10OpaqueTypeILi8EEEEELb1EPKiPiPKSB_PSB_NS0_19identity_decomposerEEEvT1_T2_T3_T4_jT5_jj.numbered_sgpr, 46
	.set _ZN7rocprim17ROCPRIM_304000_NS6detail28radix_sort_block_sort_kernelINS1_36wrapped_radix_sort_block_sort_configINS0_13kernel_configILj256ELj4ELj4294967295EEEiN2at4cuda3cub6detail10OpaqueTypeILi8EEEEELb1EPKiPiPKSB_PSB_NS0_19identity_decomposerEEEvT1_T2_T3_T4_jT5_jj.num_named_barrier, 0
	.set _ZN7rocprim17ROCPRIM_304000_NS6detail28radix_sort_block_sort_kernelINS1_36wrapped_radix_sort_block_sort_configINS0_13kernel_configILj256ELj4ELj4294967295EEEiN2at4cuda3cub6detail10OpaqueTypeILi8EEEEELb1EPKiPiPKSB_PSB_NS0_19identity_decomposerEEEvT1_T2_T3_T4_jT5_jj.private_seg_size, 0
	.set _ZN7rocprim17ROCPRIM_304000_NS6detail28radix_sort_block_sort_kernelINS1_36wrapped_radix_sort_block_sort_configINS0_13kernel_configILj256ELj4ELj4294967295EEEiN2at4cuda3cub6detail10OpaqueTypeILi8EEEEELb1EPKiPiPKSB_PSB_NS0_19identity_decomposerEEEvT1_T2_T3_T4_jT5_jj.uses_vcc, 1
	.set _ZN7rocprim17ROCPRIM_304000_NS6detail28radix_sort_block_sort_kernelINS1_36wrapped_radix_sort_block_sort_configINS0_13kernel_configILj256ELj4ELj4294967295EEEiN2at4cuda3cub6detail10OpaqueTypeILi8EEEEELb1EPKiPiPKSB_PSB_NS0_19identity_decomposerEEEvT1_T2_T3_T4_jT5_jj.uses_flat_scratch, 0
	.set _ZN7rocprim17ROCPRIM_304000_NS6detail28radix_sort_block_sort_kernelINS1_36wrapped_radix_sort_block_sort_configINS0_13kernel_configILj256ELj4ELj4294967295EEEiN2at4cuda3cub6detail10OpaqueTypeILi8EEEEELb1EPKiPiPKSB_PSB_NS0_19identity_decomposerEEEvT1_T2_T3_T4_jT5_jj.has_dyn_sized_stack, 0
	.set _ZN7rocprim17ROCPRIM_304000_NS6detail28radix_sort_block_sort_kernelINS1_36wrapped_radix_sort_block_sort_configINS0_13kernel_configILj256ELj4ELj4294967295EEEiN2at4cuda3cub6detail10OpaqueTypeILi8EEEEELb1EPKiPiPKSB_PSB_NS0_19identity_decomposerEEEvT1_T2_T3_T4_jT5_jj.has_recursion, 0
	.set _ZN7rocprim17ROCPRIM_304000_NS6detail28radix_sort_block_sort_kernelINS1_36wrapped_radix_sort_block_sort_configINS0_13kernel_configILj256ELj4ELj4294967295EEEiN2at4cuda3cub6detail10OpaqueTypeILi8EEEEELb1EPKiPiPKSB_PSB_NS0_19identity_decomposerEEEvT1_T2_T3_T4_jT5_jj.has_indirect_call, 0
	.section	.AMDGPU.csdata,"",@progbits
; Kernel info:
; codeLenInByte = 3940
; TotalNumSgprs: 52
; NumVgprs: 54
; NumAgprs: 0
; TotalNumVgprs: 54
; ScratchSize: 0
; MemoryBound: 0
; FloatMode: 240
; IeeeMode: 1
; LDSByteSize: 8192 bytes/workgroup (compile time only)
; SGPRBlocks: 6
; VGPRBlocks: 6
; NumSGPRsForWavesPerEU: 52
; NumVGPRsForWavesPerEU: 54
; AccumOffset: 56
; Occupancy: 8
; WaveLimiterHint : 1
; COMPUTE_PGM_RSRC2:SCRATCH_EN: 0
; COMPUTE_PGM_RSRC2:USER_SGPR: 2
; COMPUTE_PGM_RSRC2:TRAP_HANDLER: 0
; COMPUTE_PGM_RSRC2:TGID_X_EN: 1
; COMPUTE_PGM_RSRC2:TGID_Y_EN: 0
; COMPUTE_PGM_RSRC2:TGID_Z_EN: 0
; COMPUTE_PGM_RSRC2:TIDIG_COMP_CNT: 2
; COMPUTE_PGM_RSRC3_GFX90A:ACCUM_OFFSET: 13
; COMPUTE_PGM_RSRC3_GFX90A:TG_SPLIT: 0
	.section	.text._ZN7rocprim17ROCPRIM_304000_NS6detail39device_merge_sort_compile_time_verifierINS1_36wrapped_merge_sort_block_sort_configINS1_28merge_sort_block_sort_configILj256ELj4ELNS0_20block_sort_algorithmE0EEEiN2at4cuda3cub6detail10OpaqueTypeILi8EEEEENS1_37wrapped_merge_sort_block_merge_configINS0_14default_configEiSC_EEEEvv,"axG",@progbits,_ZN7rocprim17ROCPRIM_304000_NS6detail39device_merge_sort_compile_time_verifierINS1_36wrapped_merge_sort_block_sort_configINS1_28merge_sort_block_sort_configILj256ELj4ELNS0_20block_sort_algorithmE0EEEiN2at4cuda3cub6detail10OpaqueTypeILi8EEEEENS1_37wrapped_merge_sort_block_merge_configINS0_14default_configEiSC_EEEEvv,comdat
	.protected	_ZN7rocprim17ROCPRIM_304000_NS6detail39device_merge_sort_compile_time_verifierINS1_36wrapped_merge_sort_block_sort_configINS1_28merge_sort_block_sort_configILj256ELj4ELNS0_20block_sort_algorithmE0EEEiN2at4cuda3cub6detail10OpaqueTypeILi8EEEEENS1_37wrapped_merge_sort_block_merge_configINS0_14default_configEiSC_EEEEvv ; -- Begin function _ZN7rocprim17ROCPRIM_304000_NS6detail39device_merge_sort_compile_time_verifierINS1_36wrapped_merge_sort_block_sort_configINS1_28merge_sort_block_sort_configILj256ELj4ELNS0_20block_sort_algorithmE0EEEiN2at4cuda3cub6detail10OpaqueTypeILi8EEEEENS1_37wrapped_merge_sort_block_merge_configINS0_14default_configEiSC_EEEEvv
	.globl	_ZN7rocprim17ROCPRIM_304000_NS6detail39device_merge_sort_compile_time_verifierINS1_36wrapped_merge_sort_block_sort_configINS1_28merge_sort_block_sort_configILj256ELj4ELNS0_20block_sort_algorithmE0EEEiN2at4cuda3cub6detail10OpaqueTypeILi8EEEEENS1_37wrapped_merge_sort_block_merge_configINS0_14default_configEiSC_EEEEvv
	.p2align	8
	.type	_ZN7rocprim17ROCPRIM_304000_NS6detail39device_merge_sort_compile_time_verifierINS1_36wrapped_merge_sort_block_sort_configINS1_28merge_sort_block_sort_configILj256ELj4ELNS0_20block_sort_algorithmE0EEEiN2at4cuda3cub6detail10OpaqueTypeILi8EEEEENS1_37wrapped_merge_sort_block_merge_configINS0_14default_configEiSC_EEEEvv,@function
_ZN7rocprim17ROCPRIM_304000_NS6detail39device_merge_sort_compile_time_verifierINS1_36wrapped_merge_sort_block_sort_configINS1_28merge_sort_block_sort_configILj256ELj4ELNS0_20block_sort_algorithmE0EEEiN2at4cuda3cub6detail10OpaqueTypeILi8EEEEENS1_37wrapped_merge_sort_block_merge_configINS0_14default_configEiSC_EEEEvv: ; @_ZN7rocprim17ROCPRIM_304000_NS6detail39device_merge_sort_compile_time_verifierINS1_36wrapped_merge_sort_block_sort_configINS1_28merge_sort_block_sort_configILj256ELj4ELNS0_20block_sort_algorithmE0EEEiN2at4cuda3cub6detail10OpaqueTypeILi8EEEEENS1_37wrapped_merge_sort_block_merge_configINS0_14default_configEiSC_EEEEvv
; %bb.0:
	s_endpgm
	.section	.rodata,"a",@progbits
	.p2align	6, 0x0
	.amdhsa_kernel _ZN7rocprim17ROCPRIM_304000_NS6detail39device_merge_sort_compile_time_verifierINS1_36wrapped_merge_sort_block_sort_configINS1_28merge_sort_block_sort_configILj256ELj4ELNS0_20block_sort_algorithmE0EEEiN2at4cuda3cub6detail10OpaqueTypeILi8EEEEENS1_37wrapped_merge_sort_block_merge_configINS0_14default_configEiSC_EEEEvv
		.amdhsa_group_segment_fixed_size 0
		.amdhsa_private_segment_fixed_size 0
		.amdhsa_kernarg_size 0
		.amdhsa_user_sgpr_count 0
		.amdhsa_user_sgpr_dispatch_ptr 0
		.amdhsa_user_sgpr_queue_ptr 0
		.amdhsa_user_sgpr_kernarg_segment_ptr 0
		.amdhsa_user_sgpr_dispatch_id 0
		.amdhsa_user_sgpr_kernarg_preload_length 0
		.amdhsa_user_sgpr_kernarg_preload_offset 0
		.amdhsa_user_sgpr_private_segment_size 0
		.amdhsa_uses_dynamic_stack 0
		.amdhsa_enable_private_segment 0
		.amdhsa_system_sgpr_workgroup_id_x 1
		.amdhsa_system_sgpr_workgroup_id_y 0
		.amdhsa_system_sgpr_workgroup_id_z 0
		.amdhsa_system_sgpr_workgroup_info 0
		.amdhsa_system_vgpr_workitem_id 0
		.amdhsa_next_free_vgpr 1
		.amdhsa_next_free_sgpr 0
		.amdhsa_accum_offset 4
		.amdhsa_reserve_vcc 0
		.amdhsa_float_round_mode_32 0
		.amdhsa_float_round_mode_16_64 0
		.amdhsa_float_denorm_mode_32 3
		.amdhsa_float_denorm_mode_16_64 3
		.amdhsa_dx10_clamp 1
		.amdhsa_ieee_mode 1
		.amdhsa_fp16_overflow 0
		.amdhsa_tg_split 0
		.amdhsa_exception_fp_ieee_invalid_op 0
		.amdhsa_exception_fp_denorm_src 0
		.amdhsa_exception_fp_ieee_div_zero 0
		.amdhsa_exception_fp_ieee_overflow 0
		.amdhsa_exception_fp_ieee_underflow 0
		.amdhsa_exception_fp_ieee_inexact 0
		.amdhsa_exception_int_div_zero 0
	.end_amdhsa_kernel
	.section	.text._ZN7rocprim17ROCPRIM_304000_NS6detail39device_merge_sort_compile_time_verifierINS1_36wrapped_merge_sort_block_sort_configINS1_28merge_sort_block_sort_configILj256ELj4ELNS0_20block_sort_algorithmE0EEEiN2at4cuda3cub6detail10OpaqueTypeILi8EEEEENS1_37wrapped_merge_sort_block_merge_configINS0_14default_configEiSC_EEEEvv,"axG",@progbits,_ZN7rocprim17ROCPRIM_304000_NS6detail39device_merge_sort_compile_time_verifierINS1_36wrapped_merge_sort_block_sort_configINS1_28merge_sort_block_sort_configILj256ELj4ELNS0_20block_sort_algorithmE0EEEiN2at4cuda3cub6detail10OpaqueTypeILi8EEEEENS1_37wrapped_merge_sort_block_merge_configINS0_14default_configEiSC_EEEEvv,comdat
.Lfunc_end75:
	.size	_ZN7rocprim17ROCPRIM_304000_NS6detail39device_merge_sort_compile_time_verifierINS1_36wrapped_merge_sort_block_sort_configINS1_28merge_sort_block_sort_configILj256ELj4ELNS0_20block_sort_algorithmE0EEEiN2at4cuda3cub6detail10OpaqueTypeILi8EEEEENS1_37wrapped_merge_sort_block_merge_configINS0_14default_configEiSC_EEEEvv, .Lfunc_end75-_ZN7rocprim17ROCPRIM_304000_NS6detail39device_merge_sort_compile_time_verifierINS1_36wrapped_merge_sort_block_sort_configINS1_28merge_sort_block_sort_configILj256ELj4ELNS0_20block_sort_algorithmE0EEEiN2at4cuda3cub6detail10OpaqueTypeILi8EEEEENS1_37wrapped_merge_sort_block_merge_configINS0_14default_configEiSC_EEEEvv
                                        ; -- End function
	.set _ZN7rocprim17ROCPRIM_304000_NS6detail39device_merge_sort_compile_time_verifierINS1_36wrapped_merge_sort_block_sort_configINS1_28merge_sort_block_sort_configILj256ELj4ELNS0_20block_sort_algorithmE0EEEiN2at4cuda3cub6detail10OpaqueTypeILi8EEEEENS1_37wrapped_merge_sort_block_merge_configINS0_14default_configEiSC_EEEEvv.num_vgpr, 0
	.set _ZN7rocprim17ROCPRIM_304000_NS6detail39device_merge_sort_compile_time_verifierINS1_36wrapped_merge_sort_block_sort_configINS1_28merge_sort_block_sort_configILj256ELj4ELNS0_20block_sort_algorithmE0EEEiN2at4cuda3cub6detail10OpaqueTypeILi8EEEEENS1_37wrapped_merge_sort_block_merge_configINS0_14default_configEiSC_EEEEvv.num_agpr, 0
	.set _ZN7rocprim17ROCPRIM_304000_NS6detail39device_merge_sort_compile_time_verifierINS1_36wrapped_merge_sort_block_sort_configINS1_28merge_sort_block_sort_configILj256ELj4ELNS0_20block_sort_algorithmE0EEEiN2at4cuda3cub6detail10OpaqueTypeILi8EEEEENS1_37wrapped_merge_sort_block_merge_configINS0_14default_configEiSC_EEEEvv.numbered_sgpr, 0
	.set _ZN7rocprim17ROCPRIM_304000_NS6detail39device_merge_sort_compile_time_verifierINS1_36wrapped_merge_sort_block_sort_configINS1_28merge_sort_block_sort_configILj256ELj4ELNS0_20block_sort_algorithmE0EEEiN2at4cuda3cub6detail10OpaqueTypeILi8EEEEENS1_37wrapped_merge_sort_block_merge_configINS0_14default_configEiSC_EEEEvv.num_named_barrier, 0
	.set _ZN7rocprim17ROCPRIM_304000_NS6detail39device_merge_sort_compile_time_verifierINS1_36wrapped_merge_sort_block_sort_configINS1_28merge_sort_block_sort_configILj256ELj4ELNS0_20block_sort_algorithmE0EEEiN2at4cuda3cub6detail10OpaqueTypeILi8EEEEENS1_37wrapped_merge_sort_block_merge_configINS0_14default_configEiSC_EEEEvv.private_seg_size, 0
	.set _ZN7rocprim17ROCPRIM_304000_NS6detail39device_merge_sort_compile_time_verifierINS1_36wrapped_merge_sort_block_sort_configINS1_28merge_sort_block_sort_configILj256ELj4ELNS0_20block_sort_algorithmE0EEEiN2at4cuda3cub6detail10OpaqueTypeILi8EEEEENS1_37wrapped_merge_sort_block_merge_configINS0_14default_configEiSC_EEEEvv.uses_vcc, 0
	.set _ZN7rocprim17ROCPRIM_304000_NS6detail39device_merge_sort_compile_time_verifierINS1_36wrapped_merge_sort_block_sort_configINS1_28merge_sort_block_sort_configILj256ELj4ELNS0_20block_sort_algorithmE0EEEiN2at4cuda3cub6detail10OpaqueTypeILi8EEEEENS1_37wrapped_merge_sort_block_merge_configINS0_14default_configEiSC_EEEEvv.uses_flat_scratch, 0
	.set _ZN7rocprim17ROCPRIM_304000_NS6detail39device_merge_sort_compile_time_verifierINS1_36wrapped_merge_sort_block_sort_configINS1_28merge_sort_block_sort_configILj256ELj4ELNS0_20block_sort_algorithmE0EEEiN2at4cuda3cub6detail10OpaqueTypeILi8EEEEENS1_37wrapped_merge_sort_block_merge_configINS0_14default_configEiSC_EEEEvv.has_dyn_sized_stack, 0
	.set _ZN7rocprim17ROCPRIM_304000_NS6detail39device_merge_sort_compile_time_verifierINS1_36wrapped_merge_sort_block_sort_configINS1_28merge_sort_block_sort_configILj256ELj4ELNS0_20block_sort_algorithmE0EEEiN2at4cuda3cub6detail10OpaqueTypeILi8EEEEENS1_37wrapped_merge_sort_block_merge_configINS0_14default_configEiSC_EEEEvv.has_recursion, 0
	.set _ZN7rocprim17ROCPRIM_304000_NS6detail39device_merge_sort_compile_time_verifierINS1_36wrapped_merge_sort_block_sort_configINS1_28merge_sort_block_sort_configILj256ELj4ELNS0_20block_sort_algorithmE0EEEiN2at4cuda3cub6detail10OpaqueTypeILi8EEEEENS1_37wrapped_merge_sort_block_merge_configINS0_14default_configEiSC_EEEEvv.has_indirect_call, 0
	.section	.AMDGPU.csdata,"",@progbits
; Kernel info:
; codeLenInByte = 4
; TotalNumSgprs: 6
; NumVgprs: 0
; NumAgprs: 0
; TotalNumVgprs: 0
; ScratchSize: 0
; MemoryBound: 0
; FloatMode: 240
; IeeeMode: 1
; LDSByteSize: 0 bytes/workgroup (compile time only)
; SGPRBlocks: 0
; VGPRBlocks: 0
; NumSGPRsForWavesPerEU: 6
; NumVGPRsForWavesPerEU: 1
; AccumOffset: 4
; Occupancy: 8
; WaveLimiterHint : 0
; COMPUTE_PGM_RSRC2:SCRATCH_EN: 0
; COMPUTE_PGM_RSRC2:USER_SGPR: 0
; COMPUTE_PGM_RSRC2:TRAP_HANDLER: 0
; COMPUTE_PGM_RSRC2:TGID_X_EN: 1
; COMPUTE_PGM_RSRC2:TGID_Y_EN: 0
; COMPUTE_PGM_RSRC2:TGID_Z_EN: 0
; COMPUTE_PGM_RSRC2:TIDIG_COMP_CNT: 0
; COMPUTE_PGM_RSRC3_GFX90A:ACCUM_OFFSET: 0
; COMPUTE_PGM_RSRC3_GFX90A:TG_SPLIT: 0
	.section	.text._ZN7rocprim17ROCPRIM_304000_NS6detail45device_block_merge_mergepath_partition_kernelINS1_37wrapped_merge_sort_block_merge_configINS0_14default_configEiN2at4cuda3cub6detail10OpaqueTypeILi8EEEEEPijNS1_19radix_merge_compareILb1ELb0EiNS0_19identity_decomposerEEEEEvT0_T1_jPSH_T2_SH_,"axG",@progbits,_ZN7rocprim17ROCPRIM_304000_NS6detail45device_block_merge_mergepath_partition_kernelINS1_37wrapped_merge_sort_block_merge_configINS0_14default_configEiN2at4cuda3cub6detail10OpaqueTypeILi8EEEEEPijNS1_19radix_merge_compareILb1ELb0EiNS0_19identity_decomposerEEEEEvT0_T1_jPSH_T2_SH_,comdat
	.protected	_ZN7rocprim17ROCPRIM_304000_NS6detail45device_block_merge_mergepath_partition_kernelINS1_37wrapped_merge_sort_block_merge_configINS0_14default_configEiN2at4cuda3cub6detail10OpaqueTypeILi8EEEEEPijNS1_19radix_merge_compareILb1ELb0EiNS0_19identity_decomposerEEEEEvT0_T1_jPSH_T2_SH_ ; -- Begin function _ZN7rocprim17ROCPRIM_304000_NS6detail45device_block_merge_mergepath_partition_kernelINS1_37wrapped_merge_sort_block_merge_configINS0_14default_configEiN2at4cuda3cub6detail10OpaqueTypeILi8EEEEEPijNS1_19radix_merge_compareILb1ELb0EiNS0_19identity_decomposerEEEEEvT0_T1_jPSH_T2_SH_
	.globl	_ZN7rocprim17ROCPRIM_304000_NS6detail45device_block_merge_mergepath_partition_kernelINS1_37wrapped_merge_sort_block_merge_configINS0_14default_configEiN2at4cuda3cub6detail10OpaqueTypeILi8EEEEEPijNS1_19radix_merge_compareILb1ELb0EiNS0_19identity_decomposerEEEEEvT0_T1_jPSH_T2_SH_
	.p2align	8
	.type	_ZN7rocprim17ROCPRIM_304000_NS6detail45device_block_merge_mergepath_partition_kernelINS1_37wrapped_merge_sort_block_merge_configINS0_14default_configEiN2at4cuda3cub6detail10OpaqueTypeILi8EEEEEPijNS1_19radix_merge_compareILb1ELb0EiNS0_19identity_decomposerEEEEEvT0_T1_jPSH_T2_SH_,@function
_ZN7rocprim17ROCPRIM_304000_NS6detail45device_block_merge_mergepath_partition_kernelINS1_37wrapped_merge_sort_block_merge_configINS0_14default_configEiN2at4cuda3cub6detail10OpaqueTypeILi8EEEEEPijNS1_19radix_merge_compareILb1ELb0EiNS0_19identity_decomposerEEEEEvT0_T1_jPSH_T2_SH_: ; @_ZN7rocprim17ROCPRIM_304000_NS6detail45device_block_merge_mergepath_partition_kernelINS1_37wrapped_merge_sort_block_merge_configINS0_14default_configEiN2at4cuda3cub6detail10OpaqueTypeILi8EEEEEPijNS1_19radix_merge_compareILb1ELb0EiNS0_19identity_decomposerEEEEEvT0_T1_jPSH_T2_SH_
; %bb.0:
	s_load_dwordx2 s[4:5], s[0:1], 0x8
	v_lshl_or_b32 v0, s2, 7, v0
	s_waitcnt lgkmcnt(0)
	v_cmp_gt_u32_e32 vcc, s5, v0
	s_and_saveexec_b64 s[2:3], vcc
	s_cbranch_execz .LBB76_6
; %bb.1:
	s_load_dword s2, s[0:1], 0x1c
	s_waitcnt lgkmcnt(0)
	s_lshr_b32 s3, s2, 9
	s_and_b32 s3, s3, 0x7ffffe
	s_add_i32 s5, s3, -1
	s_sub_i32 s3, 0, s3
	v_and_b32_e32 v1, s3, v0
	v_and_b32_e32 v2, s5, v0
	v_lshlrev_b32_e32 v1, 10, v1
	v_lshlrev_b32_e32 v3, 10, v2
	v_min_u32_e32 v2, s4, v1
	v_add_u32_e32 v1, s2, v1
	v_min_u32_e32 v4, s4, v1
	v_add_u32_e32 v1, s2, v4
	v_min_u32_e32 v1, s4, v1
	v_sub_u32_e32 v5, v1, v2
	v_min_u32_e32 v10, v5, v3
	v_sub_u32_e32 v3, v4, v2
	v_sub_u32_e32 v1, v1, v4
	v_sub_u32_e64 v1, v10, v1 clamp
	v_min_u32_e32 v11, v10, v3
	v_cmp_lt_u32_e32 vcc, v1, v11
	s_and_saveexec_b64 s[2:3], vcc
	s_cbranch_execz .LBB76_5
; %bb.2:
	s_load_dwordx2 s[4:5], s[0:1], 0x0
	v_mov_b32_e32 v5, 0
	v_mov_b32_e32 v3, v5
	s_waitcnt lgkmcnt(0)
	v_lshl_add_u64 v[6:7], v[2:3], 2, s[4:5]
	v_lshl_add_u64 v[8:9], v[4:5], 2, s[4:5]
	s_mov_b64 s[4:5], 0
.LBB76_3:                               ; =>This Inner Loop Header: Depth=1
	v_add_u32_e32 v3, v11, v1
	v_lshrrev_b32_e32 v4, 1, v3
	v_mov_b32_e32 v13, v5
	v_xad_u32 v12, v4, -1, v10
	v_lshl_add_u64 v[14:15], v[4:5], 2, v[6:7]
	v_lshl_add_u64 v[12:13], v[12:13], 2, v[8:9]
	global_load_dword v3, v[14:15], off
	global_load_dword v16, v[12:13], off
	v_add_u32_e32 v12, 1, v4
	s_waitcnt vmcnt(0)
	v_cmp_gt_i32_e32 vcc, v16, v3
	s_nop 1
	v_cndmask_b32_e32 v11, v11, v4, vcc
	v_cndmask_b32_e32 v1, v12, v1, vcc
	v_cmp_ge_u32_e32 vcc, v1, v11
	s_or_b64 s[4:5], vcc, s[4:5]
	s_andn2_b64 exec, exec, s[4:5]
	s_cbranch_execnz .LBB76_3
; %bb.4:
	s_or_b64 exec, exec, s[4:5]
.LBB76_5:
	s_or_b64 exec, exec, s[2:3]
	s_load_dwordx2 s[0:1], s[0:1], 0x10
	v_add_u32_e32 v2, v1, v2
	v_mov_b32_e32 v1, 0
	s_waitcnt lgkmcnt(0)
	v_lshl_add_u64 v[0:1], v[0:1], 2, s[0:1]
	global_store_dword v[0:1], v2, off
.LBB76_6:
	s_endpgm
	.section	.rodata,"a",@progbits
	.p2align	6, 0x0
	.amdhsa_kernel _ZN7rocprim17ROCPRIM_304000_NS6detail45device_block_merge_mergepath_partition_kernelINS1_37wrapped_merge_sort_block_merge_configINS0_14default_configEiN2at4cuda3cub6detail10OpaqueTypeILi8EEEEEPijNS1_19radix_merge_compareILb1ELb0EiNS0_19identity_decomposerEEEEEvT0_T1_jPSH_T2_SH_
		.amdhsa_group_segment_fixed_size 0
		.amdhsa_private_segment_fixed_size 0
		.amdhsa_kernarg_size 32
		.amdhsa_user_sgpr_count 2
		.amdhsa_user_sgpr_dispatch_ptr 0
		.amdhsa_user_sgpr_queue_ptr 0
		.amdhsa_user_sgpr_kernarg_segment_ptr 1
		.amdhsa_user_sgpr_dispatch_id 0
		.amdhsa_user_sgpr_kernarg_preload_length 0
		.amdhsa_user_sgpr_kernarg_preload_offset 0
		.amdhsa_user_sgpr_private_segment_size 0
		.amdhsa_uses_dynamic_stack 0
		.amdhsa_enable_private_segment 0
		.amdhsa_system_sgpr_workgroup_id_x 1
		.amdhsa_system_sgpr_workgroup_id_y 0
		.amdhsa_system_sgpr_workgroup_id_z 0
		.amdhsa_system_sgpr_workgroup_info 0
		.amdhsa_system_vgpr_workitem_id 0
		.amdhsa_next_free_vgpr 17
		.amdhsa_next_free_sgpr 6
		.amdhsa_accum_offset 20
		.amdhsa_reserve_vcc 1
		.amdhsa_float_round_mode_32 0
		.amdhsa_float_round_mode_16_64 0
		.amdhsa_float_denorm_mode_32 3
		.amdhsa_float_denorm_mode_16_64 3
		.amdhsa_dx10_clamp 1
		.amdhsa_ieee_mode 1
		.amdhsa_fp16_overflow 0
		.amdhsa_tg_split 0
		.amdhsa_exception_fp_ieee_invalid_op 0
		.amdhsa_exception_fp_denorm_src 0
		.amdhsa_exception_fp_ieee_div_zero 0
		.amdhsa_exception_fp_ieee_overflow 0
		.amdhsa_exception_fp_ieee_underflow 0
		.amdhsa_exception_fp_ieee_inexact 0
		.amdhsa_exception_int_div_zero 0
	.end_amdhsa_kernel
	.section	.text._ZN7rocprim17ROCPRIM_304000_NS6detail45device_block_merge_mergepath_partition_kernelINS1_37wrapped_merge_sort_block_merge_configINS0_14default_configEiN2at4cuda3cub6detail10OpaqueTypeILi8EEEEEPijNS1_19radix_merge_compareILb1ELb0EiNS0_19identity_decomposerEEEEEvT0_T1_jPSH_T2_SH_,"axG",@progbits,_ZN7rocprim17ROCPRIM_304000_NS6detail45device_block_merge_mergepath_partition_kernelINS1_37wrapped_merge_sort_block_merge_configINS0_14default_configEiN2at4cuda3cub6detail10OpaqueTypeILi8EEEEEPijNS1_19radix_merge_compareILb1ELb0EiNS0_19identity_decomposerEEEEEvT0_T1_jPSH_T2_SH_,comdat
.Lfunc_end76:
	.size	_ZN7rocprim17ROCPRIM_304000_NS6detail45device_block_merge_mergepath_partition_kernelINS1_37wrapped_merge_sort_block_merge_configINS0_14default_configEiN2at4cuda3cub6detail10OpaqueTypeILi8EEEEEPijNS1_19radix_merge_compareILb1ELb0EiNS0_19identity_decomposerEEEEEvT0_T1_jPSH_T2_SH_, .Lfunc_end76-_ZN7rocprim17ROCPRIM_304000_NS6detail45device_block_merge_mergepath_partition_kernelINS1_37wrapped_merge_sort_block_merge_configINS0_14default_configEiN2at4cuda3cub6detail10OpaqueTypeILi8EEEEEPijNS1_19radix_merge_compareILb1ELb0EiNS0_19identity_decomposerEEEEEvT0_T1_jPSH_T2_SH_
                                        ; -- End function
	.set _ZN7rocprim17ROCPRIM_304000_NS6detail45device_block_merge_mergepath_partition_kernelINS1_37wrapped_merge_sort_block_merge_configINS0_14default_configEiN2at4cuda3cub6detail10OpaqueTypeILi8EEEEEPijNS1_19radix_merge_compareILb1ELb0EiNS0_19identity_decomposerEEEEEvT0_T1_jPSH_T2_SH_.num_vgpr, 17
	.set _ZN7rocprim17ROCPRIM_304000_NS6detail45device_block_merge_mergepath_partition_kernelINS1_37wrapped_merge_sort_block_merge_configINS0_14default_configEiN2at4cuda3cub6detail10OpaqueTypeILi8EEEEEPijNS1_19radix_merge_compareILb1ELb0EiNS0_19identity_decomposerEEEEEvT0_T1_jPSH_T2_SH_.num_agpr, 0
	.set _ZN7rocprim17ROCPRIM_304000_NS6detail45device_block_merge_mergepath_partition_kernelINS1_37wrapped_merge_sort_block_merge_configINS0_14default_configEiN2at4cuda3cub6detail10OpaqueTypeILi8EEEEEPijNS1_19radix_merge_compareILb1ELb0EiNS0_19identity_decomposerEEEEEvT0_T1_jPSH_T2_SH_.numbered_sgpr, 6
	.set _ZN7rocprim17ROCPRIM_304000_NS6detail45device_block_merge_mergepath_partition_kernelINS1_37wrapped_merge_sort_block_merge_configINS0_14default_configEiN2at4cuda3cub6detail10OpaqueTypeILi8EEEEEPijNS1_19radix_merge_compareILb1ELb0EiNS0_19identity_decomposerEEEEEvT0_T1_jPSH_T2_SH_.num_named_barrier, 0
	.set _ZN7rocprim17ROCPRIM_304000_NS6detail45device_block_merge_mergepath_partition_kernelINS1_37wrapped_merge_sort_block_merge_configINS0_14default_configEiN2at4cuda3cub6detail10OpaqueTypeILi8EEEEEPijNS1_19radix_merge_compareILb1ELb0EiNS0_19identity_decomposerEEEEEvT0_T1_jPSH_T2_SH_.private_seg_size, 0
	.set _ZN7rocprim17ROCPRIM_304000_NS6detail45device_block_merge_mergepath_partition_kernelINS1_37wrapped_merge_sort_block_merge_configINS0_14default_configEiN2at4cuda3cub6detail10OpaqueTypeILi8EEEEEPijNS1_19radix_merge_compareILb1ELb0EiNS0_19identity_decomposerEEEEEvT0_T1_jPSH_T2_SH_.uses_vcc, 1
	.set _ZN7rocprim17ROCPRIM_304000_NS6detail45device_block_merge_mergepath_partition_kernelINS1_37wrapped_merge_sort_block_merge_configINS0_14default_configEiN2at4cuda3cub6detail10OpaqueTypeILi8EEEEEPijNS1_19radix_merge_compareILb1ELb0EiNS0_19identity_decomposerEEEEEvT0_T1_jPSH_T2_SH_.uses_flat_scratch, 0
	.set _ZN7rocprim17ROCPRIM_304000_NS6detail45device_block_merge_mergepath_partition_kernelINS1_37wrapped_merge_sort_block_merge_configINS0_14default_configEiN2at4cuda3cub6detail10OpaqueTypeILi8EEEEEPijNS1_19radix_merge_compareILb1ELb0EiNS0_19identity_decomposerEEEEEvT0_T1_jPSH_T2_SH_.has_dyn_sized_stack, 0
	.set _ZN7rocprim17ROCPRIM_304000_NS6detail45device_block_merge_mergepath_partition_kernelINS1_37wrapped_merge_sort_block_merge_configINS0_14default_configEiN2at4cuda3cub6detail10OpaqueTypeILi8EEEEEPijNS1_19radix_merge_compareILb1ELb0EiNS0_19identity_decomposerEEEEEvT0_T1_jPSH_T2_SH_.has_recursion, 0
	.set _ZN7rocprim17ROCPRIM_304000_NS6detail45device_block_merge_mergepath_partition_kernelINS1_37wrapped_merge_sort_block_merge_configINS0_14default_configEiN2at4cuda3cub6detail10OpaqueTypeILi8EEEEEPijNS1_19radix_merge_compareILb1ELb0EiNS0_19identity_decomposerEEEEEvT0_T1_jPSH_T2_SH_.has_indirect_call, 0
	.section	.AMDGPU.csdata,"",@progbits
; Kernel info:
; codeLenInByte = 320
; TotalNumSgprs: 12
; NumVgprs: 17
; NumAgprs: 0
; TotalNumVgprs: 17
; ScratchSize: 0
; MemoryBound: 0
; FloatMode: 240
; IeeeMode: 1
; LDSByteSize: 0 bytes/workgroup (compile time only)
; SGPRBlocks: 1
; VGPRBlocks: 2
; NumSGPRsForWavesPerEU: 12
; NumVGPRsForWavesPerEU: 17
; AccumOffset: 20
; Occupancy: 8
; WaveLimiterHint : 0
; COMPUTE_PGM_RSRC2:SCRATCH_EN: 0
; COMPUTE_PGM_RSRC2:USER_SGPR: 2
; COMPUTE_PGM_RSRC2:TRAP_HANDLER: 0
; COMPUTE_PGM_RSRC2:TGID_X_EN: 1
; COMPUTE_PGM_RSRC2:TGID_Y_EN: 0
; COMPUTE_PGM_RSRC2:TGID_Z_EN: 0
; COMPUTE_PGM_RSRC2:TIDIG_COMP_CNT: 0
; COMPUTE_PGM_RSRC3_GFX90A:ACCUM_OFFSET: 4
; COMPUTE_PGM_RSRC3_GFX90A:TG_SPLIT: 0
	.section	.text._ZN7rocprim17ROCPRIM_304000_NS6detail35device_block_merge_mergepath_kernelINS1_37wrapped_merge_sort_block_merge_configINS0_14default_configEiN2at4cuda3cub6detail10OpaqueTypeILi8EEEEEPiSC_PSA_SD_jNS1_19radix_merge_compareILb1ELb0EiNS0_19identity_decomposerEEEEEvT0_T1_T2_T3_T4_SL_jT5_PKSL_NS1_7vsmem_tE,"axG",@progbits,_ZN7rocprim17ROCPRIM_304000_NS6detail35device_block_merge_mergepath_kernelINS1_37wrapped_merge_sort_block_merge_configINS0_14default_configEiN2at4cuda3cub6detail10OpaqueTypeILi8EEEEEPiSC_PSA_SD_jNS1_19radix_merge_compareILb1ELb0EiNS0_19identity_decomposerEEEEEvT0_T1_T2_T3_T4_SL_jT5_PKSL_NS1_7vsmem_tE,comdat
	.protected	_ZN7rocprim17ROCPRIM_304000_NS6detail35device_block_merge_mergepath_kernelINS1_37wrapped_merge_sort_block_merge_configINS0_14default_configEiN2at4cuda3cub6detail10OpaqueTypeILi8EEEEEPiSC_PSA_SD_jNS1_19radix_merge_compareILb1ELb0EiNS0_19identity_decomposerEEEEEvT0_T1_T2_T3_T4_SL_jT5_PKSL_NS1_7vsmem_tE ; -- Begin function _ZN7rocprim17ROCPRIM_304000_NS6detail35device_block_merge_mergepath_kernelINS1_37wrapped_merge_sort_block_merge_configINS0_14default_configEiN2at4cuda3cub6detail10OpaqueTypeILi8EEEEEPiSC_PSA_SD_jNS1_19radix_merge_compareILb1ELb0EiNS0_19identity_decomposerEEEEEvT0_T1_T2_T3_T4_SL_jT5_PKSL_NS1_7vsmem_tE
	.globl	_ZN7rocprim17ROCPRIM_304000_NS6detail35device_block_merge_mergepath_kernelINS1_37wrapped_merge_sort_block_merge_configINS0_14default_configEiN2at4cuda3cub6detail10OpaqueTypeILi8EEEEEPiSC_PSA_SD_jNS1_19radix_merge_compareILb1ELb0EiNS0_19identity_decomposerEEEEEvT0_T1_T2_T3_T4_SL_jT5_PKSL_NS1_7vsmem_tE
	.p2align	8
	.type	_ZN7rocprim17ROCPRIM_304000_NS6detail35device_block_merge_mergepath_kernelINS1_37wrapped_merge_sort_block_merge_configINS0_14default_configEiN2at4cuda3cub6detail10OpaqueTypeILi8EEEEEPiSC_PSA_SD_jNS1_19radix_merge_compareILb1ELb0EiNS0_19identity_decomposerEEEEEvT0_T1_T2_T3_T4_SL_jT5_PKSL_NS1_7vsmem_tE,@function
_ZN7rocprim17ROCPRIM_304000_NS6detail35device_block_merge_mergepath_kernelINS1_37wrapped_merge_sort_block_merge_configINS0_14default_configEiN2at4cuda3cub6detail10OpaqueTypeILi8EEEEEPiSC_PSA_SD_jNS1_19radix_merge_compareILb1ELb0EiNS0_19identity_decomposerEEEEEvT0_T1_T2_T3_T4_SL_jT5_PKSL_NS1_7vsmem_tE: ; @_ZN7rocprim17ROCPRIM_304000_NS6detail35device_block_merge_mergepath_kernelINS1_37wrapped_merge_sort_block_merge_configINS0_14default_configEiN2at4cuda3cub6detail10OpaqueTypeILi8EEEEEPiSC_PSA_SD_jNS1_19radix_merge_compareILb1ELb0EiNS0_19identity_decomposerEEEEEvT0_T1_T2_T3_T4_SL_jT5_PKSL_NS1_7vsmem_tE
; %bb.0:
	s_load_dwordx2 s[26:27], s[0:1], 0x40
	s_load_dwordx4 s[12:15], s[0:1], 0x20
	s_add_u32 s24, s0, 64
	s_addc_u32 s25, s1, 0
	s_waitcnt lgkmcnt(0)
	s_mul_i32 s4, s27, s4
	s_add_i32 s3, s4, s3
	s_mul_i32 s3, s3, s26
	s_add_i32 s22, s3, s2
	s_cmp_ge_u32 s22, s14
	s_cbranch_scc1 .LBB77_51
; %bb.1:
	s_load_dwordx8 s[4:11], s[0:1], 0x0
	s_load_dwordx2 s[14:15], s[0:1], 0x30
	s_lshr_b32 s27, s12, 10
	s_cmp_lg_u32 s22, s27
	s_mov_b32 s23, 0
	s_cselect_b64 s[16:17], -1, 0
	s_lshl_b64 s[0:1], s[22:23], 2
	s_waitcnt lgkmcnt(0)
	s_add_u32 s0, s14, s0
	s_addc_u32 s1, s15, s1
	s_load_dwordx2 s[18:19], s[0:1], 0x0
	s_lshr_b32 s0, s13, 9
	s_and_b32 s0, s0, 0x7ffffe
	s_sub_i32 s0, 0, s0
	s_and_b32 s1, s22, s0
	s_lshl_b32 s3, s1, 10
	s_lshl_b32 s14, s22, 10
	;; [unrolled: 1-line block ×3, first 2 shown]
	s_sub_i32 s15, s14, s3
	s_add_i32 s1, s1, s13
	s_add_i32 s15, s1, s15
	s_waitcnt lgkmcnt(0)
	s_sub_i32 s20, s15, s18
	s_sub_i32 s15, s15, s19
	;; [unrolled: 1-line block ×3, first 2 shown]
	s_min_u32 s20, s12, s20
	s_addk_i32 s15, 0x400
	s_or_b32 s0, s22, s0
	s_min_u32 s3, s12, s1
	s_add_i32 s1, s1, s13
	s_cmp_eq_u32 s0, -1
	s_cselect_b32 s0, s1, s15
	s_cselect_b32 s1, s3, s19
	s_min_u32 s0, s0, s12
	s_mov_b32 s19, s23
	s_sub_i32 s13, s1, s18
	s_sub_i32 s15, s0, s20
	s_lshl_b64 s[0:1], s[18:19], 2
	s_add_u32 s0, s4, s0
	s_mov_b32 s21, s23
	s_addc_u32 s1, s5, s1
	s_lshl_b64 s[28:29], s[20:21], 2
	s_add_u32 s4, s4, s28
	s_addc_u32 s5, s5, s29
	s_cmp_lt_u32 s2, s26
	v_mov_b32_e32 v3, 0
	s_cselect_b32 s2, 12, 18
	global_load_dword v1, v3, s[24:25] offset:14
	s_add_u32 s2, s24, s2
	s_addc_u32 s3, s25, 0
	global_load_ushort v2, v3, s[2:3]
	v_cmp_gt_u32_e32 vcc, s13, v0
	s_cmp_eq_u32 s22, s27
	s_waitcnt vmcnt(1)
	v_lshrrev_b32_e32 v4, 16, v1
	v_and_b32_e32 v1, 0xffff, v1
	v_mul_lo_u32 v1, v1, v4
	s_waitcnt vmcnt(0)
	v_mul_lo_u32 v1, v1, v2
	v_lshlrev_b32_e32 v2, 2, v0
	v_add_u32_e32 v6, v1, v0
	s_cbranch_scc1 .LBB77_3
; %bb.2:
	v_subrev_u32_e32 v1, s13, v0
	v_lshlrev_b32_e32 v8, 2, v1
	v_mov_b32_e32 v9, v3
	v_lshl_add_u64 v[4:5], s[0:1], 0, v[2:3]
	v_lshl_add_u64 v[8:9], s[4:5], 0, v[8:9]
	v_cndmask_b32_e32 v5, v9, v5, vcc
	v_cndmask_b32_e32 v4, v8, v4, vcc
	v_mov_b32_e32 v7, v3
	v_subrev_co_u32_e32 v10, vcc, s13, v6
	v_mov_b32_e32 v11, v3
	v_lshl_add_u64 v[8:9], v[6:7], 2, s[0:1]
	v_lshl_add_u64 v[10:11], v[10:11], 2, s[4:5]
	v_cndmask_b32_e32 v9, v11, v9, vcc
	v_cndmask_b32_e32 v8, v10, v8, vcc
	global_load_dword v4, v[4:5], off
	s_add_i32 s22, s15, s13
	global_load_dword v1, v[8:9], off
	v_mov_b32_e32 v5, s22
	s_cbranch_execz .LBB77_4
	s_branch .LBB77_9
.LBB77_3:
                                        ; implicit-def: $vgpr1
                                        ; implicit-def: $vgpr5
                                        ; implicit-def: $vgpr4
.LBB77_4:
	s_add_i32 s22, s15, s13
	v_cmp_gt_u32_e32 vcc, s22, v0
	s_waitcnt vmcnt(0)
	v_mov_b32_e32 v1, 0
	v_mov_b32_e32 v4, 0
	s_and_saveexec_b64 s[2:3], vcc
	s_cbranch_execz .LBB77_6
; %bb.5:
	v_mov_b32_e32 v3, 0
	v_subrev_u32_e32 v7, s13, v0
	v_lshlrev_b32_e32 v8, 2, v7
	v_mov_b32_e32 v9, v3
	v_lshl_add_u64 v[4:5], s[0:1], 0, v[2:3]
	v_lshl_add_u64 v[8:9], s[4:5], 0, v[8:9]
	v_cmp_gt_u32_e32 vcc, s13, v0
	s_nop 1
	v_cndmask_b32_e32 v5, v9, v5, vcc
	v_cndmask_b32_e32 v4, v8, v4, vcc
	global_load_dword v4, v[4:5], off
.LBB77_6:
	s_or_b64 exec, exec, s[2:3]
	v_cmp_gt_u32_e32 vcc, s22, v6
	s_and_saveexec_b64 s[2:3], vcc
	s_cbranch_execz .LBB77_8
; %bb.7:
	v_mov_b32_e32 v7, 0
	v_lshl_add_u64 v[8:9], v[6:7], 2, s[0:1]
	v_subrev_co_u32_e32 v6, vcc, s13, v6
	v_lshl_add_u64 v[6:7], v[6:7], 2, s[4:5]
	s_nop 0
	v_cndmask_b32_e32 v7, v7, v9, vcc
	v_cndmask_b32_e32 v6, v6, v8, vcc
	global_load_dword v1, v[6:7], off
.LBB77_8:
	s_or_b64 exec, exec, s[2:3]
	v_mov_b32_e32 v5, s22
.LBB77_9:
	v_lshlrev_b32_e32 v3, 1, v0
	v_min_u32_e32 v7, v5, v3
	v_sub_u32_e64 v6, v7, s15 clamp
	v_min_u32_e32 v8, s13, v7
	v_cmp_lt_u32_e32 vcc, v6, v8
	s_waitcnt vmcnt(0)
	ds_write2st64_b32 v2, v4, v1 offset1:8
	s_waitcnt lgkmcnt(0)
	s_barrier
	s_and_saveexec_b64 s[0:1], vcc
	s_cbranch_execz .LBB77_13
; %bb.10:
	v_lshlrev_b32_e32 v9, 2, v7
	v_lshl_add_u32 v9, s13, 2, v9
	s_mov_b64 s[2:3], 0
.LBB77_11:                              ; =>This Inner Loop Header: Depth=1
	v_add_u32_e32 v10, v8, v6
	v_lshrrev_b32_e32 v10, 1, v10
	v_not_b32_e32 v11, v10
	v_lshlrev_b32_e32 v12, 2, v10
	v_lshl_add_u32 v11, v11, 2, v9
	ds_read_b32 v12, v12
	ds_read_b32 v11, v11
	v_add_u32_e32 v13, 1, v10
	s_waitcnt lgkmcnt(0)
	v_cmp_gt_i32_e32 vcc, v11, v12
	s_nop 1
	v_cndmask_b32_e32 v8, v8, v10, vcc
	v_cndmask_b32_e32 v6, v13, v6, vcc
	v_cmp_ge_u32_e32 vcc, v6, v8
	s_or_b64 s[2:3], vcc, s[2:3]
	s_andn2_b64 exec, exec, s[2:3]
	s_cbranch_execnz .LBB77_11
; %bb.12:
	s_or_b64 exec, exec, s[2:3]
.LBB77_13:
	s_or_b64 exec, exec, s[0:1]
	v_sub_u32_e32 v7, v7, v6
	v_add_u32_e32 v7, s13, v7
	v_cmp_ge_u32_e32 vcc, s13, v6
	v_cmp_le_u32_e64 s[0:1], v7, v5
	s_or_b64 s[0:1], vcc, s[0:1]
	v_mov_b32_e32 v10, 0
	v_mov_b32_e32 v11, 0
	s_and_saveexec_b64 s[4:5], s[0:1]
	s_cbranch_execz .LBB77_19
; %bb.14:
	v_cmp_gt_u32_e32 vcc, s13, v6
                                        ; implicit-def: $vgpr1
	s_and_saveexec_b64 s[0:1], vcc
; %bb.15:
	v_lshlrev_b32_e32 v1, 2, v6
	ds_read_b32 v1, v1
; %bb.16:
	s_or_b64 exec, exec, s[0:1]
	v_cmp_ge_u32_e64 s[0:1], v7, v5
	v_cmp_lt_u32_e64 s[2:3], v7, v5
                                        ; implicit-def: $vgpr8
	s_and_saveexec_b64 s[22:23], s[2:3]
; %bb.17:
	v_lshlrev_b32_e32 v4, 2, v7
	ds_read_b32 v8, v4
; %bb.18:
	s_or_b64 exec, exec, s[22:23]
	s_waitcnt lgkmcnt(0)
	v_cmp_le_i32_e64 s[2:3], v8, v1
	s_and_b64 s[2:3], vcc, s[2:3]
	s_or_b64 vcc, s[0:1], s[2:3]
	v_mov_b32_e32 v4, s13
	v_cndmask_b32_e32 v11, v7, v6, vcc
	v_cndmask_b32_e32 v4, v5, v4, vcc
	v_add_u32_e32 v9, 1, v11
	v_add_u32_e32 v4, -1, v4
	v_min_u32_e32 v4, v9, v4
	v_lshlrev_b32_e32 v4, 2, v4
	ds_read_b32 v10, v4
	v_cndmask_b32_e32 v4, v8, v1, vcc
	v_cndmask_b32_e32 v6, v6, v9, vcc
	;; [unrolled: 1-line block ×3, first 2 shown]
	v_cmp_gt_u32_e64 s[0:1], s13, v6
	s_waitcnt lgkmcnt(0)
	v_cndmask_b32_e32 v8, v10, v8, vcc
	v_cndmask_b32_e32 v1, v1, v10, vcc
	v_cmp_le_i32_e64 s[2:3], v8, v1
	v_cmp_ge_u32_e32 vcc, v7, v5
	s_and_b64 s[0:1], s[0:1], s[2:3]
	s_or_b64 vcc, vcc, s[0:1]
	v_cndmask_b32_e32 v10, v7, v6, vcc
	v_cndmask_b32_e32 v1, v8, v1, vcc
.LBB77_19:
	s_or_b64 exec, exec, s[4:5]
	s_lshl_b64 s[0:1], s[18:19], 3
	s_add_u32 s18, s8, s0
	s_addc_u32 s19, s9, s1
	s_lshl_b64 s[0:1], s[20:21], 3
	s_add_u32 s8, s8, s0
	v_cndmask_b32_e64 v6, 0, 1, s[16:17]
	v_mov_b32_e32 v7, 0
	s_addc_u32 s9, s9, s1
	v_cmp_gt_u32_e64 s[4:5], s13, v0
	v_cmp_ne_u32_e64 s[0:1], 1, v6
	s_andn2_b64 vcc, exec, s[16:17]
	v_cmp_le_u32_e64 s[2:3], s13, v0
	s_barrier
	s_cbranch_vccnz .LBB77_21
; %bb.20:
	v_lshlrev_b32_e32 v6, 3, v0
	v_lshl_add_u64 v[8:9], s[18:19], 0, v[6:7]
	v_subrev_u32_e32 v6, s13, v0
	v_lshlrev_b32_e32 v6, 3, v6
	v_lshl_add_u64 v[6:7], s[8:9], 0, v[6:7]
	v_cndmask_b32_e64 v7, v7, v9, s[4:5]
	v_cndmask_b32_e64 v6, v6, v8, s[4:5]
	global_load_dwordx2 v[14:15], v[6:7], off
	v_or_b32_e32 v12, 0x200, v0
	v_mov_b32_e32 v6, s9
	v_mov_b32_e32 v7, s19
	;; [unrolled: 1-line block ×4, first 2 shown]
	v_subrev_u32_e32 v8, s13, v12
	v_cmp_gt_u32_e32 vcc, s13, v12
	v_lshl_add_u32 v9, v0, 2, v2
	s_nop 0
	v_cndmask_b32_e32 v7, v6, v7, vcc
	v_min_u32_e32 v8, v12, v8
	v_cndmask_b32_e32 v6, v13, v16, vcc
	s_mov_b64 s[4:5], -1
	s_waitcnt vmcnt(0)
	ds_write_b64 v9, v[14:15]
	s_cbranch_execz .LBB77_22
	s_branch .LBB77_31
.LBB77_21:
	s_mov_b64 s[4:5], 0
                                        ; implicit-def: $vgpr12
                                        ; implicit-def: $vgpr6_vgpr7
                                        ; implicit-def: $vgpr8
.LBB77_22:
	s_and_saveexec_b64 s[4:5], s[2:3]
	s_xor_b64 s[2:3], exec, s[4:5]
	s_cbranch_execz .LBB77_26
; %bb.23:
	v_subrev_u32_e32 v6, s13, v0
	v_cmp_gt_u32_e32 vcc, s15, v6
	s_and_saveexec_b64 s[4:5], vcc
	s_cbranch_execz .LBB77_25
; %bb.24:
	v_lshlrev_b32_e32 v6, 3, v6
	global_load_dwordx2 v[6:7], v6, s[8:9]
	v_lshl_add_u32 v8, v0, 2, v2
	s_waitcnt vmcnt(0)
	ds_write_b64 v8, v[6:7]
.LBB77_25:
	s_or_b64 exec, exec, s[4:5]
.LBB77_26:
	s_andn2_saveexec_b64 s[2:3], s[2:3]
	s_cbranch_execz .LBB77_28
; %bb.27:
	v_lshlrev_b32_e32 v6, 3, v0
	global_load_dwordx2 v[6:7], v6, s[18:19]
	v_lshl_add_u32 v8, v0, 2, v2
	s_waitcnt vmcnt(0)
	ds_write_b64 v8, v[6:7]
.LBB77_28:
	s_or_b64 exec, exec, s[2:3]
	v_or_b32_e32 v12, 0x200, v0
	v_cmp_le_u32_e32 vcc, s13, v12
	s_mov_b64 s[4:5], -1
	v_mov_b64_e32 v[6:7], s[18:19]
	v_mov_b32_e32 v8, v12
	s_and_saveexec_b64 s[2:3], vcc
; %bb.29:
	v_subrev_u32_e32 v8, s13, v12
	v_cmp_gt_u32_e32 vcc, s15, v8
	v_mov_b64_e32 v[6:7], s[8:9]
	s_orn2_b64 s[4:5], vcc, exec
; %bb.30:
	s_or_b64 exec, exec, s[2:3]
.LBB77_31:
	s_and_saveexec_b64 s[2:3], s[4:5]
	s_cbranch_execz .LBB77_33
; %bb.32:
	v_mov_b32_e32 v9, 0
	v_lshl_add_u64 v[6:7], v[8:9], 3, v[6:7]
	global_load_dwordx2 v[6:7], v[6:7], off
	v_lshlrev_b32_e32 v8, 3, v12
	s_waitcnt vmcnt(0)
	ds_write_b64 v8, v[6:7]
.LBB77_33:
	s_or_b64 exec, exec, s[2:3]
	s_and_b64 vcc, exec, s[0:1]
	v_add_u32_e32 v6, s14, v3
	s_waitcnt lgkmcnt(0)
	s_barrier
	s_cbranch_vccnz .LBB77_35
; %bb.34:
	v_lshlrev_b32_e32 v7, 3, v11
	ds_read_b64 v[8:9], v7
	v_mov_b32_e32 v7, 0
	v_lshl_add_u64 v[12:13], v[6:7], 3, s[10:11]
	s_mov_b64 s[0:1], -1
	s_waitcnt lgkmcnt(0)
	global_store_dwordx2 v[12:13], v[8:9], off
	s_cbranch_execz .LBB77_36
	s_branch .LBB77_41
.LBB77_35:
	s_mov_b64 s[0:1], 0
.LBB77_36:
	v_cmp_lt_u32_e32 vcc, v3, v5
	s_and_saveexec_b64 s[2:3], vcc
	s_cbranch_execz .LBB77_38
; %bb.37:
	v_lshlrev_b32_e32 v7, 3, v11
	ds_read_b64 v[8:9], v7
	v_mov_b32_e32 v7, 0
	v_lshl_add_u64 v[12:13], v[6:7], 3, s[10:11]
	s_waitcnt lgkmcnt(0)
	global_store_dwordx2 v[12:13], v[8:9], off
.LBB77_38:
	s_or_b64 exec, exec, s[2:3]
	v_or_b32_e32 v7, 1, v3
	v_cmp_lt_u32_e32 vcc, v7, v5
	s_and_saveexec_b64 s[2:3], vcc
; %bb.39:
	v_mov_b32_e32 v7, 0
	s_or_b64 s[0:1], s[0:1], exec
; %bb.40:
	s_or_b64 exec, exec, s[2:3]
.LBB77_41:
	s_and_saveexec_b64 s[2:3], s[0:1]
	s_cbranch_execz .LBB77_43
; %bb.42:
	v_lshlrev_b32_e32 v5, 3, v10
	ds_read_b64 v[8:9], v5
	v_lshl_add_u64 v[6:7], v[6:7], 3, s[10:11]
	s_waitcnt lgkmcnt(0)
	global_store_dwordx2 v[6:7], v[8:9], off offset:8
.LBB77_43:
	s_or_b64 exec, exec, s[2:3]
	v_lshrrev_b32_e32 v5, 2, v0
	v_and_b32_e32 v5, 0x7c, v5
	v_lshl_add_u32 v3, v3, 2, v5
	s_barrier
	s_barrier
	ds_write2_b32 v3, v4, v1 offset1:1
	v_lshrrev_b32_e32 v1, 3, v0
	v_and_b32_e32 v1, 60, v1
	s_mov_b32 s15, 0
	v_add_u32_e32 v4, v1, v2
	v_or_b32_e32 v1, 0x200, v0
	s_lshl_b64 s[0:1], s[14:15], 2
	v_lshrrev_b32_e32 v3, 3, v1
	s_add_u32 s0, s6, s0
	v_and_b32_e32 v3, 0x7c, v3
	s_addc_u32 s1, s7, s1
	v_add_u32_e32 v6, v3, v2
	v_mov_b32_e32 v3, 0
	v_lshl_add_u64 v[2:3], s[0:1], 0, v[2:3]
	s_and_b64 vcc, exec, s[16:17]
	s_waitcnt lgkmcnt(0)
	s_cbranch_vccz .LBB77_45
; %bb.44:
	s_barrier
	ds_read_b32 v7, v4
	ds_read_b32 v5, v6 offset:2048
	s_mov_b64 s[0:1], -1
	s_waitcnt lgkmcnt(1)
	global_store_dword v[2:3], v7, off
	s_cbranch_execz .LBB77_46
	s_branch .LBB77_49
.LBB77_45:
	s_mov_b64 s[0:1], 0
                                        ; implicit-def: $vgpr5
.LBB77_46:
	s_barrier
	s_waitcnt lgkmcnt(0)
	ds_read_b32 v5, v6 offset:2048
	s_sub_i32 s2, s12, s14
	v_cmp_gt_u32_e32 vcc, s2, v0
	s_and_saveexec_b64 s[0:1], vcc
	s_cbranch_execz .LBB77_48
; %bb.47:
	ds_read_b32 v0, v4
	s_waitcnt lgkmcnt(0)
	global_store_dword v[2:3], v0, off
.LBB77_48:
	s_or_b64 exec, exec, s[0:1]
	v_cmp_gt_u32_e64 s[0:1], s2, v1
.LBB77_49:
	s_and_saveexec_b64 s[2:3], s[0:1]
	s_cbranch_execz .LBB77_51
; %bb.50:
	s_waitcnt lgkmcnt(0)
	global_store_dword v[2:3], v5, off offset:2048
.LBB77_51:
	s_endpgm
	.section	.rodata,"a",@progbits
	.p2align	6, 0x0
	.amdhsa_kernel _ZN7rocprim17ROCPRIM_304000_NS6detail35device_block_merge_mergepath_kernelINS1_37wrapped_merge_sort_block_merge_configINS0_14default_configEiN2at4cuda3cub6detail10OpaqueTypeILi8EEEEEPiSC_PSA_SD_jNS1_19radix_merge_compareILb1ELb0EiNS0_19identity_decomposerEEEEEvT0_T1_T2_T3_T4_SL_jT5_PKSL_NS1_7vsmem_tE
		.amdhsa_group_segment_fixed_size 8208
		.amdhsa_private_segment_fixed_size 0
		.amdhsa_kernarg_size 320
		.amdhsa_user_sgpr_count 2
		.amdhsa_user_sgpr_dispatch_ptr 0
		.amdhsa_user_sgpr_queue_ptr 0
		.amdhsa_user_sgpr_kernarg_segment_ptr 1
		.amdhsa_user_sgpr_dispatch_id 0
		.amdhsa_user_sgpr_kernarg_preload_length 0
		.amdhsa_user_sgpr_kernarg_preload_offset 0
		.amdhsa_user_sgpr_private_segment_size 0
		.amdhsa_uses_dynamic_stack 0
		.amdhsa_enable_private_segment 0
		.amdhsa_system_sgpr_workgroup_id_x 1
		.amdhsa_system_sgpr_workgroup_id_y 1
		.amdhsa_system_sgpr_workgroup_id_z 1
		.amdhsa_system_sgpr_workgroup_info 0
		.amdhsa_system_vgpr_workitem_id 0
		.amdhsa_next_free_vgpr 17
		.amdhsa_next_free_sgpr 30
		.amdhsa_accum_offset 20
		.amdhsa_reserve_vcc 1
		.amdhsa_float_round_mode_32 0
		.amdhsa_float_round_mode_16_64 0
		.amdhsa_float_denorm_mode_32 3
		.amdhsa_float_denorm_mode_16_64 3
		.amdhsa_dx10_clamp 1
		.amdhsa_ieee_mode 1
		.amdhsa_fp16_overflow 0
		.amdhsa_tg_split 0
		.amdhsa_exception_fp_ieee_invalid_op 0
		.amdhsa_exception_fp_denorm_src 0
		.amdhsa_exception_fp_ieee_div_zero 0
		.amdhsa_exception_fp_ieee_overflow 0
		.amdhsa_exception_fp_ieee_underflow 0
		.amdhsa_exception_fp_ieee_inexact 0
		.amdhsa_exception_int_div_zero 0
	.end_amdhsa_kernel
	.section	.text._ZN7rocprim17ROCPRIM_304000_NS6detail35device_block_merge_mergepath_kernelINS1_37wrapped_merge_sort_block_merge_configINS0_14default_configEiN2at4cuda3cub6detail10OpaqueTypeILi8EEEEEPiSC_PSA_SD_jNS1_19radix_merge_compareILb1ELb0EiNS0_19identity_decomposerEEEEEvT0_T1_T2_T3_T4_SL_jT5_PKSL_NS1_7vsmem_tE,"axG",@progbits,_ZN7rocprim17ROCPRIM_304000_NS6detail35device_block_merge_mergepath_kernelINS1_37wrapped_merge_sort_block_merge_configINS0_14default_configEiN2at4cuda3cub6detail10OpaqueTypeILi8EEEEEPiSC_PSA_SD_jNS1_19radix_merge_compareILb1ELb0EiNS0_19identity_decomposerEEEEEvT0_T1_T2_T3_T4_SL_jT5_PKSL_NS1_7vsmem_tE,comdat
.Lfunc_end77:
	.size	_ZN7rocprim17ROCPRIM_304000_NS6detail35device_block_merge_mergepath_kernelINS1_37wrapped_merge_sort_block_merge_configINS0_14default_configEiN2at4cuda3cub6detail10OpaqueTypeILi8EEEEEPiSC_PSA_SD_jNS1_19radix_merge_compareILb1ELb0EiNS0_19identity_decomposerEEEEEvT0_T1_T2_T3_T4_SL_jT5_PKSL_NS1_7vsmem_tE, .Lfunc_end77-_ZN7rocprim17ROCPRIM_304000_NS6detail35device_block_merge_mergepath_kernelINS1_37wrapped_merge_sort_block_merge_configINS0_14default_configEiN2at4cuda3cub6detail10OpaqueTypeILi8EEEEEPiSC_PSA_SD_jNS1_19radix_merge_compareILb1ELb0EiNS0_19identity_decomposerEEEEEvT0_T1_T2_T3_T4_SL_jT5_PKSL_NS1_7vsmem_tE
                                        ; -- End function
	.set _ZN7rocprim17ROCPRIM_304000_NS6detail35device_block_merge_mergepath_kernelINS1_37wrapped_merge_sort_block_merge_configINS0_14default_configEiN2at4cuda3cub6detail10OpaqueTypeILi8EEEEEPiSC_PSA_SD_jNS1_19radix_merge_compareILb1ELb0EiNS0_19identity_decomposerEEEEEvT0_T1_T2_T3_T4_SL_jT5_PKSL_NS1_7vsmem_tE.num_vgpr, 17
	.set _ZN7rocprim17ROCPRIM_304000_NS6detail35device_block_merge_mergepath_kernelINS1_37wrapped_merge_sort_block_merge_configINS0_14default_configEiN2at4cuda3cub6detail10OpaqueTypeILi8EEEEEPiSC_PSA_SD_jNS1_19radix_merge_compareILb1ELb0EiNS0_19identity_decomposerEEEEEvT0_T1_T2_T3_T4_SL_jT5_PKSL_NS1_7vsmem_tE.num_agpr, 0
	.set _ZN7rocprim17ROCPRIM_304000_NS6detail35device_block_merge_mergepath_kernelINS1_37wrapped_merge_sort_block_merge_configINS0_14default_configEiN2at4cuda3cub6detail10OpaqueTypeILi8EEEEEPiSC_PSA_SD_jNS1_19radix_merge_compareILb1ELb0EiNS0_19identity_decomposerEEEEEvT0_T1_T2_T3_T4_SL_jT5_PKSL_NS1_7vsmem_tE.numbered_sgpr, 30
	.set _ZN7rocprim17ROCPRIM_304000_NS6detail35device_block_merge_mergepath_kernelINS1_37wrapped_merge_sort_block_merge_configINS0_14default_configEiN2at4cuda3cub6detail10OpaqueTypeILi8EEEEEPiSC_PSA_SD_jNS1_19radix_merge_compareILb1ELb0EiNS0_19identity_decomposerEEEEEvT0_T1_T2_T3_T4_SL_jT5_PKSL_NS1_7vsmem_tE.num_named_barrier, 0
	.set _ZN7rocprim17ROCPRIM_304000_NS6detail35device_block_merge_mergepath_kernelINS1_37wrapped_merge_sort_block_merge_configINS0_14default_configEiN2at4cuda3cub6detail10OpaqueTypeILi8EEEEEPiSC_PSA_SD_jNS1_19radix_merge_compareILb1ELb0EiNS0_19identity_decomposerEEEEEvT0_T1_T2_T3_T4_SL_jT5_PKSL_NS1_7vsmem_tE.private_seg_size, 0
	.set _ZN7rocprim17ROCPRIM_304000_NS6detail35device_block_merge_mergepath_kernelINS1_37wrapped_merge_sort_block_merge_configINS0_14default_configEiN2at4cuda3cub6detail10OpaqueTypeILi8EEEEEPiSC_PSA_SD_jNS1_19radix_merge_compareILb1ELb0EiNS0_19identity_decomposerEEEEEvT0_T1_T2_T3_T4_SL_jT5_PKSL_NS1_7vsmem_tE.uses_vcc, 1
	.set _ZN7rocprim17ROCPRIM_304000_NS6detail35device_block_merge_mergepath_kernelINS1_37wrapped_merge_sort_block_merge_configINS0_14default_configEiN2at4cuda3cub6detail10OpaqueTypeILi8EEEEEPiSC_PSA_SD_jNS1_19radix_merge_compareILb1ELb0EiNS0_19identity_decomposerEEEEEvT0_T1_T2_T3_T4_SL_jT5_PKSL_NS1_7vsmem_tE.uses_flat_scratch, 0
	.set _ZN7rocprim17ROCPRIM_304000_NS6detail35device_block_merge_mergepath_kernelINS1_37wrapped_merge_sort_block_merge_configINS0_14default_configEiN2at4cuda3cub6detail10OpaqueTypeILi8EEEEEPiSC_PSA_SD_jNS1_19radix_merge_compareILb1ELb0EiNS0_19identity_decomposerEEEEEvT0_T1_T2_T3_T4_SL_jT5_PKSL_NS1_7vsmem_tE.has_dyn_sized_stack, 0
	.set _ZN7rocprim17ROCPRIM_304000_NS6detail35device_block_merge_mergepath_kernelINS1_37wrapped_merge_sort_block_merge_configINS0_14default_configEiN2at4cuda3cub6detail10OpaqueTypeILi8EEEEEPiSC_PSA_SD_jNS1_19radix_merge_compareILb1ELb0EiNS0_19identity_decomposerEEEEEvT0_T1_T2_T3_T4_SL_jT5_PKSL_NS1_7vsmem_tE.has_recursion, 0
	.set _ZN7rocprim17ROCPRIM_304000_NS6detail35device_block_merge_mergepath_kernelINS1_37wrapped_merge_sort_block_merge_configINS0_14default_configEiN2at4cuda3cub6detail10OpaqueTypeILi8EEEEEPiSC_PSA_SD_jNS1_19radix_merge_compareILb1ELb0EiNS0_19identity_decomposerEEEEEvT0_T1_T2_T3_T4_SL_jT5_PKSL_NS1_7vsmem_tE.has_indirect_call, 0
	.section	.AMDGPU.csdata,"",@progbits
; Kernel info:
; codeLenInByte = 1820
; TotalNumSgprs: 36
; NumVgprs: 17
; NumAgprs: 0
; TotalNumVgprs: 17
; ScratchSize: 0
; MemoryBound: 0
; FloatMode: 240
; IeeeMode: 1
; LDSByteSize: 8208 bytes/workgroup (compile time only)
; SGPRBlocks: 4
; VGPRBlocks: 2
; NumSGPRsForWavesPerEU: 36
; NumVGPRsForWavesPerEU: 17
; AccumOffset: 20
; Occupancy: 8
; WaveLimiterHint : 1
; COMPUTE_PGM_RSRC2:SCRATCH_EN: 0
; COMPUTE_PGM_RSRC2:USER_SGPR: 2
; COMPUTE_PGM_RSRC2:TRAP_HANDLER: 0
; COMPUTE_PGM_RSRC2:TGID_X_EN: 1
; COMPUTE_PGM_RSRC2:TGID_Y_EN: 1
; COMPUTE_PGM_RSRC2:TGID_Z_EN: 1
; COMPUTE_PGM_RSRC2:TIDIG_COMP_CNT: 0
; COMPUTE_PGM_RSRC3_GFX90A:ACCUM_OFFSET: 4
; COMPUTE_PGM_RSRC3_GFX90A:TG_SPLIT: 0
	.section	.text._ZN7rocprim17ROCPRIM_304000_NS6detail33device_block_merge_oddeven_kernelINS1_37wrapped_merge_sort_block_merge_configINS0_14default_configEiN2at4cuda3cub6detail10OpaqueTypeILi8EEEEEPiSC_PSA_SD_jNS1_19radix_merge_compareILb1ELb0EiNS0_19identity_decomposerEEEEEvT0_T1_T2_T3_T4_SL_T5_,"axG",@progbits,_ZN7rocprim17ROCPRIM_304000_NS6detail33device_block_merge_oddeven_kernelINS1_37wrapped_merge_sort_block_merge_configINS0_14default_configEiN2at4cuda3cub6detail10OpaqueTypeILi8EEEEEPiSC_PSA_SD_jNS1_19radix_merge_compareILb1ELb0EiNS0_19identity_decomposerEEEEEvT0_T1_T2_T3_T4_SL_T5_,comdat
	.protected	_ZN7rocprim17ROCPRIM_304000_NS6detail33device_block_merge_oddeven_kernelINS1_37wrapped_merge_sort_block_merge_configINS0_14default_configEiN2at4cuda3cub6detail10OpaqueTypeILi8EEEEEPiSC_PSA_SD_jNS1_19radix_merge_compareILb1ELb0EiNS0_19identity_decomposerEEEEEvT0_T1_T2_T3_T4_SL_T5_ ; -- Begin function _ZN7rocprim17ROCPRIM_304000_NS6detail33device_block_merge_oddeven_kernelINS1_37wrapped_merge_sort_block_merge_configINS0_14default_configEiN2at4cuda3cub6detail10OpaqueTypeILi8EEEEEPiSC_PSA_SD_jNS1_19radix_merge_compareILb1ELb0EiNS0_19identity_decomposerEEEEEvT0_T1_T2_T3_T4_SL_T5_
	.globl	_ZN7rocprim17ROCPRIM_304000_NS6detail33device_block_merge_oddeven_kernelINS1_37wrapped_merge_sort_block_merge_configINS0_14default_configEiN2at4cuda3cub6detail10OpaqueTypeILi8EEEEEPiSC_PSA_SD_jNS1_19radix_merge_compareILb1ELb0EiNS0_19identity_decomposerEEEEEvT0_T1_T2_T3_T4_SL_T5_
	.p2align	8
	.type	_ZN7rocprim17ROCPRIM_304000_NS6detail33device_block_merge_oddeven_kernelINS1_37wrapped_merge_sort_block_merge_configINS0_14default_configEiN2at4cuda3cub6detail10OpaqueTypeILi8EEEEEPiSC_PSA_SD_jNS1_19radix_merge_compareILb1ELb0EiNS0_19identity_decomposerEEEEEvT0_T1_T2_T3_T4_SL_T5_,@function
_ZN7rocprim17ROCPRIM_304000_NS6detail33device_block_merge_oddeven_kernelINS1_37wrapped_merge_sort_block_merge_configINS0_14default_configEiN2at4cuda3cub6detail10OpaqueTypeILi8EEEEEPiSC_PSA_SD_jNS1_19radix_merge_compareILb1ELb0EiNS0_19identity_decomposerEEEEEvT0_T1_T2_T3_T4_SL_T5_: ; @_ZN7rocprim17ROCPRIM_304000_NS6detail33device_block_merge_oddeven_kernelINS1_37wrapped_merge_sort_block_merge_configINS0_14default_configEiN2at4cuda3cub6detail10OpaqueTypeILi8EEEEEPiSC_PSA_SD_jNS1_19radix_merge_compareILb1ELb0EiNS0_19identity_decomposerEEEEEvT0_T1_T2_T3_T4_SL_T5_
; %bb.0:
	s_load_dwordx2 s[16:17], s[0:1], 0x20
	s_waitcnt lgkmcnt(0)
	s_lshr_b32 s3, s16, 8
	s_cmp_eq_u32 s2, s3
	s_cselect_b64 s[6:7], -1, 0
	s_cmp_lg_u32 s2, s3
	s_cselect_b64 s[8:9], -1, 0
	s_lshl_b32 s18, s2, 8
	s_sub_i32 s3, s16, s18
	v_cmp_gt_u32_e64 s[4:5], s3, v0
	s_or_b64 s[8:9], s[8:9], s[4:5]
	s_and_saveexec_b64 s[10:11], s[8:9]
	s_cbranch_execz .LBB78_24
; %bb.1:
	s_load_dwordx8 s[8:15], s[0:1], 0x0
	s_mov_b32 s19, 0
	s_lshl_b64 s[0:1], s[18:19], 2
	v_lshlrev_b32_e32 v5, 3, v0
	v_lshlrev_b32_e32 v1, 2, v0
	s_waitcnt lgkmcnt(0)
	s_add_u32 s0, s8, s0
	s_addc_u32 s1, s9, s1
	s_lshl_b64 s[20:21], s[18:19], 3
	s_add_u32 s12, s12, s20
	s_addc_u32 s13, s13, s21
	global_load_dwordx2 v[2:3], v5, s[12:13]
	global_load_dword v4, v1, s[0:1]
	s_lshr_b32 s0, s17, 8
	s_sub_i32 s1, 0, s0
	s_and_b32 s1, s2, s1
	s_and_b32 s0, s1, s0
	s_lshl_b32 s19, s1, 8
	s_sub_i32 s12, 0, s17
	s_cmp_eq_u32 s0, 0
	s_cselect_b64 s[0:1], -1, 0
	s_and_b64 s[2:3], s[0:1], exec
	s_cselect_b32 s12, s17, s12
	s_add_i32 s12, s12, s19
	s_mov_b64 s[2:3], -1
	s_cmp_gt_u32 s16, s12
	v_add_u32_e32 v0, s18, v0
	s_cbranch_scc1 .LBB78_9
; %bb.2:
	s_and_b64 vcc, exec, s[6:7]
	s_cbranch_vccz .LBB78_6
; %bb.3:
	v_cmp_gt_u32_e32 vcc, s16, v0
	s_and_saveexec_b64 s[2:3], vcc
	s_cbranch_execz .LBB78_5
; %bb.4:
	v_mov_b32_e32 v1, 0
	v_lshl_add_u64 v[8:9], v[0:1], 2, s[10:11]
	v_lshl_add_u64 v[6:7], v[0:1], 3, s[14:15]
	s_waitcnt vmcnt(0)
	global_store_dword v[8:9], v4, off
	global_store_dwordx2 v[6:7], v[2:3], off
.LBB78_5:
	s_or_b64 exec, exec, s[2:3]
	s_mov_b64 s[2:3], 0
.LBB78_6:
	s_andn2_b64 vcc, exec, s[2:3]
	s_cbranch_vccnz .LBB78_8
; %bb.7:
	v_mov_b32_e32 v1, 0
	v_lshl_add_u64 v[6:7], v[0:1], 2, s[10:11]
	v_lshl_add_u64 v[8:9], v[0:1], 3, s[14:15]
	s_waitcnt vmcnt(0)
	global_store_dword v[6:7], v4, off
	global_store_dwordx2 v[8:9], v[2:3], off
.LBB78_8:
	s_mov_b64 s[2:3], 0
.LBB78_9:
	s_andn2_b64 vcc, exec, s[2:3]
	s_cbranch_vccnz .LBB78_24
; %bb.10:
	s_min_u32 s13, s12, s16
	s_add_i32 s2, s13, s17
	s_min_u32 s16, s2, s16
	s_min_u32 s2, s19, s13
	s_add_i32 s19, s19, s13
	v_subrev_u32_e32 v0, s19, v0
	v_add_u32_e32 v5, s2, v0
	s_andn2_b64 vcc, exec, s[6:7]
	s_mov_b64 s[2:3], -1
	s_cbranch_vccnz .LBB78_18
; %bb.11:
	s_and_saveexec_b64 s[2:3], s[4:5]
	s_cbranch_execz .LBB78_17
; %bb.12:
	s_cmp_ge_u32 s12, s16
	v_mov_b32_e32 v6, s13
	s_cbranch_scc1 .LBB78_16
; %bb.13:
	s_mov_b64 s[4:5], 0
	v_mov_b32_e32 v7, s16
	v_mov_b32_e32 v6, s13
	;; [unrolled: 1-line block ×3, first 2 shown]
.LBB78_14:                              ; =>This Inner Loop Header: Depth=1
	v_add_u32_e32 v0, v6, v7
	v_lshrrev_b32_e32 v0, 1, v0
	v_lshl_add_u64 v[8:9], v[0:1], 2, s[8:9]
	global_load_dword v8, v[8:9], off
	v_add_u32_e32 v9, 1, v0
	s_waitcnt vmcnt(0)
	v_cmp_gt_i32_e32 vcc, v8, v4
	s_nop 1
	v_cndmask_b32_e64 v10, 0, 1, vcc
	v_cmp_le_i32_e32 vcc, v4, v8
	s_nop 1
	v_cndmask_b32_e64 v8, 0, 1, vcc
	v_cndmask_b32_e64 v8, v8, v10, s[0:1]
	v_and_b32_e32 v8, 1, v8
	v_cmp_eq_u32_e32 vcc, 1, v8
	s_nop 1
	v_cndmask_b32_e32 v7, v0, v7, vcc
	v_cndmask_b32_e32 v6, v6, v9, vcc
	v_cmp_ge_u32_e32 vcc, v6, v7
	s_or_b64 s[4:5], vcc, s[4:5]
	s_andn2_b64 exec, exec, s[4:5]
	s_cbranch_execnz .LBB78_14
; %bb.15:
	s_or_b64 exec, exec, s[4:5]
.LBB78_16:
	v_add_u32_e32 v0, v6, v5
	v_mov_b32_e32 v1, 0
	v_lshl_add_u64 v[6:7], v[0:1], 2, s[10:11]
	v_lshl_add_u64 v[0:1], v[0:1], 3, s[14:15]
	s_waitcnt vmcnt(0)
	global_store_dword v[6:7], v4, off
	global_store_dwordx2 v[0:1], v[2:3], off
.LBB78_17:
	s_or_b64 exec, exec, s[2:3]
	s_mov_b64 s[2:3], 0
.LBB78_18:
	s_andn2_b64 vcc, exec, s[2:3]
	s_cbranch_vccnz .LBB78_24
; %bb.19:
	s_cmp_ge_u32 s12, s16
	v_mov_b32_e32 v6, s13
	s_cbranch_scc1 .LBB78_23
; %bb.20:
	s_mov_b64 s[2:3], 0
	v_mov_b32_e32 v7, s16
	v_mov_b32_e32 v6, s13
	v_mov_b32_e32 v1, 0
.LBB78_21:                              ; =>This Inner Loop Header: Depth=1
	v_add_u32_e32 v0, v6, v7
	v_lshrrev_b32_e32 v0, 1, v0
	v_lshl_add_u64 v[8:9], v[0:1], 2, s[8:9]
	global_load_dword v8, v[8:9], off
	v_add_u32_e32 v9, 1, v0
	s_waitcnt vmcnt(0)
	v_cmp_gt_i32_e32 vcc, v8, v4
	s_nop 1
	v_cndmask_b32_e64 v10, 0, 1, vcc
	v_cmp_le_i32_e32 vcc, v4, v8
	s_nop 1
	v_cndmask_b32_e64 v8, 0, 1, vcc
	v_cndmask_b32_e64 v8, v8, v10, s[0:1]
	v_and_b32_e32 v8, 1, v8
	v_cmp_eq_u32_e32 vcc, 1, v8
	s_nop 1
	v_cndmask_b32_e32 v7, v0, v7, vcc
	v_cndmask_b32_e32 v6, v6, v9, vcc
	v_cmp_ge_u32_e32 vcc, v6, v7
	s_or_b64 s[2:3], vcc, s[2:3]
	s_andn2_b64 exec, exec, s[2:3]
	s_cbranch_execnz .LBB78_21
; %bb.22:
	s_or_b64 exec, exec, s[2:3]
.LBB78_23:
	v_add_u32_e32 v0, v6, v5
	v_mov_b32_e32 v1, 0
	v_lshl_add_u64 v[6:7], v[0:1], 2, s[10:11]
	v_lshl_add_u64 v[0:1], v[0:1], 3, s[14:15]
	s_waitcnt vmcnt(0)
	global_store_dword v[6:7], v4, off
	global_store_dwordx2 v[0:1], v[2:3], off
.LBB78_24:
	s_endpgm
	.section	.rodata,"a",@progbits
	.p2align	6, 0x0
	.amdhsa_kernel _ZN7rocprim17ROCPRIM_304000_NS6detail33device_block_merge_oddeven_kernelINS1_37wrapped_merge_sort_block_merge_configINS0_14default_configEiN2at4cuda3cub6detail10OpaqueTypeILi8EEEEEPiSC_PSA_SD_jNS1_19radix_merge_compareILb1ELb0EiNS0_19identity_decomposerEEEEEvT0_T1_T2_T3_T4_SL_T5_
		.amdhsa_group_segment_fixed_size 0
		.amdhsa_private_segment_fixed_size 0
		.amdhsa_kernarg_size 44
		.amdhsa_user_sgpr_count 2
		.amdhsa_user_sgpr_dispatch_ptr 0
		.amdhsa_user_sgpr_queue_ptr 0
		.amdhsa_user_sgpr_kernarg_segment_ptr 1
		.amdhsa_user_sgpr_dispatch_id 0
		.amdhsa_user_sgpr_kernarg_preload_length 0
		.amdhsa_user_sgpr_kernarg_preload_offset 0
		.amdhsa_user_sgpr_private_segment_size 0
		.amdhsa_uses_dynamic_stack 0
		.amdhsa_enable_private_segment 0
		.amdhsa_system_sgpr_workgroup_id_x 1
		.amdhsa_system_sgpr_workgroup_id_y 0
		.amdhsa_system_sgpr_workgroup_id_z 0
		.amdhsa_system_sgpr_workgroup_info 0
		.amdhsa_system_vgpr_workitem_id 0
		.amdhsa_next_free_vgpr 11
		.amdhsa_next_free_sgpr 22
		.amdhsa_accum_offset 12
		.amdhsa_reserve_vcc 1
		.amdhsa_float_round_mode_32 0
		.amdhsa_float_round_mode_16_64 0
		.amdhsa_float_denorm_mode_32 3
		.amdhsa_float_denorm_mode_16_64 3
		.amdhsa_dx10_clamp 1
		.amdhsa_ieee_mode 1
		.amdhsa_fp16_overflow 0
		.amdhsa_tg_split 0
		.amdhsa_exception_fp_ieee_invalid_op 0
		.amdhsa_exception_fp_denorm_src 0
		.amdhsa_exception_fp_ieee_div_zero 0
		.amdhsa_exception_fp_ieee_overflow 0
		.amdhsa_exception_fp_ieee_underflow 0
		.amdhsa_exception_fp_ieee_inexact 0
		.amdhsa_exception_int_div_zero 0
	.end_amdhsa_kernel
	.section	.text._ZN7rocprim17ROCPRIM_304000_NS6detail33device_block_merge_oddeven_kernelINS1_37wrapped_merge_sort_block_merge_configINS0_14default_configEiN2at4cuda3cub6detail10OpaqueTypeILi8EEEEEPiSC_PSA_SD_jNS1_19radix_merge_compareILb1ELb0EiNS0_19identity_decomposerEEEEEvT0_T1_T2_T3_T4_SL_T5_,"axG",@progbits,_ZN7rocprim17ROCPRIM_304000_NS6detail33device_block_merge_oddeven_kernelINS1_37wrapped_merge_sort_block_merge_configINS0_14default_configEiN2at4cuda3cub6detail10OpaqueTypeILi8EEEEEPiSC_PSA_SD_jNS1_19radix_merge_compareILb1ELb0EiNS0_19identity_decomposerEEEEEvT0_T1_T2_T3_T4_SL_T5_,comdat
.Lfunc_end78:
	.size	_ZN7rocprim17ROCPRIM_304000_NS6detail33device_block_merge_oddeven_kernelINS1_37wrapped_merge_sort_block_merge_configINS0_14default_configEiN2at4cuda3cub6detail10OpaqueTypeILi8EEEEEPiSC_PSA_SD_jNS1_19radix_merge_compareILb1ELb0EiNS0_19identity_decomposerEEEEEvT0_T1_T2_T3_T4_SL_T5_, .Lfunc_end78-_ZN7rocprim17ROCPRIM_304000_NS6detail33device_block_merge_oddeven_kernelINS1_37wrapped_merge_sort_block_merge_configINS0_14default_configEiN2at4cuda3cub6detail10OpaqueTypeILi8EEEEEPiSC_PSA_SD_jNS1_19radix_merge_compareILb1ELb0EiNS0_19identity_decomposerEEEEEvT0_T1_T2_T3_T4_SL_T5_
                                        ; -- End function
	.set _ZN7rocprim17ROCPRIM_304000_NS6detail33device_block_merge_oddeven_kernelINS1_37wrapped_merge_sort_block_merge_configINS0_14default_configEiN2at4cuda3cub6detail10OpaqueTypeILi8EEEEEPiSC_PSA_SD_jNS1_19radix_merge_compareILb1ELb0EiNS0_19identity_decomposerEEEEEvT0_T1_T2_T3_T4_SL_T5_.num_vgpr, 11
	.set _ZN7rocprim17ROCPRIM_304000_NS6detail33device_block_merge_oddeven_kernelINS1_37wrapped_merge_sort_block_merge_configINS0_14default_configEiN2at4cuda3cub6detail10OpaqueTypeILi8EEEEEPiSC_PSA_SD_jNS1_19radix_merge_compareILb1ELb0EiNS0_19identity_decomposerEEEEEvT0_T1_T2_T3_T4_SL_T5_.num_agpr, 0
	.set _ZN7rocprim17ROCPRIM_304000_NS6detail33device_block_merge_oddeven_kernelINS1_37wrapped_merge_sort_block_merge_configINS0_14default_configEiN2at4cuda3cub6detail10OpaqueTypeILi8EEEEEPiSC_PSA_SD_jNS1_19radix_merge_compareILb1ELb0EiNS0_19identity_decomposerEEEEEvT0_T1_T2_T3_T4_SL_T5_.numbered_sgpr, 22
	.set _ZN7rocprim17ROCPRIM_304000_NS6detail33device_block_merge_oddeven_kernelINS1_37wrapped_merge_sort_block_merge_configINS0_14default_configEiN2at4cuda3cub6detail10OpaqueTypeILi8EEEEEPiSC_PSA_SD_jNS1_19radix_merge_compareILb1ELb0EiNS0_19identity_decomposerEEEEEvT0_T1_T2_T3_T4_SL_T5_.num_named_barrier, 0
	.set _ZN7rocprim17ROCPRIM_304000_NS6detail33device_block_merge_oddeven_kernelINS1_37wrapped_merge_sort_block_merge_configINS0_14default_configEiN2at4cuda3cub6detail10OpaqueTypeILi8EEEEEPiSC_PSA_SD_jNS1_19radix_merge_compareILb1ELb0EiNS0_19identity_decomposerEEEEEvT0_T1_T2_T3_T4_SL_T5_.private_seg_size, 0
	.set _ZN7rocprim17ROCPRIM_304000_NS6detail33device_block_merge_oddeven_kernelINS1_37wrapped_merge_sort_block_merge_configINS0_14default_configEiN2at4cuda3cub6detail10OpaqueTypeILi8EEEEEPiSC_PSA_SD_jNS1_19radix_merge_compareILb1ELb0EiNS0_19identity_decomposerEEEEEvT0_T1_T2_T3_T4_SL_T5_.uses_vcc, 1
	.set _ZN7rocprim17ROCPRIM_304000_NS6detail33device_block_merge_oddeven_kernelINS1_37wrapped_merge_sort_block_merge_configINS0_14default_configEiN2at4cuda3cub6detail10OpaqueTypeILi8EEEEEPiSC_PSA_SD_jNS1_19radix_merge_compareILb1ELb0EiNS0_19identity_decomposerEEEEEvT0_T1_T2_T3_T4_SL_T5_.uses_flat_scratch, 0
	.set _ZN7rocprim17ROCPRIM_304000_NS6detail33device_block_merge_oddeven_kernelINS1_37wrapped_merge_sort_block_merge_configINS0_14default_configEiN2at4cuda3cub6detail10OpaqueTypeILi8EEEEEPiSC_PSA_SD_jNS1_19radix_merge_compareILb1ELb0EiNS0_19identity_decomposerEEEEEvT0_T1_T2_T3_T4_SL_T5_.has_dyn_sized_stack, 0
	.set _ZN7rocprim17ROCPRIM_304000_NS6detail33device_block_merge_oddeven_kernelINS1_37wrapped_merge_sort_block_merge_configINS0_14default_configEiN2at4cuda3cub6detail10OpaqueTypeILi8EEEEEPiSC_PSA_SD_jNS1_19radix_merge_compareILb1ELb0EiNS0_19identity_decomposerEEEEEvT0_T1_T2_T3_T4_SL_T5_.has_recursion, 0
	.set _ZN7rocprim17ROCPRIM_304000_NS6detail33device_block_merge_oddeven_kernelINS1_37wrapped_merge_sort_block_merge_configINS0_14default_configEiN2at4cuda3cub6detail10OpaqueTypeILi8EEEEEPiSC_PSA_SD_jNS1_19radix_merge_compareILb1ELb0EiNS0_19identity_decomposerEEEEEvT0_T1_T2_T3_T4_SL_T5_.has_indirect_call, 0
	.section	.AMDGPU.csdata,"",@progbits
; Kernel info:
; codeLenInByte = 748
; TotalNumSgprs: 28
; NumVgprs: 11
; NumAgprs: 0
; TotalNumVgprs: 11
; ScratchSize: 0
; MemoryBound: 0
; FloatMode: 240
; IeeeMode: 1
; LDSByteSize: 0 bytes/workgroup (compile time only)
; SGPRBlocks: 3
; VGPRBlocks: 1
; NumSGPRsForWavesPerEU: 28
; NumVGPRsForWavesPerEU: 11
; AccumOffset: 12
; Occupancy: 8
; WaveLimiterHint : 0
; COMPUTE_PGM_RSRC2:SCRATCH_EN: 0
; COMPUTE_PGM_RSRC2:USER_SGPR: 2
; COMPUTE_PGM_RSRC2:TRAP_HANDLER: 0
; COMPUTE_PGM_RSRC2:TGID_X_EN: 1
; COMPUTE_PGM_RSRC2:TGID_Y_EN: 0
; COMPUTE_PGM_RSRC2:TGID_Z_EN: 0
; COMPUTE_PGM_RSRC2:TIDIG_COMP_CNT: 0
; COMPUTE_PGM_RSRC3_GFX90A:ACCUM_OFFSET: 2
; COMPUTE_PGM_RSRC3_GFX90A:TG_SPLIT: 0
	.section	.text._ZN7rocprim17ROCPRIM_304000_NS6detail16transform_kernelINS1_24wrapped_transform_configINS0_14default_configEiEEiPiS6_NS0_8identityIiEEEEvT1_mT2_T3_,"axG",@progbits,_ZN7rocprim17ROCPRIM_304000_NS6detail16transform_kernelINS1_24wrapped_transform_configINS0_14default_configEiEEiPiS6_NS0_8identityIiEEEEvT1_mT2_T3_,comdat
	.protected	_ZN7rocprim17ROCPRIM_304000_NS6detail16transform_kernelINS1_24wrapped_transform_configINS0_14default_configEiEEiPiS6_NS0_8identityIiEEEEvT1_mT2_T3_ ; -- Begin function _ZN7rocprim17ROCPRIM_304000_NS6detail16transform_kernelINS1_24wrapped_transform_configINS0_14default_configEiEEiPiS6_NS0_8identityIiEEEEvT1_mT2_T3_
	.globl	_ZN7rocprim17ROCPRIM_304000_NS6detail16transform_kernelINS1_24wrapped_transform_configINS0_14default_configEiEEiPiS6_NS0_8identityIiEEEEvT1_mT2_T3_
	.p2align	8
	.type	_ZN7rocprim17ROCPRIM_304000_NS6detail16transform_kernelINS1_24wrapped_transform_configINS0_14default_configEiEEiPiS6_NS0_8identityIiEEEEvT1_mT2_T3_,@function
_ZN7rocprim17ROCPRIM_304000_NS6detail16transform_kernelINS1_24wrapped_transform_configINS0_14default_configEiEEiPiS6_NS0_8identityIiEEEEvT1_mT2_T3_: ; @_ZN7rocprim17ROCPRIM_304000_NS6detail16transform_kernelINS1_24wrapped_transform_configINS0_14default_configEiEEiPiS6_NS0_8identityIiEEEEvT1_mT2_T3_
; %bb.0:
	s_load_dword s3, s[0:1], 0x20
	s_load_dwordx4 s[4:7], s[0:1], 0x0
	s_load_dwordx2 s[8:9], s[0:1], 0x10
	s_lshl_b32 s0, s2, 8
	s_mov_b32 s1, 0
	s_waitcnt lgkmcnt(0)
	s_add_i32 s3, s3, -1
	s_lshl_b64 s[10:11], s[0:1], 2
	s_add_u32 s4, s4, s10
	s_addc_u32 s5, s5, s11
	v_mov_b32_e32 v3, 0
	v_lshlrev_b32_e32 v2, 2, v0
	s_cmp_lg_u32 s2, s3
	v_lshl_add_u64 v[4:5], s[4:5], 0, v[2:3]
	s_cbranch_scc0 .LBB79_2
; %bb.1:
	global_load_dword v3, v[4:5], off
	global_load_dword v1, v[4:5], off offset:512
	s_add_u32 s2, s8, s10
	s_addc_u32 s3, s9, s11
	s_waitcnt vmcnt(1)
	global_store_dword v2, v3, s[2:3]
	s_mov_b64 s[2:3], -1
	s_cbranch_execz .LBB79_3
	s_branch .LBB79_10
.LBB79_2:
	s_mov_b64 s[2:3], 0
                                        ; implicit-def: $vgpr1
.LBB79_3:
	s_sub_i32 s4, s6, s0
	v_mov_b32_e32 v6, 0
	v_cmp_gt_u32_e32 vcc, s4, v0
	v_mov_b32_e32 v7, v6
	s_and_saveexec_b64 s[0:1], vcc
	s_cbranch_execz .LBB79_5
; %bb.4:
	global_load_dword v8, v[4:5], off
	v_mov_b32_e32 v9, v6
	s_waitcnt vmcnt(0)
	v_mov_b64_e32 v[6:7], v[8:9]
.LBB79_5:
	s_or_b64 exec, exec, s[0:1]
	v_or_b32_e32 v0, 0x80, v0
	v_cmp_gt_u32_e64 s[0:1], s4, v0
	s_and_saveexec_b64 s[4:5], s[0:1]
	s_cbranch_execnz .LBB79_13
; %bb.6:
	s_or_b64 exec, exec, s[4:5]
	v_cndmask_b32_e32 v0, 0, v6, vcc
	s_and_saveexec_b64 s[4:5], vcc
	s_cbranch_execnz .LBB79_14
.LBB79_7:
	s_or_b64 exec, exec, s[4:5]
                                        ; implicit-def: $vgpr1
	s_and_saveexec_b64 s[4:5], s[0:1]
	s_cbranch_execz .LBB79_9
.LBB79_8:
	s_waitcnt vmcnt(0)
	v_cndmask_b32_e64 v1, 0, v7, s[0:1]
	s_or_b64 s[2:3], s[2:3], exec
.LBB79_9:
	s_or_b64 exec, exec, s[4:5]
.LBB79_10:
	s_and_saveexec_b64 s[0:1], s[2:3]
	s_cbranch_execnz .LBB79_12
; %bb.11:
	s_endpgm
.LBB79_12:
	s_add_u32 s0, s8, s10
	s_addc_u32 s1, s9, s11
	s_waitcnt vmcnt(1)
	global_store_dword v2, v1, s[0:1] offset:512
	s_endpgm
.LBB79_13:
	global_load_dword v7, v[4:5], off offset:512
	s_or_b64 exec, exec, s[4:5]
	v_cndmask_b32_e32 v0, 0, v6, vcc
	s_and_saveexec_b64 s[4:5], vcc
	s_cbranch_execz .LBB79_7
.LBB79_14:
	s_add_u32 s6, s8, s10
	s_addc_u32 s7, s9, s11
	global_store_dword v2, v0, s[6:7]
	s_or_b64 exec, exec, s[4:5]
                                        ; implicit-def: $vgpr1
	s_and_saveexec_b64 s[4:5], s[0:1]
	s_cbranch_execnz .LBB79_8
	s_branch .LBB79_9
	.section	.rodata,"a",@progbits
	.p2align	6, 0x0
	.amdhsa_kernel _ZN7rocprim17ROCPRIM_304000_NS6detail16transform_kernelINS1_24wrapped_transform_configINS0_14default_configEiEEiPiS6_NS0_8identityIiEEEEvT1_mT2_T3_
		.amdhsa_group_segment_fixed_size 0
		.amdhsa_private_segment_fixed_size 0
		.amdhsa_kernarg_size 288
		.amdhsa_user_sgpr_count 2
		.amdhsa_user_sgpr_dispatch_ptr 0
		.amdhsa_user_sgpr_queue_ptr 0
		.amdhsa_user_sgpr_kernarg_segment_ptr 1
		.amdhsa_user_sgpr_dispatch_id 0
		.amdhsa_user_sgpr_kernarg_preload_length 0
		.amdhsa_user_sgpr_kernarg_preload_offset 0
		.amdhsa_user_sgpr_private_segment_size 0
		.amdhsa_uses_dynamic_stack 0
		.amdhsa_enable_private_segment 0
		.amdhsa_system_sgpr_workgroup_id_x 1
		.amdhsa_system_sgpr_workgroup_id_y 0
		.amdhsa_system_sgpr_workgroup_id_z 0
		.amdhsa_system_sgpr_workgroup_info 0
		.amdhsa_system_vgpr_workitem_id 0
		.amdhsa_next_free_vgpr 10
		.amdhsa_next_free_sgpr 12
		.amdhsa_accum_offset 12
		.amdhsa_reserve_vcc 1
		.amdhsa_float_round_mode_32 0
		.amdhsa_float_round_mode_16_64 0
		.amdhsa_float_denorm_mode_32 3
		.amdhsa_float_denorm_mode_16_64 3
		.amdhsa_dx10_clamp 1
		.amdhsa_ieee_mode 1
		.amdhsa_fp16_overflow 0
		.amdhsa_tg_split 0
		.amdhsa_exception_fp_ieee_invalid_op 0
		.amdhsa_exception_fp_denorm_src 0
		.amdhsa_exception_fp_ieee_div_zero 0
		.amdhsa_exception_fp_ieee_overflow 0
		.amdhsa_exception_fp_ieee_underflow 0
		.amdhsa_exception_fp_ieee_inexact 0
		.amdhsa_exception_int_div_zero 0
	.end_amdhsa_kernel
	.section	.text._ZN7rocprim17ROCPRIM_304000_NS6detail16transform_kernelINS1_24wrapped_transform_configINS0_14default_configEiEEiPiS6_NS0_8identityIiEEEEvT1_mT2_T3_,"axG",@progbits,_ZN7rocprim17ROCPRIM_304000_NS6detail16transform_kernelINS1_24wrapped_transform_configINS0_14default_configEiEEiPiS6_NS0_8identityIiEEEEvT1_mT2_T3_,comdat
.Lfunc_end79:
	.size	_ZN7rocprim17ROCPRIM_304000_NS6detail16transform_kernelINS1_24wrapped_transform_configINS0_14default_configEiEEiPiS6_NS0_8identityIiEEEEvT1_mT2_T3_, .Lfunc_end79-_ZN7rocprim17ROCPRIM_304000_NS6detail16transform_kernelINS1_24wrapped_transform_configINS0_14default_configEiEEiPiS6_NS0_8identityIiEEEEvT1_mT2_T3_
                                        ; -- End function
	.set _ZN7rocprim17ROCPRIM_304000_NS6detail16transform_kernelINS1_24wrapped_transform_configINS0_14default_configEiEEiPiS6_NS0_8identityIiEEEEvT1_mT2_T3_.num_vgpr, 10
	.set _ZN7rocprim17ROCPRIM_304000_NS6detail16transform_kernelINS1_24wrapped_transform_configINS0_14default_configEiEEiPiS6_NS0_8identityIiEEEEvT1_mT2_T3_.num_agpr, 0
	.set _ZN7rocprim17ROCPRIM_304000_NS6detail16transform_kernelINS1_24wrapped_transform_configINS0_14default_configEiEEiPiS6_NS0_8identityIiEEEEvT1_mT2_T3_.numbered_sgpr, 12
	.set _ZN7rocprim17ROCPRIM_304000_NS6detail16transform_kernelINS1_24wrapped_transform_configINS0_14default_configEiEEiPiS6_NS0_8identityIiEEEEvT1_mT2_T3_.num_named_barrier, 0
	.set _ZN7rocprim17ROCPRIM_304000_NS6detail16transform_kernelINS1_24wrapped_transform_configINS0_14default_configEiEEiPiS6_NS0_8identityIiEEEEvT1_mT2_T3_.private_seg_size, 0
	.set _ZN7rocprim17ROCPRIM_304000_NS6detail16transform_kernelINS1_24wrapped_transform_configINS0_14default_configEiEEiPiS6_NS0_8identityIiEEEEvT1_mT2_T3_.uses_vcc, 1
	.set _ZN7rocprim17ROCPRIM_304000_NS6detail16transform_kernelINS1_24wrapped_transform_configINS0_14default_configEiEEiPiS6_NS0_8identityIiEEEEvT1_mT2_T3_.uses_flat_scratch, 0
	.set _ZN7rocprim17ROCPRIM_304000_NS6detail16transform_kernelINS1_24wrapped_transform_configINS0_14default_configEiEEiPiS6_NS0_8identityIiEEEEvT1_mT2_T3_.has_dyn_sized_stack, 0
	.set _ZN7rocprim17ROCPRIM_304000_NS6detail16transform_kernelINS1_24wrapped_transform_configINS0_14default_configEiEEiPiS6_NS0_8identityIiEEEEvT1_mT2_T3_.has_recursion, 0
	.set _ZN7rocprim17ROCPRIM_304000_NS6detail16transform_kernelINS1_24wrapped_transform_configINS0_14default_configEiEEiPiS6_NS0_8identityIiEEEEvT1_mT2_T3_.has_indirect_call, 0
	.section	.AMDGPU.csdata,"",@progbits
; Kernel info:
; codeLenInByte = 340
; TotalNumSgprs: 18
; NumVgprs: 10
; NumAgprs: 0
; TotalNumVgprs: 10
; ScratchSize: 0
; MemoryBound: 0
; FloatMode: 240
; IeeeMode: 1
; LDSByteSize: 0 bytes/workgroup (compile time only)
; SGPRBlocks: 2
; VGPRBlocks: 1
; NumSGPRsForWavesPerEU: 18
; NumVGPRsForWavesPerEU: 10
; AccumOffset: 12
; Occupancy: 8
; WaveLimiterHint : 1
; COMPUTE_PGM_RSRC2:SCRATCH_EN: 0
; COMPUTE_PGM_RSRC2:USER_SGPR: 2
; COMPUTE_PGM_RSRC2:TRAP_HANDLER: 0
; COMPUTE_PGM_RSRC2:TGID_X_EN: 1
; COMPUTE_PGM_RSRC2:TGID_Y_EN: 0
; COMPUTE_PGM_RSRC2:TGID_Z_EN: 0
; COMPUTE_PGM_RSRC2:TIDIG_COMP_CNT: 0
; COMPUTE_PGM_RSRC3_GFX90A:ACCUM_OFFSET: 2
; COMPUTE_PGM_RSRC3_GFX90A:TG_SPLIT: 0
	.section	.text._ZN7rocprim17ROCPRIM_304000_NS6detail45device_block_merge_mergepath_partition_kernelINS1_37wrapped_merge_sort_block_merge_configINS0_14default_configEiN2at4cuda3cub6detail10OpaqueTypeILi8EEEEEPijNS1_19radix_merge_compareILb1ELb1EiNS0_19identity_decomposerEEEEEvT0_T1_jPSH_T2_SH_,"axG",@progbits,_ZN7rocprim17ROCPRIM_304000_NS6detail45device_block_merge_mergepath_partition_kernelINS1_37wrapped_merge_sort_block_merge_configINS0_14default_configEiN2at4cuda3cub6detail10OpaqueTypeILi8EEEEEPijNS1_19radix_merge_compareILb1ELb1EiNS0_19identity_decomposerEEEEEvT0_T1_jPSH_T2_SH_,comdat
	.protected	_ZN7rocprim17ROCPRIM_304000_NS6detail45device_block_merge_mergepath_partition_kernelINS1_37wrapped_merge_sort_block_merge_configINS0_14default_configEiN2at4cuda3cub6detail10OpaqueTypeILi8EEEEEPijNS1_19radix_merge_compareILb1ELb1EiNS0_19identity_decomposerEEEEEvT0_T1_jPSH_T2_SH_ ; -- Begin function _ZN7rocprim17ROCPRIM_304000_NS6detail45device_block_merge_mergepath_partition_kernelINS1_37wrapped_merge_sort_block_merge_configINS0_14default_configEiN2at4cuda3cub6detail10OpaqueTypeILi8EEEEEPijNS1_19radix_merge_compareILb1ELb1EiNS0_19identity_decomposerEEEEEvT0_T1_jPSH_T2_SH_
	.globl	_ZN7rocprim17ROCPRIM_304000_NS6detail45device_block_merge_mergepath_partition_kernelINS1_37wrapped_merge_sort_block_merge_configINS0_14default_configEiN2at4cuda3cub6detail10OpaqueTypeILi8EEEEEPijNS1_19radix_merge_compareILb1ELb1EiNS0_19identity_decomposerEEEEEvT0_T1_jPSH_T2_SH_
	.p2align	8
	.type	_ZN7rocprim17ROCPRIM_304000_NS6detail45device_block_merge_mergepath_partition_kernelINS1_37wrapped_merge_sort_block_merge_configINS0_14default_configEiN2at4cuda3cub6detail10OpaqueTypeILi8EEEEEPijNS1_19radix_merge_compareILb1ELb1EiNS0_19identity_decomposerEEEEEvT0_T1_jPSH_T2_SH_,@function
_ZN7rocprim17ROCPRIM_304000_NS6detail45device_block_merge_mergepath_partition_kernelINS1_37wrapped_merge_sort_block_merge_configINS0_14default_configEiN2at4cuda3cub6detail10OpaqueTypeILi8EEEEEPijNS1_19radix_merge_compareILb1ELb1EiNS0_19identity_decomposerEEEEEvT0_T1_jPSH_T2_SH_: ; @_ZN7rocprim17ROCPRIM_304000_NS6detail45device_block_merge_mergepath_partition_kernelINS1_37wrapped_merge_sort_block_merge_configINS0_14default_configEiN2at4cuda3cub6detail10OpaqueTypeILi8EEEEEPijNS1_19radix_merge_compareILb1ELb1EiNS0_19identity_decomposerEEEEEvT0_T1_jPSH_T2_SH_
; %bb.0:
	s_load_dwordx2 s[4:5], s[0:1], 0x8
	v_lshl_or_b32 v0, s2, 7, v0
	s_waitcnt lgkmcnt(0)
	v_cmp_gt_u32_e32 vcc, s5, v0
	s_and_saveexec_b64 s[2:3], vcc
	s_cbranch_execz .LBB80_6
; %bb.1:
	s_load_dwordx2 s[2:3], s[0:1], 0x18
	s_waitcnt lgkmcnt(0)
	s_lshr_b32 s5, s3, 9
	s_and_b32 s5, s5, 0x7ffffe
	s_add_i32 s6, s5, -1
	s_sub_i32 s5, 0, s5
	v_and_b32_e32 v1, s5, v0
	v_and_b32_e32 v2, s6, v0
	v_lshlrev_b32_e32 v1, 10, v1
	v_lshlrev_b32_e32 v3, 10, v2
	v_min_u32_e32 v2, s4, v1
	v_add_u32_e32 v1, s3, v1
	v_min_u32_e32 v4, s4, v1
	v_add_u32_e32 v1, s3, v4
	v_min_u32_e32 v1, s4, v1
	v_sub_u32_e32 v5, v1, v2
	v_min_u32_e32 v10, v5, v3
	v_sub_u32_e32 v3, v4, v2
	v_sub_u32_e32 v1, v1, v4
	v_sub_u32_e64 v1, v10, v1 clamp
	v_min_u32_e32 v11, v10, v3
	v_cmp_lt_u32_e32 vcc, v1, v11
	s_and_saveexec_b64 s[4:5], vcc
	s_cbranch_execz .LBB80_5
; %bb.2:
	s_load_dwordx2 s[6:7], s[0:1], 0x0
	v_mov_b32_e32 v5, 0
	v_mov_b32_e32 v3, v5
	s_waitcnt lgkmcnt(0)
	v_lshl_add_u64 v[6:7], v[2:3], 2, s[6:7]
	v_lshl_add_u64 v[8:9], v[4:5], 2, s[6:7]
	s_mov_b64 s[6:7], 0
.LBB80_3:                               ; =>This Inner Loop Header: Depth=1
	v_add_u32_e32 v3, v11, v1
	v_lshrrev_b32_e32 v4, 1, v3
	v_mov_b32_e32 v13, v5
	v_xad_u32 v12, v4, -1, v10
	v_lshl_add_u64 v[14:15], v[4:5], 2, v[6:7]
	v_lshl_add_u64 v[12:13], v[12:13], 2, v[8:9]
	global_load_dword v3, v[14:15], off
	global_load_dword v16, v[12:13], off
	v_add_u32_e32 v12, 1, v4
	s_waitcnt vmcnt(1)
	v_and_b32_e32 v3, s2, v3
	s_waitcnt vmcnt(0)
	v_and_b32_e32 v13, s2, v16
	v_cmp_gt_i32_e32 vcc, v13, v3
	s_nop 1
	v_cndmask_b32_e32 v11, v11, v4, vcc
	v_cndmask_b32_e32 v1, v12, v1, vcc
	v_cmp_ge_u32_e32 vcc, v1, v11
	s_or_b64 s[6:7], vcc, s[6:7]
	s_andn2_b64 exec, exec, s[6:7]
	s_cbranch_execnz .LBB80_3
; %bb.4:
	s_or_b64 exec, exec, s[6:7]
.LBB80_5:
	s_or_b64 exec, exec, s[4:5]
	s_load_dwordx2 s[0:1], s[0:1], 0x10
	v_add_u32_e32 v2, v1, v2
	v_mov_b32_e32 v1, 0
	s_waitcnt lgkmcnt(0)
	v_lshl_add_u64 v[0:1], v[0:1], 2, s[0:1]
	global_store_dword v[0:1], v2, off
.LBB80_6:
	s_endpgm
	.section	.rodata,"a",@progbits
	.p2align	6, 0x0
	.amdhsa_kernel _ZN7rocprim17ROCPRIM_304000_NS6detail45device_block_merge_mergepath_partition_kernelINS1_37wrapped_merge_sort_block_merge_configINS0_14default_configEiN2at4cuda3cub6detail10OpaqueTypeILi8EEEEEPijNS1_19radix_merge_compareILb1ELb1EiNS0_19identity_decomposerEEEEEvT0_T1_jPSH_T2_SH_
		.amdhsa_group_segment_fixed_size 0
		.amdhsa_private_segment_fixed_size 0
		.amdhsa_kernarg_size 32
		.amdhsa_user_sgpr_count 2
		.amdhsa_user_sgpr_dispatch_ptr 0
		.amdhsa_user_sgpr_queue_ptr 0
		.amdhsa_user_sgpr_kernarg_segment_ptr 1
		.amdhsa_user_sgpr_dispatch_id 0
		.amdhsa_user_sgpr_kernarg_preload_length 0
		.amdhsa_user_sgpr_kernarg_preload_offset 0
		.amdhsa_user_sgpr_private_segment_size 0
		.amdhsa_uses_dynamic_stack 0
		.amdhsa_enable_private_segment 0
		.amdhsa_system_sgpr_workgroup_id_x 1
		.amdhsa_system_sgpr_workgroup_id_y 0
		.amdhsa_system_sgpr_workgroup_id_z 0
		.amdhsa_system_sgpr_workgroup_info 0
		.amdhsa_system_vgpr_workitem_id 0
		.amdhsa_next_free_vgpr 17
		.amdhsa_next_free_sgpr 8
		.amdhsa_accum_offset 20
		.amdhsa_reserve_vcc 1
		.amdhsa_float_round_mode_32 0
		.amdhsa_float_round_mode_16_64 0
		.amdhsa_float_denorm_mode_32 3
		.amdhsa_float_denorm_mode_16_64 3
		.amdhsa_dx10_clamp 1
		.amdhsa_ieee_mode 1
		.amdhsa_fp16_overflow 0
		.amdhsa_tg_split 0
		.amdhsa_exception_fp_ieee_invalid_op 0
		.amdhsa_exception_fp_denorm_src 0
		.amdhsa_exception_fp_ieee_div_zero 0
		.amdhsa_exception_fp_ieee_overflow 0
		.amdhsa_exception_fp_ieee_underflow 0
		.amdhsa_exception_fp_ieee_inexact 0
		.amdhsa_exception_int_div_zero 0
	.end_amdhsa_kernel
	.section	.text._ZN7rocprim17ROCPRIM_304000_NS6detail45device_block_merge_mergepath_partition_kernelINS1_37wrapped_merge_sort_block_merge_configINS0_14default_configEiN2at4cuda3cub6detail10OpaqueTypeILi8EEEEEPijNS1_19radix_merge_compareILb1ELb1EiNS0_19identity_decomposerEEEEEvT0_T1_jPSH_T2_SH_,"axG",@progbits,_ZN7rocprim17ROCPRIM_304000_NS6detail45device_block_merge_mergepath_partition_kernelINS1_37wrapped_merge_sort_block_merge_configINS0_14default_configEiN2at4cuda3cub6detail10OpaqueTypeILi8EEEEEPijNS1_19radix_merge_compareILb1ELb1EiNS0_19identity_decomposerEEEEEvT0_T1_jPSH_T2_SH_,comdat
.Lfunc_end80:
	.size	_ZN7rocprim17ROCPRIM_304000_NS6detail45device_block_merge_mergepath_partition_kernelINS1_37wrapped_merge_sort_block_merge_configINS0_14default_configEiN2at4cuda3cub6detail10OpaqueTypeILi8EEEEEPijNS1_19radix_merge_compareILb1ELb1EiNS0_19identity_decomposerEEEEEvT0_T1_jPSH_T2_SH_, .Lfunc_end80-_ZN7rocprim17ROCPRIM_304000_NS6detail45device_block_merge_mergepath_partition_kernelINS1_37wrapped_merge_sort_block_merge_configINS0_14default_configEiN2at4cuda3cub6detail10OpaqueTypeILi8EEEEEPijNS1_19radix_merge_compareILb1ELb1EiNS0_19identity_decomposerEEEEEvT0_T1_jPSH_T2_SH_
                                        ; -- End function
	.set _ZN7rocprim17ROCPRIM_304000_NS6detail45device_block_merge_mergepath_partition_kernelINS1_37wrapped_merge_sort_block_merge_configINS0_14default_configEiN2at4cuda3cub6detail10OpaqueTypeILi8EEEEEPijNS1_19radix_merge_compareILb1ELb1EiNS0_19identity_decomposerEEEEEvT0_T1_jPSH_T2_SH_.num_vgpr, 17
	.set _ZN7rocprim17ROCPRIM_304000_NS6detail45device_block_merge_mergepath_partition_kernelINS1_37wrapped_merge_sort_block_merge_configINS0_14default_configEiN2at4cuda3cub6detail10OpaqueTypeILi8EEEEEPijNS1_19radix_merge_compareILb1ELb1EiNS0_19identity_decomposerEEEEEvT0_T1_jPSH_T2_SH_.num_agpr, 0
	.set _ZN7rocprim17ROCPRIM_304000_NS6detail45device_block_merge_mergepath_partition_kernelINS1_37wrapped_merge_sort_block_merge_configINS0_14default_configEiN2at4cuda3cub6detail10OpaqueTypeILi8EEEEEPijNS1_19radix_merge_compareILb1ELb1EiNS0_19identity_decomposerEEEEEvT0_T1_jPSH_T2_SH_.numbered_sgpr, 8
	.set _ZN7rocprim17ROCPRIM_304000_NS6detail45device_block_merge_mergepath_partition_kernelINS1_37wrapped_merge_sort_block_merge_configINS0_14default_configEiN2at4cuda3cub6detail10OpaqueTypeILi8EEEEEPijNS1_19radix_merge_compareILb1ELb1EiNS0_19identity_decomposerEEEEEvT0_T1_jPSH_T2_SH_.num_named_barrier, 0
	.set _ZN7rocprim17ROCPRIM_304000_NS6detail45device_block_merge_mergepath_partition_kernelINS1_37wrapped_merge_sort_block_merge_configINS0_14default_configEiN2at4cuda3cub6detail10OpaqueTypeILi8EEEEEPijNS1_19radix_merge_compareILb1ELb1EiNS0_19identity_decomposerEEEEEvT0_T1_jPSH_T2_SH_.private_seg_size, 0
	.set _ZN7rocprim17ROCPRIM_304000_NS6detail45device_block_merge_mergepath_partition_kernelINS1_37wrapped_merge_sort_block_merge_configINS0_14default_configEiN2at4cuda3cub6detail10OpaqueTypeILi8EEEEEPijNS1_19radix_merge_compareILb1ELb1EiNS0_19identity_decomposerEEEEEvT0_T1_jPSH_T2_SH_.uses_vcc, 1
	.set _ZN7rocprim17ROCPRIM_304000_NS6detail45device_block_merge_mergepath_partition_kernelINS1_37wrapped_merge_sort_block_merge_configINS0_14default_configEiN2at4cuda3cub6detail10OpaqueTypeILi8EEEEEPijNS1_19radix_merge_compareILb1ELb1EiNS0_19identity_decomposerEEEEEvT0_T1_jPSH_T2_SH_.uses_flat_scratch, 0
	.set _ZN7rocprim17ROCPRIM_304000_NS6detail45device_block_merge_mergepath_partition_kernelINS1_37wrapped_merge_sort_block_merge_configINS0_14default_configEiN2at4cuda3cub6detail10OpaqueTypeILi8EEEEEPijNS1_19radix_merge_compareILb1ELb1EiNS0_19identity_decomposerEEEEEvT0_T1_jPSH_T2_SH_.has_dyn_sized_stack, 0
	.set _ZN7rocprim17ROCPRIM_304000_NS6detail45device_block_merge_mergepath_partition_kernelINS1_37wrapped_merge_sort_block_merge_configINS0_14default_configEiN2at4cuda3cub6detail10OpaqueTypeILi8EEEEEPijNS1_19radix_merge_compareILb1ELb1EiNS0_19identity_decomposerEEEEEvT0_T1_jPSH_T2_SH_.has_recursion, 0
	.set _ZN7rocprim17ROCPRIM_304000_NS6detail45device_block_merge_mergepath_partition_kernelINS1_37wrapped_merge_sort_block_merge_configINS0_14default_configEiN2at4cuda3cub6detail10OpaqueTypeILi8EEEEEPijNS1_19radix_merge_compareILb1ELb1EiNS0_19identity_decomposerEEEEEvT0_T1_jPSH_T2_SH_.has_indirect_call, 0
	.section	.AMDGPU.csdata,"",@progbits
; Kernel info:
; codeLenInByte = 332
; TotalNumSgprs: 14
; NumVgprs: 17
; NumAgprs: 0
; TotalNumVgprs: 17
; ScratchSize: 0
; MemoryBound: 0
; FloatMode: 240
; IeeeMode: 1
; LDSByteSize: 0 bytes/workgroup (compile time only)
; SGPRBlocks: 1
; VGPRBlocks: 2
; NumSGPRsForWavesPerEU: 14
; NumVGPRsForWavesPerEU: 17
; AccumOffset: 20
; Occupancy: 8
; WaveLimiterHint : 0
; COMPUTE_PGM_RSRC2:SCRATCH_EN: 0
; COMPUTE_PGM_RSRC2:USER_SGPR: 2
; COMPUTE_PGM_RSRC2:TRAP_HANDLER: 0
; COMPUTE_PGM_RSRC2:TGID_X_EN: 1
; COMPUTE_PGM_RSRC2:TGID_Y_EN: 0
; COMPUTE_PGM_RSRC2:TGID_Z_EN: 0
; COMPUTE_PGM_RSRC2:TIDIG_COMP_CNT: 0
; COMPUTE_PGM_RSRC3_GFX90A:ACCUM_OFFSET: 4
; COMPUTE_PGM_RSRC3_GFX90A:TG_SPLIT: 0
	.section	.text._ZN7rocprim17ROCPRIM_304000_NS6detail35device_block_merge_mergepath_kernelINS1_37wrapped_merge_sort_block_merge_configINS0_14default_configEiN2at4cuda3cub6detail10OpaqueTypeILi8EEEEEPiSC_PSA_SD_jNS1_19radix_merge_compareILb1ELb1EiNS0_19identity_decomposerEEEEEvT0_T1_T2_T3_T4_SL_jT5_PKSL_NS1_7vsmem_tE,"axG",@progbits,_ZN7rocprim17ROCPRIM_304000_NS6detail35device_block_merge_mergepath_kernelINS1_37wrapped_merge_sort_block_merge_configINS0_14default_configEiN2at4cuda3cub6detail10OpaqueTypeILi8EEEEEPiSC_PSA_SD_jNS1_19radix_merge_compareILb1ELb1EiNS0_19identity_decomposerEEEEEvT0_T1_T2_T3_T4_SL_jT5_PKSL_NS1_7vsmem_tE,comdat
	.protected	_ZN7rocprim17ROCPRIM_304000_NS6detail35device_block_merge_mergepath_kernelINS1_37wrapped_merge_sort_block_merge_configINS0_14default_configEiN2at4cuda3cub6detail10OpaqueTypeILi8EEEEEPiSC_PSA_SD_jNS1_19radix_merge_compareILb1ELb1EiNS0_19identity_decomposerEEEEEvT0_T1_T2_T3_T4_SL_jT5_PKSL_NS1_7vsmem_tE ; -- Begin function _ZN7rocprim17ROCPRIM_304000_NS6detail35device_block_merge_mergepath_kernelINS1_37wrapped_merge_sort_block_merge_configINS0_14default_configEiN2at4cuda3cub6detail10OpaqueTypeILi8EEEEEPiSC_PSA_SD_jNS1_19radix_merge_compareILb1ELb1EiNS0_19identity_decomposerEEEEEvT0_T1_T2_T3_T4_SL_jT5_PKSL_NS1_7vsmem_tE
	.globl	_ZN7rocprim17ROCPRIM_304000_NS6detail35device_block_merge_mergepath_kernelINS1_37wrapped_merge_sort_block_merge_configINS0_14default_configEiN2at4cuda3cub6detail10OpaqueTypeILi8EEEEEPiSC_PSA_SD_jNS1_19radix_merge_compareILb1ELb1EiNS0_19identity_decomposerEEEEEvT0_T1_T2_T3_T4_SL_jT5_PKSL_NS1_7vsmem_tE
	.p2align	8
	.type	_ZN7rocprim17ROCPRIM_304000_NS6detail35device_block_merge_mergepath_kernelINS1_37wrapped_merge_sort_block_merge_configINS0_14default_configEiN2at4cuda3cub6detail10OpaqueTypeILi8EEEEEPiSC_PSA_SD_jNS1_19radix_merge_compareILb1ELb1EiNS0_19identity_decomposerEEEEEvT0_T1_T2_T3_T4_SL_jT5_PKSL_NS1_7vsmem_tE,@function
_ZN7rocprim17ROCPRIM_304000_NS6detail35device_block_merge_mergepath_kernelINS1_37wrapped_merge_sort_block_merge_configINS0_14default_configEiN2at4cuda3cub6detail10OpaqueTypeILi8EEEEEPiSC_PSA_SD_jNS1_19radix_merge_compareILb1ELb1EiNS0_19identity_decomposerEEEEEvT0_T1_T2_T3_T4_SL_jT5_PKSL_NS1_7vsmem_tE: ; @_ZN7rocprim17ROCPRIM_304000_NS6detail35device_block_merge_mergepath_kernelINS1_37wrapped_merge_sort_block_merge_configINS0_14default_configEiN2at4cuda3cub6detail10OpaqueTypeILi8EEEEEPiSC_PSA_SD_jNS1_19radix_merge_compareILb1ELb1EiNS0_19identity_decomposerEEEEEvT0_T1_T2_T3_T4_SL_jT5_PKSL_NS1_7vsmem_tE
; %bb.0:
	s_load_dwordx2 s[26:27], s[0:1], 0x40
	s_load_dwordx4 s[12:15], s[0:1], 0x20
	s_add_u32 s24, s0, 64
	s_addc_u32 s25, s1, 0
	s_waitcnt lgkmcnt(0)
	s_mul_i32 s4, s27, s4
	s_add_i32 s3, s4, s3
	s_mul_i32 s3, s3, s26
	s_add_i32 s22, s3, s2
	s_cmp_ge_u32 s22, s14
	s_cbranch_scc1 .LBB81_51
; %bb.1:
	s_load_dwordx8 s[4:11], s[0:1], 0x0
	s_load_dwordx2 s[18:19], s[0:1], 0x30
	s_lshr_b32 s30, s12, 10
	s_cmp_lg_u32 s22, s30
	s_mov_b32 s23, 0
	s_cselect_b64 s[16:17], -1, 0
	s_lshl_b64 s[0:1], s[22:23], 2
	s_waitcnt lgkmcnt(0)
	s_add_u32 s0, s18, s0
	s_addc_u32 s1, s19, s1
	s_load_dwordx2 s[18:19], s[0:1], 0x0
	s_lshr_b32 s0, s13, 9
	s_and_b32 s0, s0, 0x7ffffe
	s_sub_i32 s0, 0, s0
	s_and_b32 s1, s22, s0
	s_lshl_b32 s3, s1, 10
	s_lshl_b32 s14, s22, 10
	;; [unrolled: 1-line block ×3, first 2 shown]
	s_sub_i32 s20, s14, s3
	s_add_i32 s1, s1, s13
	s_add_i32 s21, s1, s20
	s_waitcnt lgkmcnt(0)
	s_sub_i32 s20, s21, s18
	s_sub_i32 s21, s21, s19
	;; [unrolled: 1-line block ×3, first 2 shown]
	s_min_u32 s20, s12, s20
	s_addk_i32 s21, 0x400
	s_or_b32 s0, s22, s0
	s_min_u32 s3, s12, s1
	s_add_i32 s1, s1, s13
	s_cmp_eq_u32 s0, -1
	s_cselect_b32 s0, s1, s21
	s_cselect_b32 s1, s3, s19
	s_min_u32 s0, s0, s12
	s_mov_b32 s19, s23
	s_sub_i32 s13, s1, s18
	s_sub_i32 s27, s0, s20
	s_lshl_b64 s[0:1], s[18:19], 2
	s_add_u32 s0, s4, s0
	s_mov_b32 s21, s23
	s_addc_u32 s1, s5, s1
	s_lshl_b64 s[28:29], s[20:21], 2
	s_add_u32 s4, s4, s28
	s_addc_u32 s5, s5, s29
	s_cmp_lt_u32 s2, s26
	v_mov_b32_e32 v3, 0
	s_cselect_b32 s2, 12, 18
	global_load_dword v1, v3, s[24:25] offset:14
	s_add_u32 s2, s24, s2
	s_addc_u32 s3, s25, 0
	global_load_ushort v2, v3, s[2:3]
	v_cmp_gt_u32_e32 vcc, s13, v0
	s_cmp_eq_u32 s22, s30
	s_waitcnt vmcnt(1)
	v_lshrrev_b32_e32 v4, 16, v1
	v_and_b32_e32 v1, 0xffff, v1
	v_mul_lo_u32 v1, v1, v4
	s_waitcnt vmcnt(0)
	v_mul_lo_u32 v1, v1, v2
	v_lshlrev_b32_e32 v2, 2, v0
	v_add_u32_e32 v6, v1, v0
	s_cbranch_scc1 .LBB81_3
; %bb.2:
	v_subrev_u32_e32 v1, s13, v0
	v_lshlrev_b32_e32 v8, 2, v1
	v_mov_b32_e32 v9, v3
	v_lshl_add_u64 v[4:5], s[0:1], 0, v[2:3]
	v_lshl_add_u64 v[8:9], s[4:5], 0, v[8:9]
	v_cndmask_b32_e32 v5, v9, v5, vcc
	v_cndmask_b32_e32 v4, v8, v4, vcc
	v_mov_b32_e32 v7, v3
	v_subrev_co_u32_e32 v10, vcc, s13, v6
	v_mov_b32_e32 v11, v3
	v_lshl_add_u64 v[8:9], v[6:7], 2, s[0:1]
	v_lshl_add_u64 v[10:11], v[10:11], 2, s[4:5]
	v_cndmask_b32_e32 v9, v11, v9, vcc
	v_cndmask_b32_e32 v8, v10, v8, vcc
	global_load_dword v4, v[4:5], off
	s_add_i32 s22, s27, s13
	global_load_dword v1, v[8:9], off
	v_mov_b32_e32 v5, s22
	s_cbranch_execz .LBB81_4
	s_branch .LBB81_9
.LBB81_3:
                                        ; implicit-def: $vgpr1
                                        ; implicit-def: $vgpr5
                                        ; implicit-def: $vgpr4
.LBB81_4:
	s_add_i32 s22, s27, s13
	v_cmp_gt_u32_e32 vcc, s22, v0
	s_waitcnt vmcnt(0)
	v_mov_b32_e32 v1, 0
	v_mov_b32_e32 v4, 0
	s_and_saveexec_b64 s[2:3], vcc
	s_cbranch_execz .LBB81_6
; %bb.5:
	v_mov_b32_e32 v3, 0
	v_subrev_u32_e32 v7, s13, v0
	v_lshlrev_b32_e32 v8, 2, v7
	v_mov_b32_e32 v9, v3
	v_lshl_add_u64 v[4:5], s[0:1], 0, v[2:3]
	v_lshl_add_u64 v[8:9], s[4:5], 0, v[8:9]
	v_cmp_gt_u32_e32 vcc, s13, v0
	s_nop 1
	v_cndmask_b32_e32 v5, v9, v5, vcc
	v_cndmask_b32_e32 v4, v8, v4, vcc
	global_load_dword v4, v[4:5], off
.LBB81_6:
	s_or_b64 exec, exec, s[2:3]
	v_cmp_gt_u32_e32 vcc, s22, v6
	s_and_saveexec_b64 s[2:3], vcc
	s_cbranch_execz .LBB81_8
; %bb.7:
	v_mov_b32_e32 v7, 0
	v_lshl_add_u64 v[8:9], v[6:7], 2, s[0:1]
	v_subrev_co_u32_e32 v6, vcc, s13, v6
	v_lshl_add_u64 v[6:7], v[6:7], 2, s[4:5]
	s_nop 0
	v_cndmask_b32_e32 v7, v7, v9, vcc
	v_cndmask_b32_e32 v6, v6, v8, vcc
	global_load_dword v1, v[6:7], off
.LBB81_8:
	s_or_b64 exec, exec, s[2:3]
	v_mov_b32_e32 v5, s22
.LBB81_9:
	v_lshlrev_b32_e32 v3, 1, v0
	v_min_u32_e32 v7, v5, v3
	v_sub_u32_e64 v6, v7, s27 clamp
	v_min_u32_e32 v8, s13, v7
	v_cmp_lt_u32_e32 vcc, v6, v8
	s_waitcnt vmcnt(0)
	ds_write2st64_b32 v2, v4, v1 offset1:8
	s_waitcnt lgkmcnt(0)
	s_barrier
	s_and_saveexec_b64 s[0:1], vcc
	s_cbranch_execz .LBB81_13
; %bb.10:
	v_lshlrev_b32_e32 v9, 2, v7
	v_lshl_add_u32 v9, s13, 2, v9
	s_mov_b64 s[2:3], 0
.LBB81_11:                              ; =>This Inner Loop Header: Depth=1
	v_add_u32_e32 v10, v8, v6
	v_lshrrev_b32_e32 v10, 1, v10
	v_not_b32_e32 v11, v10
	v_lshlrev_b32_e32 v12, 2, v10
	v_lshl_add_u32 v11, v11, 2, v9
	ds_read_b32 v12, v12
	ds_read_b32 v11, v11
	v_add_u32_e32 v13, 1, v10
	s_waitcnt lgkmcnt(1)
	v_and_b32_e32 v12, s15, v12
	s_waitcnt lgkmcnt(0)
	v_and_b32_e32 v11, s15, v11
	v_cmp_gt_i32_e32 vcc, v11, v12
	s_nop 1
	v_cndmask_b32_e32 v8, v8, v10, vcc
	v_cndmask_b32_e32 v6, v13, v6, vcc
	v_cmp_ge_u32_e32 vcc, v6, v8
	s_or_b64 s[2:3], vcc, s[2:3]
	s_andn2_b64 exec, exec, s[2:3]
	s_cbranch_execnz .LBB81_11
; %bb.12:
	s_or_b64 exec, exec, s[2:3]
.LBB81_13:
	s_or_b64 exec, exec, s[0:1]
	v_sub_u32_e32 v7, v7, v6
	v_add_u32_e32 v7, s13, v7
	v_cmp_ge_u32_e32 vcc, s13, v6
	v_cmp_le_u32_e64 s[0:1], v7, v5
	s_or_b64 s[0:1], vcc, s[0:1]
	v_mov_b32_e32 v10, 0
	v_mov_b32_e32 v11, 0
	s_and_saveexec_b64 s[4:5], s[0:1]
	s_cbranch_execz .LBB81_19
; %bb.14:
	v_cmp_gt_u32_e32 vcc, s13, v6
                                        ; implicit-def: $vgpr1
	s_and_saveexec_b64 s[0:1], vcc
; %bb.15:
	v_lshlrev_b32_e32 v1, 2, v6
	ds_read_b32 v1, v1
; %bb.16:
	s_or_b64 exec, exec, s[0:1]
	v_cmp_ge_u32_e64 s[0:1], v7, v5
	v_cmp_lt_u32_e64 s[2:3], v7, v5
                                        ; implicit-def: $vgpr8
	s_and_saveexec_b64 s[22:23], s[2:3]
; %bb.17:
	v_lshlrev_b32_e32 v4, 2, v7
	ds_read_b32 v8, v4
; %bb.18:
	s_or_b64 exec, exec, s[22:23]
	s_waitcnt lgkmcnt(0)
	v_and_b32_e32 v4, s15, v8
	v_and_b32_e32 v9, s15, v1
	v_cmp_le_i32_e64 s[2:3], v4, v9
	s_and_b64 s[2:3], vcc, s[2:3]
	s_or_b64 vcc, s[0:1], s[2:3]
	v_mov_b32_e32 v4, s13
	v_cndmask_b32_e32 v11, v7, v6, vcc
	v_cndmask_b32_e32 v4, v5, v4, vcc
	v_add_u32_e32 v9, 1, v11
	v_add_u32_e32 v4, -1, v4
	v_min_u32_e32 v4, v9, v4
	v_lshlrev_b32_e32 v4, 2, v4
	ds_read_b32 v10, v4
	v_cndmask_b32_e32 v4, v8, v1, vcc
	v_cndmask_b32_e32 v7, v9, v7, vcc
	;; [unrolled: 1-line block ×3, first 2 shown]
	v_cmp_gt_u32_e64 s[0:1], s13, v6
	s_waitcnt lgkmcnt(0)
	v_cndmask_b32_e32 v8, v10, v8, vcc
	v_cndmask_b32_e32 v1, v1, v10, vcc
	v_and_b32_e32 v9, s15, v8
	v_and_b32_e32 v10, s15, v1
	v_cmp_le_i32_e64 s[2:3], v9, v10
	v_cmp_ge_u32_e32 vcc, v7, v5
	s_and_b64 s[0:1], s[0:1], s[2:3]
	s_or_b64 vcc, vcc, s[0:1]
	v_cndmask_b32_e32 v10, v7, v6, vcc
	v_cndmask_b32_e32 v1, v8, v1, vcc
.LBB81_19:
	s_or_b64 exec, exec, s[4:5]
	s_lshl_b64 s[0:1], s[18:19], 3
	s_add_u32 s18, s8, s0
	s_addc_u32 s19, s9, s1
	s_lshl_b64 s[0:1], s[20:21], 3
	s_add_u32 s8, s8, s0
	v_cndmask_b32_e64 v6, 0, 1, s[16:17]
	v_mov_b32_e32 v7, 0
	s_addc_u32 s9, s9, s1
	v_cmp_gt_u32_e64 s[4:5], s13, v0
	v_cmp_ne_u32_e64 s[0:1], 1, v6
	s_andn2_b64 vcc, exec, s[16:17]
	v_cmp_le_u32_e64 s[2:3], s13, v0
	s_barrier
	s_cbranch_vccnz .LBB81_21
; %bb.20:
	v_lshlrev_b32_e32 v6, 3, v0
	v_lshl_add_u64 v[8:9], s[18:19], 0, v[6:7]
	v_subrev_u32_e32 v6, s13, v0
	v_lshlrev_b32_e32 v6, 3, v6
	v_lshl_add_u64 v[6:7], s[8:9], 0, v[6:7]
	v_cndmask_b32_e64 v7, v7, v9, s[4:5]
	v_cndmask_b32_e64 v6, v6, v8, s[4:5]
	global_load_dwordx2 v[14:15], v[6:7], off
	v_or_b32_e32 v12, 0x200, v0
	v_mov_b32_e32 v6, s9
	v_mov_b32_e32 v7, s19
	;; [unrolled: 1-line block ×4, first 2 shown]
	v_subrev_u32_e32 v8, s13, v12
	v_cmp_gt_u32_e32 vcc, s13, v12
	v_lshl_add_u32 v9, v0, 2, v2
	s_nop 0
	v_cndmask_b32_e32 v7, v6, v7, vcc
	v_min_u32_e32 v8, v12, v8
	v_cndmask_b32_e32 v6, v13, v16, vcc
	s_mov_b64 s[4:5], -1
	s_waitcnt vmcnt(0)
	ds_write_b64 v9, v[14:15]
	s_cbranch_execz .LBB81_22
	s_branch .LBB81_31
.LBB81_21:
	s_mov_b64 s[4:5], 0
                                        ; implicit-def: $vgpr12
                                        ; implicit-def: $vgpr6_vgpr7
                                        ; implicit-def: $vgpr8
.LBB81_22:
	s_and_saveexec_b64 s[4:5], s[2:3]
	s_xor_b64 s[2:3], exec, s[4:5]
	s_cbranch_execz .LBB81_26
; %bb.23:
	v_subrev_u32_e32 v6, s13, v0
	v_cmp_gt_u32_e32 vcc, s27, v6
	s_and_saveexec_b64 s[4:5], vcc
	s_cbranch_execz .LBB81_25
; %bb.24:
	v_lshlrev_b32_e32 v6, 3, v6
	global_load_dwordx2 v[6:7], v6, s[8:9]
	v_lshl_add_u32 v8, v0, 2, v2
	s_waitcnt vmcnt(0)
	ds_write_b64 v8, v[6:7]
.LBB81_25:
	s_or_b64 exec, exec, s[4:5]
.LBB81_26:
	s_andn2_saveexec_b64 s[2:3], s[2:3]
	s_cbranch_execz .LBB81_28
; %bb.27:
	v_lshlrev_b32_e32 v6, 3, v0
	global_load_dwordx2 v[6:7], v6, s[18:19]
	v_lshl_add_u32 v8, v0, 2, v2
	s_waitcnt vmcnt(0)
	ds_write_b64 v8, v[6:7]
.LBB81_28:
	s_or_b64 exec, exec, s[2:3]
	v_or_b32_e32 v12, 0x200, v0
	v_cmp_le_u32_e32 vcc, s13, v12
	s_mov_b64 s[4:5], -1
	v_mov_b64_e32 v[6:7], s[18:19]
	v_mov_b32_e32 v8, v12
	s_and_saveexec_b64 s[2:3], vcc
; %bb.29:
	v_subrev_u32_e32 v8, s13, v12
	v_cmp_gt_u32_e32 vcc, s27, v8
	v_mov_b64_e32 v[6:7], s[8:9]
	s_orn2_b64 s[4:5], vcc, exec
; %bb.30:
	s_or_b64 exec, exec, s[2:3]
.LBB81_31:
	s_and_saveexec_b64 s[2:3], s[4:5]
	s_cbranch_execz .LBB81_33
; %bb.32:
	v_mov_b32_e32 v9, 0
	v_lshl_add_u64 v[6:7], v[8:9], 3, v[6:7]
	global_load_dwordx2 v[6:7], v[6:7], off
	v_lshlrev_b32_e32 v8, 3, v12
	s_waitcnt vmcnt(0)
	ds_write_b64 v8, v[6:7]
.LBB81_33:
	s_or_b64 exec, exec, s[2:3]
	s_and_b64 vcc, exec, s[0:1]
	v_add_u32_e32 v6, s14, v3
	s_waitcnt lgkmcnt(0)
	s_barrier
	s_cbranch_vccnz .LBB81_35
; %bb.34:
	v_lshlrev_b32_e32 v7, 3, v11
	ds_read_b64 v[8:9], v7
	v_mov_b32_e32 v7, 0
	v_lshl_add_u64 v[12:13], v[6:7], 3, s[10:11]
	s_mov_b64 s[0:1], -1
	s_waitcnt lgkmcnt(0)
	global_store_dwordx2 v[12:13], v[8:9], off
	s_cbranch_execz .LBB81_36
	s_branch .LBB81_41
.LBB81_35:
	s_mov_b64 s[0:1], 0
.LBB81_36:
	v_cmp_lt_u32_e32 vcc, v3, v5
	s_and_saveexec_b64 s[2:3], vcc
	s_cbranch_execz .LBB81_38
; %bb.37:
	v_lshlrev_b32_e32 v7, 3, v11
	ds_read_b64 v[8:9], v7
	v_mov_b32_e32 v7, 0
	v_lshl_add_u64 v[12:13], v[6:7], 3, s[10:11]
	s_waitcnt lgkmcnt(0)
	global_store_dwordx2 v[12:13], v[8:9], off
.LBB81_38:
	s_or_b64 exec, exec, s[2:3]
	v_or_b32_e32 v7, 1, v3
	v_cmp_lt_u32_e32 vcc, v7, v5
	s_and_saveexec_b64 s[2:3], vcc
; %bb.39:
	v_mov_b32_e32 v7, 0
	s_or_b64 s[0:1], s[0:1], exec
; %bb.40:
	s_or_b64 exec, exec, s[2:3]
.LBB81_41:
	s_and_saveexec_b64 s[2:3], s[0:1]
	s_cbranch_execz .LBB81_43
; %bb.42:
	v_lshlrev_b32_e32 v5, 3, v10
	ds_read_b64 v[8:9], v5
	v_lshl_add_u64 v[6:7], v[6:7], 3, s[10:11]
	s_waitcnt lgkmcnt(0)
	global_store_dwordx2 v[6:7], v[8:9], off offset:8
.LBB81_43:
	s_or_b64 exec, exec, s[2:3]
	v_lshrrev_b32_e32 v5, 2, v0
	v_and_b32_e32 v5, 0x7c, v5
	v_lshl_add_u32 v3, v3, 2, v5
	s_barrier
	s_barrier
	ds_write2_b32 v3, v4, v1 offset1:1
	v_lshrrev_b32_e32 v1, 3, v0
	v_and_b32_e32 v1, 60, v1
	s_mov_b32 s15, 0
	v_add_u32_e32 v4, v1, v2
	v_or_b32_e32 v1, 0x200, v0
	s_lshl_b64 s[0:1], s[14:15], 2
	v_lshrrev_b32_e32 v3, 3, v1
	s_add_u32 s0, s6, s0
	v_and_b32_e32 v3, 0x7c, v3
	s_addc_u32 s1, s7, s1
	v_add_u32_e32 v6, v3, v2
	v_mov_b32_e32 v3, 0
	v_lshl_add_u64 v[2:3], s[0:1], 0, v[2:3]
	s_and_b64 vcc, exec, s[16:17]
	s_waitcnt lgkmcnt(0)
	s_cbranch_vccz .LBB81_45
; %bb.44:
	s_barrier
	ds_read_b32 v7, v4
	ds_read_b32 v5, v6 offset:2048
	s_mov_b64 s[0:1], -1
	s_waitcnt lgkmcnt(1)
	global_store_dword v[2:3], v7, off
	s_cbranch_execz .LBB81_46
	s_branch .LBB81_49
.LBB81_45:
	s_mov_b64 s[0:1], 0
                                        ; implicit-def: $vgpr5
.LBB81_46:
	s_barrier
	s_waitcnt lgkmcnt(0)
	ds_read_b32 v5, v6 offset:2048
	s_sub_i32 s2, s12, s14
	v_cmp_gt_u32_e32 vcc, s2, v0
	s_and_saveexec_b64 s[0:1], vcc
	s_cbranch_execz .LBB81_48
; %bb.47:
	ds_read_b32 v0, v4
	s_waitcnt lgkmcnt(0)
	global_store_dword v[2:3], v0, off
.LBB81_48:
	s_or_b64 exec, exec, s[0:1]
	v_cmp_gt_u32_e64 s[0:1], s2, v1
.LBB81_49:
	s_and_saveexec_b64 s[2:3], s[0:1]
	s_cbranch_execz .LBB81_51
; %bb.50:
	s_waitcnt lgkmcnt(0)
	global_store_dword v[2:3], v5, off offset:2048
.LBB81_51:
	s_endpgm
	.section	.rodata,"a",@progbits
	.p2align	6, 0x0
	.amdhsa_kernel _ZN7rocprim17ROCPRIM_304000_NS6detail35device_block_merge_mergepath_kernelINS1_37wrapped_merge_sort_block_merge_configINS0_14default_configEiN2at4cuda3cub6detail10OpaqueTypeILi8EEEEEPiSC_PSA_SD_jNS1_19radix_merge_compareILb1ELb1EiNS0_19identity_decomposerEEEEEvT0_T1_T2_T3_T4_SL_jT5_PKSL_NS1_7vsmem_tE
		.amdhsa_group_segment_fixed_size 8208
		.amdhsa_private_segment_fixed_size 0
		.amdhsa_kernarg_size 320
		.amdhsa_user_sgpr_count 2
		.amdhsa_user_sgpr_dispatch_ptr 0
		.amdhsa_user_sgpr_queue_ptr 0
		.amdhsa_user_sgpr_kernarg_segment_ptr 1
		.amdhsa_user_sgpr_dispatch_id 0
		.amdhsa_user_sgpr_kernarg_preload_length 0
		.amdhsa_user_sgpr_kernarg_preload_offset 0
		.amdhsa_user_sgpr_private_segment_size 0
		.amdhsa_uses_dynamic_stack 0
		.amdhsa_enable_private_segment 0
		.amdhsa_system_sgpr_workgroup_id_x 1
		.amdhsa_system_sgpr_workgroup_id_y 1
		.amdhsa_system_sgpr_workgroup_id_z 1
		.amdhsa_system_sgpr_workgroup_info 0
		.amdhsa_system_vgpr_workitem_id 0
		.amdhsa_next_free_vgpr 17
		.amdhsa_next_free_sgpr 31
		.amdhsa_accum_offset 20
		.amdhsa_reserve_vcc 1
		.amdhsa_float_round_mode_32 0
		.amdhsa_float_round_mode_16_64 0
		.amdhsa_float_denorm_mode_32 3
		.amdhsa_float_denorm_mode_16_64 3
		.amdhsa_dx10_clamp 1
		.amdhsa_ieee_mode 1
		.amdhsa_fp16_overflow 0
		.amdhsa_tg_split 0
		.amdhsa_exception_fp_ieee_invalid_op 0
		.amdhsa_exception_fp_denorm_src 0
		.amdhsa_exception_fp_ieee_div_zero 0
		.amdhsa_exception_fp_ieee_overflow 0
		.amdhsa_exception_fp_ieee_underflow 0
		.amdhsa_exception_fp_ieee_inexact 0
		.amdhsa_exception_int_div_zero 0
	.end_amdhsa_kernel
	.section	.text._ZN7rocprim17ROCPRIM_304000_NS6detail35device_block_merge_mergepath_kernelINS1_37wrapped_merge_sort_block_merge_configINS0_14default_configEiN2at4cuda3cub6detail10OpaqueTypeILi8EEEEEPiSC_PSA_SD_jNS1_19radix_merge_compareILb1ELb1EiNS0_19identity_decomposerEEEEEvT0_T1_T2_T3_T4_SL_jT5_PKSL_NS1_7vsmem_tE,"axG",@progbits,_ZN7rocprim17ROCPRIM_304000_NS6detail35device_block_merge_mergepath_kernelINS1_37wrapped_merge_sort_block_merge_configINS0_14default_configEiN2at4cuda3cub6detail10OpaqueTypeILi8EEEEEPiSC_PSA_SD_jNS1_19radix_merge_compareILb1ELb1EiNS0_19identity_decomposerEEEEEvT0_T1_T2_T3_T4_SL_jT5_PKSL_NS1_7vsmem_tE,comdat
.Lfunc_end81:
	.size	_ZN7rocprim17ROCPRIM_304000_NS6detail35device_block_merge_mergepath_kernelINS1_37wrapped_merge_sort_block_merge_configINS0_14default_configEiN2at4cuda3cub6detail10OpaqueTypeILi8EEEEEPiSC_PSA_SD_jNS1_19radix_merge_compareILb1ELb1EiNS0_19identity_decomposerEEEEEvT0_T1_T2_T3_T4_SL_jT5_PKSL_NS1_7vsmem_tE, .Lfunc_end81-_ZN7rocprim17ROCPRIM_304000_NS6detail35device_block_merge_mergepath_kernelINS1_37wrapped_merge_sort_block_merge_configINS0_14default_configEiN2at4cuda3cub6detail10OpaqueTypeILi8EEEEEPiSC_PSA_SD_jNS1_19radix_merge_compareILb1ELb1EiNS0_19identity_decomposerEEEEEvT0_T1_T2_T3_T4_SL_jT5_PKSL_NS1_7vsmem_tE
                                        ; -- End function
	.set _ZN7rocprim17ROCPRIM_304000_NS6detail35device_block_merge_mergepath_kernelINS1_37wrapped_merge_sort_block_merge_configINS0_14default_configEiN2at4cuda3cub6detail10OpaqueTypeILi8EEEEEPiSC_PSA_SD_jNS1_19radix_merge_compareILb1ELb1EiNS0_19identity_decomposerEEEEEvT0_T1_T2_T3_T4_SL_jT5_PKSL_NS1_7vsmem_tE.num_vgpr, 17
	.set _ZN7rocprim17ROCPRIM_304000_NS6detail35device_block_merge_mergepath_kernelINS1_37wrapped_merge_sort_block_merge_configINS0_14default_configEiN2at4cuda3cub6detail10OpaqueTypeILi8EEEEEPiSC_PSA_SD_jNS1_19radix_merge_compareILb1ELb1EiNS0_19identity_decomposerEEEEEvT0_T1_T2_T3_T4_SL_jT5_PKSL_NS1_7vsmem_tE.num_agpr, 0
	.set _ZN7rocprim17ROCPRIM_304000_NS6detail35device_block_merge_mergepath_kernelINS1_37wrapped_merge_sort_block_merge_configINS0_14default_configEiN2at4cuda3cub6detail10OpaqueTypeILi8EEEEEPiSC_PSA_SD_jNS1_19radix_merge_compareILb1ELb1EiNS0_19identity_decomposerEEEEEvT0_T1_T2_T3_T4_SL_jT5_PKSL_NS1_7vsmem_tE.numbered_sgpr, 31
	.set _ZN7rocprim17ROCPRIM_304000_NS6detail35device_block_merge_mergepath_kernelINS1_37wrapped_merge_sort_block_merge_configINS0_14default_configEiN2at4cuda3cub6detail10OpaqueTypeILi8EEEEEPiSC_PSA_SD_jNS1_19radix_merge_compareILb1ELb1EiNS0_19identity_decomposerEEEEEvT0_T1_T2_T3_T4_SL_jT5_PKSL_NS1_7vsmem_tE.num_named_barrier, 0
	.set _ZN7rocprim17ROCPRIM_304000_NS6detail35device_block_merge_mergepath_kernelINS1_37wrapped_merge_sort_block_merge_configINS0_14default_configEiN2at4cuda3cub6detail10OpaqueTypeILi8EEEEEPiSC_PSA_SD_jNS1_19radix_merge_compareILb1ELb1EiNS0_19identity_decomposerEEEEEvT0_T1_T2_T3_T4_SL_jT5_PKSL_NS1_7vsmem_tE.private_seg_size, 0
	.set _ZN7rocprim17ROCPRIM_304000_NS6detail35device_block_merge_mergepath_kernelINS1_37wrapped_merge_sort_block_merge_configINS0_14default_configEiN2at4cuda3cub6detail10OpaqueTypeILi8EEEEEPiSC_PSA_SD_jNS1_19radix_merge_compareILb1ELb1EiNS0_19identity_decomposerEEEEEvT0_T1_T2_T3_T4_SL_jT5_PKSL_NS1_7vsmem_tE.uses_vcc, 1
	.set _ZN7rocprim17ROCPRIM_304000_NS6detail35device_block_merge_mergepath_kernelINS1_37wrapped_merge_sort_block_merge_configINS0_14default_configEiN2at4cuda3cub6detail10OpaqueTypeILi8EEEEEPiSC_PSA_SD_jNS1_19radix_merge_compareILb1ELb1EiNS0_19identity_decomposerEEEEEvT0_T1_T2_T3_T4_SL_jT5_PKSL_NS1_7vsmem_tE.uses_flat_scratch, 0
	.set _ZN7rocprim17ROCPRIM_304000_NS6detail35device_block_merge_mergepath_kernelINS1_37wrapped_merge_sort_block_merge_configINS0_14default_configEiN2at4cuda3cub6detail10OpaqueTypeILi8EEEEEPiSC_PSA_SD_jNS1_19radix_merge_compareILb1ELb1EiNS0_19identity_decomposerEEEEEvT0_T1_T2_T3_T4_SL_jT5_PKSL_NS1_7vsmem_tE.has_dyn_sized_stack, 0
	.set _ZN7rocprim17ROCPRIM_304000_NS6detail35device_block_merge_mergepath_kernelINS1_37wrapped_merge_sort_block_merge_configINS0_14default_configEiN2at4cuda3cub6detail10OpaqueTypeILi8EEEEEPiSC_PSA_SD_jNS1_19radix_merge_compareILb1ELb1EiNS0_19identity_decomposerEEEEEvT0_T1_T2_T3_T4_SL_jT5_PKSL_NS1_7vsmem_tE.has_recursion, 0
	.set _ZN7rocprim17ROCPRIM_304000_NS6detail35device_block_merge_mergepath_kernelINS1_37wrapped_merge_sort_block_merge_configINS0_14default_configEiN2at4cuda3cub6detail10OpaqueTypeILi8EEEEEPiSC_PSA_SD_jNS1_19radix_merge_compareILb1ELb1EiNS0_19identity_decomposerEEEEEvT0_T1_T2_T3_T4_SL_jT5_PKSL_NS1_7vsmem_tE.has_indirect_call, 0
	.section	.AMDGPU.csdata,"",@progbits
; Kernel info:
; codeLenInByte = 1848
; TotalNumSgprs: 37
; NumVgprs: 17
; NumAgprs: 0
; TotalNumVgprs: 17
; ScratchSize: 0
; MemoryBound: 0
; FloatMode: 240
; IeeeMode: 1
; LDSByteSize: 8208 bytes/workgroup (compile time only)
; SGPRBlocks: 4
; VGPRBlocks: 2
; NumSGPRsForWavesPerEU: 37
; NumVGPRsForWavesPerEU: 17
; AccumOffset: 20
; Occupancy: 8
; WaveLimiterHint : 1
; COMPUTE_PGM_RSRC2:SCRATCH_EN: 0
; COMPUTE_PGM_RSRC2:USER_SGPR: 2
; COMPUTE_PGM_RSRC2:TRAP_HANDLER: 0
; COMPUTE_PGM_RSRC2:TGID_X_EN: 1
; COMPUTE_PGM_RSRC2:TGID_Y_EN: 1
; COMPUTE_PGM_RSRC2:TGID_Z_EN: 1
; COMPUTE_PGM_RSRC2:TIDIG_COMP_CNT: 0
; COMPUTE_PGM_RSRC3_GFX90A:ACCUM_OFFSET: 4
; COMPUTE_PGM_RSRC3_GFX90A:TG_SPLIT: 0
	.section	.text._ZN7rocprim17ROCPRIM_304000_NS6detail33device_block_merge_oddeven_kernelINS1_37wrapped_merge_sort_block_merge_configINS0_14default_configEiN2at4cuda3cub6detail10OpaqueTypeILi8EEEEEPiSC_PSA_SD_jNS1_19radix_merge_compareILb1ELb1EiNS0_19identity_decomposerEEEEEvT0_T1_T2_T3_T4_SL_T5_,"axG",@progbits,_ZN7rocprim17ROCPRIM_304000_NS6detail33device_block_merge_oddeven_kernelINS1_37wrapped_merge_sort_block_merge_configINS0_14default_configEiN2at4cuda3cub6detail10OpaqueTypeILi8EEEEEPiSC_PSA_SD_jNS1_19radix_merge_compareILb1ELb1EiNS0_19identity_decomposerEEEEEvT0_T1_T2_T3_T4_SL_T5_,comdat
	.protected	_ZN7rocprim17ROCPRIM_304000_NS6detail33device_block_merge_oddeven_kernelINS1_37wrapped_merge_sort_block_merge_configINS0_14default_configEiN2at4cuda3cub6detail10OpaqueTypeILi8EEEEEPiSC_PSA_SD_jNS1_19radix_merge_compareILb1ELb1EiNS0_19identity_decomposerEEEEEvT0_T1_T2_T3_T4_SL_T5_ ; -- Begin function _ZN7rocprim17ROCPRIM_304000_NS6detail33device_block_merge_oddeven_kernelINS1_37wrapped_merge_sort_block_merge_configINS0_14default_configEiN2at4cuda3cub6detail10OpaqueTypeILi8EEEEEPiSC_PSA_SD_jNS1_19radix_merge_compareILb1ELb1EiNS0_19identity_decomposerEEEEEvT0_T1_T2_T3_T4_SL_T5_
	.globl	_ZN7rocprim17ROCPRIM_304000_NS6detail33device_block_merge_oddeven_kernelINS1_37wrapped_merge_sort_block_merge_configINS0_14default_configEiN2at4cuda3cub6detail10OpaqueTypeILi8EEEEEPiSC_PSA_SD_jNS1_19radix_merge_compareILb1ELb1EiNS0_19identity_decomposerEEEEEvT0_T1_T2_T3_T4_SL_T5_
	.p2align	8
	.type	_ZN7rocprim17ROCPRIM_304000_NS6detail33device_block_merge_oddeven_kernelINS1_37wrapped_merge_sort_block_merge_configINS0_14default_configEiN2at4cuda3cub6detail10OpaqueTypeILi8EEEEEPiSC_PSA_SD_jNS1_19radix_merge_compareILb1ELb1EiNS0_19identity_decomposerEEEEEvT0_T1_T2_T3_T4_SL_T5_,@function
_ZN7rocprim17ROCPRIM_304000_NS6detail33device_block_merge_oddeven_kernelINS1_37wrapped_merge_sort_block_merge_configINS0_14default_configEiN2at4cuda3cub6detail10OpaqueTypeILi8EEEEEPiSC_PSA_SD_jNS1_19radix_merge_compareILb1ELb1EiNS0_19identity_decomposerEEEEEvT0_T1_T2_T3_T4_SL_T5_: ; @_ZN7rocprim17ROCPRIM_304000_NS6detail33device_block_merge_oddeven_kernelINS1_37wrapped_merge_sort_block_merge_configINS0_14default_configEiN2at4cuda3cub6detail10OpaqueTypeILi8EEEEEPiSC_PSA_SD_jNS1_19radix_merge_compareILb1ELb1EiNS0_19identity_decomposerEEEEEvT0_T1_T2_T3_T4_SL_T5_
; %bb.0:
	s_load_dwordx4 s[16:19], s[0:1], 0x20
	s_waitcnt lgkmcnt(0)
	s_lshr_b32 s3, s16, 8
	s_cmp_eq_u32 s2, s3
	s_cselect_b64 s[6:7], -1, 0
	s_cmp_lg_u32 s2, s3
	s_cselect_b64 s[8:9], -1, 0
	s_lshl_b32 s20, s2, 8
	s_sub_i32 s3, s16, s20
	v_cmp_gt_u32_e64 s[4:5], s3, v0
	s_or_b64 s[8:9], s[8:9], s[4:5]
	s_and_saveexec_b64 s[10:11], s[8:9]
	s_cbranch_execz .LBB82_24
; %bb.1:
	s_load_dwordx8 s[8:15], s[0:1], 0x0
	s_mov_b32 s21, 0
	s_lshl_b64 s[0:1], s[20:21], 2
	v_lshlrev_b32_e32 v5, 3, v0
	v_lshlrev_b32_e32 v1, 2, v0
	s_waitcnt lgkmcnt(0)
	s_add_u32 s0, s8, s0
	s_addc_u32 s1, s9, s1
	s_lshl_b64 s[22:23], s[20:21], 3
	s_add_u32 s12, s12, s22
	s_addc_u32 s13, s13, s23
	global_load_dwordx2 v[2:3], v5, s[12:13]
	global_load_dword v4, v1, s[0:1]
	s_lshr_b32 s0, s17, 8
	s_sub_i32 s1, 0, s0
	s_and_b32 s1, s2, s1
	s_and_b32 s0, s1, s0
	s_lshl_b32 s19, s1, 8
	s_sub_i32 s12, 0, s17
	s_cmp_eq_u32 s0, 0
	s_cselect_b64 s[0:1], -1, 0
	s_and_b64 s[2:3], s[0:1], exec
	s_cselect_b32 s12, s17, s12
	s_add_i32 s12, s12, s19
	s_mov_b64 s[2:3], -1
	s_cmp_gt_u32 s16, s12
	v_add_u32_e32 v0, s20, v0
	s_cbranch_scc1 .LBB82_9
; %bb.2:
	s_and_b64 vcc, exec, s[6:7]
	s_cbranch_vccz .LBB82_6
; %bb.3:
	v_cmp_gt_u32_e32 vcc, s16, v0
	s_and_saveexec_b64 s[2:3], vcc
	s_cbranch_execz .LBB82_5
; %bb.4:
	v_mov_b32_e32 v1, 0
	v_lshl_add_u64 v[8:9], v[0:1], 2, s[10:11]
	v_lshl_add_u64 v[6:7], v[0:1], 3, s[14:15]
	s_waitcnt vmcnt(0)
	global_store_dword v[8:9], v4, off
	global_store_dwordx2 v[6:7], v[2:3], off
.LBB82_5:
	s_or_b64 exec, exec, s[2:3]
	s_mov_b64 s[2:3], 0
.LBB82_6:
	s_andn2_b64 vcc, exec, s[2:3]
	s_cbranch_vccnz .LBB82_8
; %bb.7:
	v_mov_b32_e32 v1, 0
	v_lshl_add_u64 v[6:7], v[0:1], 2, s[10:11]
	v_lshl_add_u64 v[8:9], v[0:1], 3, s[14:15]
	s_waitcnt vmcnt(0)
	global_store_dword v[6:7], v4, off
	global_store_dwordx2 v[8:9], v[2:3], off
.LBB82_8:
	s_mov_b64 s[2:3], 0
.LBB82_9:
	s_andn2_b64 vcc, exec, s[2:3]
	s_cbranch_vccnz .LBB82_24
; %bb.10:
	s_min_u32 s13, s12, s16
	s_add_i32 s2, s13, s17
	s_min_u32 s16, s2, s16
	s_min_u32 s2, s19, s13
	s_add_i32 s19, s19, s13
	v_subrev_u32_e32 v0, s19, v0
	v_add_u32_e32 v5, s2, v0
	s_waitcnt vmcnt(0)
	v_and_b32_e32 v6, s18, v4
	s_mov_b64 s[2:3], -1
	s_and_b64 vcc, exec, s[6:7]
	s_cbranch_vccz .LBB82_18
; %bb.11:
	s_and_saveexec_b64 s[2:3], s[4:5]
	s_cbranch_execz .LBB82_17
; %bb.12:
	s_cmp_ge_u32 s12, s16
	v_mov_b32_e32 v7, s13
	s_cbranch_scc1 .LBB82_16
; %bb.13:
	s_mov_b64 s[4:5], 0
	v_mov_b32_e32 v8, s16
	v_mov_b32_e32 v7, s13
	;; [unrolled: 1-line block ×3, first 2 shown]
.LBB82_14:                              ; =>This Inner Loop Header: Depth=1
	v_add_u32_e32 v0, v7, v8
	v_lshrrev_b32_e32 v0, 1, v0
	v_lshl_add_u64 v[10:11], v[0:1], 2, s[8:9]
	global_load_dword v9, v[10:11], off
	v_add_u32_e32 v10, 1, v0
	s_waitcnt vmcnt(0)
	v_and_b32_e32 v9, s18, v9
	v_cmp_gt_i32_e32 vcc, v9, v6
	s_nop 1
	v_cndmask_b32_e64 v11, 0, 1, vcc
	v_cmp_le_i32_e32 vcc, v6, v9
	s_nop 1
	v_cndmask_b32_e64 v9, 0, 1, vcc
	v_cndmask_b32_e64 v9, v9, v11, s[0:1]
	v_and_b32_e32 v9, 1, v9
	v_cmp_eq_u32_e32 vcc, 1, v9
	s_nop 1
	v_cndmask_b32_e32 v8, v0, v8, vcc
	v_cndmask_b32_e32 v7, v7, v10, vcc
	v_cmp_ge_u32_e32 vcc, v7, v8
	s_or_b64 s[4:5], vcc, s[4:5]
	s_andn2_b64 exec, exec, s[4:5]
	s_cbranch_execnz .LBB82_14
; %bb.15:
	s_or_b64 exec, exec, s[4:5]
.LBB82_16:
	v_add_u32_e32 v0, v7, v5
	v_mov_b32_e32 v1, 0
	v_lshl_add_u64 v[8:9], v[0:1], 2, s[10:11]
	v_lshl_add_u64 v[0:1], v[0:1], 3, s[14:15]
	global_store_dword v[8:9], v4, off
	global_store_dwordx2 v[0:1], v[2:3], off
.LBB82_17:
	s_or_b64 exec, exec, s[2:3]
	s_mov_b64 s[2:3], 0
.LBB82_18:
	s_andn2_b64 vcc, exec, s[2:3]
	s_cbranch_vccnz .LBB82_24
; %bb.19:
	s_cmp_ge_u32 s12, s16
	v_mov_b32_e32 v7, s13
	s_cbranch_scc1 .LBB82_23
; %bb.20:
	s_mov_b64 s[2:3], 0
	v_mov_b32_e32 v8, s16
	v_mov_b32_e32 v7, s13
	;; [unrolled: 1-line block ×3, first 2 shown]
.LBB82_21:                              ; =>This Inner Loop Header: Depth=1
	v_add_u32_e32 v0, v7, v8
	v_lshrrev_b32_e32 v0, 1, v0
	v_lshl_add_u64 v[10:11], v[0:1], 2, s[8:9]
	global_load_dword v9, v[10:11], off
	v_add_u32_e32 v10, 1, v0
	s_waitcnt vmcnt(0)
	v_and_b32_e32 v9, s18, v9
	v_cmp_gt_i32_e32 vcc, v9, v6
	s_nop 1
	v_cndmask_b32_e64 v11, 0, 1, vcc
	v_cmp_le_i32_e32 vcc, v6, v9
	s_nop 1
	v_cndmask_b32_e64 v9, 0, 1, vcc
	v_cndmask_b32_e64 v9, v9, v11, s[0:1]
	v_and_b32_e32 v9, 1, v9
	v_cmp_eq_u32_e32 vcc, 1, v9
	s_nop 1
	v_cndmask_b32_e32 v8, v0, v8, vcc
	v_cndmask_b32_e32 v7, v7, v10, vcc
	v_cmp_ge_u32_e32 vcc, v7, v8
	s_or_b64 s[2:3], vcc, s[2:3]
	s_andn2_b64 exec, exec, s[2:3]
	s_cbranch_execnz .LBB82_21
; %bb.22:
	s_or_b64 exec, exec, s[2:3]
.LBB82_23:
	v_add_u32_e32 v0, v7, v5
	v_mov_b32_e32 v1, 0
	v_lshl_add_u64 v[6:7], v[0:1], 2, s[10:11]
	v_lshl_add_u64 v[0:1], v[0:1], 3, s[14:15]
	global_store_dword v[6:7], v4, off
	global_store_dwordx2 v[0:1], v[2:3], off
.LBB82_24:
	s_endpgm
	.section	.rodata,"a",@progbits
	.p2align	6, 0x0
	.amdhsa_kernel _ZN7rocprim17ROCPRIM_304000_NS6detail33device_block_merge_oddeven_kernelINS1_37wrapped_merge_sort_block_merge_configINS0_14default_configEiN2at4cuda3cub6detail10OpaqueTypeILi8EEEEEPiSC_PSA_SD_jNS1_19radix_merge_compareILb1ELb1EiNS0_19identity_decomposerEEEEEvT0_T1_T2_T3_T4_SL_T5_
		.amdhsa_group_segment_fixed_size 0
		.amdhsa_private_segment_fixed_size 0
		.amdhsa_kernarg_size 44
		.amdhsa_user_sgpr_count 2
		.amdhsa_user_sgpr_dispatch_ptr 0
		.amdhsa_user_sgpr_queue_ptr 0
		.amdhsa_user_sgpr_kernarg_segment_ptr 1
		.amdhsa_user_sgpr_dispatch_id 0
		.amdhsa_user_sgpr_kernarg_preload_length 0
		.amdhsa_user_sgpr_kernarg_preload_offset 0
		.amdhsa_user_sgpr_private_segment_size 0
		.amdhsa_uses_dynamic_stack 0
		.amdhsa_enable_private_segment 0
		.amdhsa_system_sgpr_workgroup_id_x 1
		.amdhsa_system_sgpr_workgroup_id_y 0
		.amdhsa_system_sgpr_workgroup_id_z 0
		.amdhsa_system_sgpr_workgroup_info 0
		.amdhsa_system_vgpr_workitem_id 0
		.amdhsa_next_free_vgpr 12
		.amdhsa_next_free_sgpr 24
		.amdhsa_accum_offset 12
		.amdhsa_reserve_vcc 1
		.amdhsa_float_round_mode_32 0
		.amdhsa_float_round_mode_16_64 0
		.amdhsa_float_denorm_mode_32 3
		.amdhsa_float_denorm_mode_16_64 3
		.amdhsa_dx10_clamp 1
		.amdhsa_ieee_mode 1
		.amdhsa_fp16_overflow 0
		.amdhsa_tg_split 0
		.amdhsa_exception_fp_ieee_invalid_op 0
		.amdhsa_exception_fp_denorm_src 0
		.amdhsa_exception_fp_ieee_div_zero 0
		.amdhsa_exception_fp_ieee_overflow 0
		.amdhsa_exception_fp_ieee_underflow 0
		.amdhsa_exception_fp_ieee_inexact 0
		.amdhsa_exception_int_div_zero 0
	.end_amdhsa_kernel
	.section	.text._ZN7rocprim17ROCPRIM_304000_NS6detail33device_block_merge_oddeven_kernelINS1_37wrapped_merge_sort_block_merge_configINS0_14default_configEiN2at4cuda3cub6detail10OpaqueTypeILi8EEEEEPiSC_PSA_SD_jNS1_19radix_merge_compareILb1ELb1EiNS0_19identity_decomposerEEEEEvT0_T1_T2_T3_T4_SL_T5_,"axG",@progbits,_ZN7rocprim17ROCPRIM_304000_NS6detail33device_block_merge_oddeven_kernelINS1_37wrapped_merge_sort_block_merge_configINS0_14default_configEiN2at4cuda3cub6detail10OpaqueTypeILi8EEEEEPiSC_PSA_SD_jNS1_19radix_merge_compareILb1ELb1EiNS0_19identity_decomposerEEEEEvT0_T1_T2_T3_T4_SL_T5_,comdat
.Lfunc_end82:
	.size	_ZN7rocprim17ROCPRIM_304000_NS6detail33device_block_merge_oddeven_kernelINS1_37wrapped_merge_sort_block_merge_configINS0_14default_configEiN2at4cuda3cub6detail10OpaqueTypeILi8EEEEEPiSC_PSA_SD_jNS1_19radix_merge_compareILb1ELb1EiNS0_19identity_decomposerEEEEEvT0_T1_T2_T3_T4_SL_T5_, .Lfunc_end82-_ZN7rocprim17ROCPRIM_304000_NS6detail33device_block_merge_oddeven_kernelINS1_37wrapped_merge_sort_block_merge_configINS0_14default_configEiN2at4cuda3cub6detail10OpaqueTypeILi8EEEEEPiSC_PSA_SD_jNS1_19radix_merge_compareILb1ELb1EiNS0_19identity_decomposerEEEEEvT0_T1_T2_T3_T4_SL_T5_
                                        ; -- End function
	.set _ZN7rocprim17ROCPRIM_304000_NS6detail33device_block_merge_oddeven_kernelINS1_37wrapped_merge_sort_block_merge_configINS0_14default_configEiN2at4cuda3cub6detail10OpaqueTypeILi8EEEEEPiSC_PSA_SD_jNS1_19radix_merge_compareILb1ELb1EiNS0_19identity_decomposerEEEEEvT0_T1_T2_T3_T4_SL_T5_.num_vgpr, 12
	.set _ZN7rocprim17ROCPRIM_304000_NS6detail33device_block_merge_oddeven_kernelINS1_37wrapped_merge_sort_block_merge_configINS0_14default_configEiN2at4cuda3cub6detail10OpaqueTypeILi8EEEEEPiSC_PSA_SD_jNS1_19radix_merge_compareILb1ELb1EiNS0_19identity_decomposerEEEEEvT0_T1_T2_T3_T4_SL_T5_.num_agpr, 0
	.set _ZN7rocprim17ROCPRIM_304000_NS6detail33device_block_merge_oddeven_kernelINS1_37wrapped_merge_sort_block_merge_configINS0_14default_configEiN2at4cuda3cub6detail10OpaqueTypeILi8EEEEEPiSC_PSA_SD_jNS1_19radix_merge_compareILb1ELb1EiNS0_19identity_decomposerEEEEEvT0_T1_T2_T3_T4_SL_T5_.numbered_sgpr, 24
	.set _ZN7rocprim17ROCPRIM_304000_NS6detail33device_block_merge_oddeven_kernelINS1_37wrapped_merge_sort_block_merge_configINS0_14default_configEiN2at4cuda3cub6detail10OpaqueTypeILi8EEEEEPiSC_PSA_SD_jNS1_19radix_merge_compareILb1ELb1EiNS0_19identity_decomposerEEEEEvT0_T1_T2_T3_T4_SL_T5_.num_named_barrier, 0
	.set _ZN7rocprim17ROCPRIM_304000_NS6detail33device_block_merge_oddeven_kernelINS1_37wrapped_merge_sort_block_merge_configINS0_14default_configEiN2at4cuda3cub6detail10OpaqueTypeILi8EEEEEPiSC_PSA_SD_jNS1_19radix_merge_compareILb1ELb1EiNS0_19identity_decomposerEEEEEvT0_T1_T2_T3_T4_SL_T5_.private_seg_size, 0
	.set _ZN7rocprim17ROCPRIM_304000_NS6detail33device_block_merge_oddeven_kernelINS1_37wrapped_merge_sort_block_merge_configINS0_14default_configEiN2at4cuda3cub6detail10OpaqueTypeILi8EEEEEPiSC_PSA_SD_jNS1_19radix_merge_compareILb1ELb1EiNS0_19identity_decomposerEEEEEvT0_T1_T2_T3_T4_SL_T5_.uses_vcc, 1
	.set _ZN7rocprim17ROCPRIM_304000_NS6detail33device_block_merge_oddeven_kernelINS1_37wrapped_merge_sort_block_merge_configINS0_14default_configEiN2at4cuda3cub6detail10OpaqueTypeILi8EEEEEPiSC_PSA_SD_jNS1_19radix_merge_compareILb1ELb1EiNS0_19identity_decomposerEEEEEvT0_T1_T2_T3_T4_SL_T5_.uses_flat_scratch, 0
	.set _ZN7rocprim17ROCPRIM_304000_NS6detail33device_block_merge_oddeven_kernelINS1_37wrapped_merge_sort_block_merge_configINS0_14default_configEiN2at4cuda3cub6detail10OpaqueTypeILi8EEEEEPiSC_PSA_SD_jNS1_19radix_merge_compareILb1ELb1EiNS0_19identity_decomposerEEEEEvT0_T1_T2_T3_T4_SL_T5_.has_dyn_sized_stack, 0
	.set _ZN7rocprim17ROCPRIM_304000_NS6detail33device_block_merge_oddeven_kernelINS1_37wrapped_merge_sort_block_merge_configINS0_14default_configEiN2at4cuda3cub6detail10OpaqueTypeILi8EEEEEPiSC_PSA_SD_jNS1_19radix_merge_compareILb1ELb1EiNS0_19identity_decomposerEEEEEvT0_T1_T2_T3_T4_SL_T5_.has_recursion, 0
	.set _ZN7rocprim17ROCPRIM_304000_NS6detail33device_block_merge_oddeven_kernelINS1_37wrapped_merge_sort_block_merge_configINS0_14default_configEiN2at4cuda3cub6detail10OpaqueTypeILi8EEEEEPiSC_PSA_SD_jNS1_19radix_merge_compareILb1ELb1EiNS0_19identity_decomposerEEEEEvT0_T1_T2_T3_T4_SL_T5_.has_indirect_call, 0
	.section	.AMDGPU.csdata,"",@progbits
; Kernel info:
; codeLenInByte = 756
; TotalNumSgprs: 30
; NumVgprs: 12
; NumAgprs: 0
; TotalNumVgprs: 12
; ScratchSize: 0
; MemoryBound: 0
; FloatMode: 240
; IeeeMode: 1
; LDSByteSize: 0 bytes/workgroup (compile time only)
; SGPRBlocks: 3
; VGPRBlocks: 1
; NumSGPRsForWavesPerEU: 30
; NumVGPRsForWavesPerEU: 12
; AccumOffset: 12
; Occupancy: 8
; WaveLimiterHint : 0
; COMPUTE_PGM_RSRC2:SCRATCH_EN: 0
; COMPUTE_PGM_RSRC2:USER_SGPR: 2
; COMPUTE_PGM_RSRC2:TRAP_HANDLER: 0
; COMPUTE_PGM_RSRC2:TGID_X_EN: 1
; COMPUTE_PGM_RSRC2:TGID_Y_EN: 0
; COMPUTE_PGM_RSRC2:TGID_Z_EN: 0
; COMPUTE_PGM_RSRC2:TIDIG_COMP_CNT: 0
; COMPUTE_PGM_RSRC3_GFX90A:ACCUM_OFFSET: 2
; COMPUTE_PGM_RSRC3_GFX90A:TG_SPLIT: 0
	.section	.text._ZN7rocprim17ROCPRIM_304000_NS6detail26onesweep_histograms_kernelINS1_34wrapped_radix_sort_onesweep_configINS0_14default_configEiN2at4cuda3cub6detail10OpaqueTypeILi8EEEEELb1EPKimNS0_19identity_decomposerEEEvT1_PT2_SG_SG_T3_jj,"axG",@progbits,_ZN7rocprim17ROCPRIM_304000_NS6detail26onesweep_histograms_kernelINS1_34wrapped_radix_sort_onesweep_configINS0_14default_configEiN2at4cuda3cub6detail10OpaqueTypeILi8EEEEELb1EPKimNS0_19identity_decomposerEEEvT1_PT2_SG_SG_T3_jj,comdat
	.protected	_ZN7rocprim17ROCPRIM_304000_NS6detail26onesweep_histograms_kernelINS1_34wrapped_radix_sort_onesweep_configINS0_14default_configEiN2at4cuda3cub6detail10OpaqueTypeILi8EEEEELb1EPKimNS0_19identity_decomposerEEEvT1_PT2_SG_SG_T3_jj ; -- Begin function _ZN7rocprim17ROCPRIM_304000_NS6detail26onesweep_histograms_kernelINS1_34wrapped_radix_sort_onesweep_configINS0_14default_configEiN2at4cuda3cub6detail10OpaqueTypeILi8EEEEELb1EPKimNS0_19identity_decomposerEEEvT1_PT2_SG_SG_T3_jj
	.globl	_ZN7rocprim17ROCPRIM_304000_NS6detail26onesweep_histograms_kernelINS1_34wrapped_radix_sort_onesweep_configINS0_14default_configEiN2at4cuda3cub6detail10OpaqueTypeILi8EEEEELb1EPKimNS0_19identity_decomposerEEEvT1_PT2_SG_SG_T3_jj
	.p2align	8
	.type	_ZN7rocprim17ROCPRIM_304000_NS6detail26onesweep_histograms_kernelINS1_34wrapped_radix_sort_onesweep_configINS0_14default_configEiN2at4cuda3cub6detail10OpaqueTypeILi8EEEEELb1EPKimNS0_19identity_decomposerEEEvT1_PT2_SG_SG_T3_jj,@function
_ZN7rocprim17ROCPRIM_304000_NS6detail26onesweep_histograms_kernelINS1_34wrapped_radix_sort_onesweep_configINS0_14default_configEiN2at4cuda3cub6detail10OpaqueTypeILi8EEEEELb1EPKimNS0_19identity_decomposerEEEvT1_PT2_SG_SG_T3_jj: ; @_ZN7rocprim17ROCPRIM_304000_NS6detail26onesweep_histograms_kernelINS1_34wrapped_radix_sort_onesweep_configINS0_14default_configEiN2at4cuda3cub6detail10OpaqueTypeILi8EEEEELb1EPKimNS0_19identity_decomposerEEEvT1_PT2_SG_SG_T3_jj
; %bb.0:
	s_load_dwordx8 s[24:31], s[0:1], 0x0
	s_load_dwordx2 s[34:35], s[0:1], 0x24
	v_mov_b32_e32 v4, s2
	v_mov_b32_e32 v5, 0
	s_mul_hi_u32 s0, s2, 0x3000
	s_mulk_i32 s2, 0x3000
	s_waitcnt lgkmcnt(0)
	v_cmp_le_u64_e32 vcc, s[30:31], v[4:5]
	s_add_u32 s24, s24, s2
	s_addc_u32 s25, s25, s0
	s_mov_b64 s[0:1], -1
	v_lshlrev_b32_e32 v2, 2, v0
	s_cbranch_vccz .LBB83_82
; %bb.1:
	s_mul_i32 s0, s30, 0xfffff400
	s_add_i32 s28, s0, s28
	v_lshlrev_b32_e32 v4, 2, v0
	v_lshl_add_u64 v[6:7], s[24:25], 0, v[4:5]
	v_cmp_gt_u32_e64 s[22:23], s28, v0
                                        ; implicit-def: $vgpr16
	s_and_saveexec_b64 s[0:1], s[22:23]
	s_cbranch_execz .LBB83_3
; %bb.2:
	global_load_dword v1, v[6:7], off
	s_waitcnt vmcnt(0)
	v_xor_b32_e32 v16, 0x7fffffff, v1
.LBB83_3:
	s_or_b64 exec, exec, s[0:1]
	v_or_b32_e32 v1, 0x100, v0
	v_cmp_gt_u32_e64 s[20:21], s28, v1
                                        ; implicit-def: $vgpr15
	s_and_saveexec_b64 s[0:1], s[20:21]
	s_cbranch_execz .LBB83_5
; %bb.4:
	global_load_dword v1, v[6:7], off offset:1024
	s_waitcnt vmcnt(0)
	v_xor_b32_e32 v15, 0x7fffffff, v1
.LBB83_5:
	s_or_b64 exec, exec, s[0:1]
	v_or_b32_e32 v1, 0x200, v0
	v_cmp_gt_u32_e64 s[18:19], s28, v1
                                        ; implicit-def: $vgpr14
	s_and_saveexec_b64 s[0:1], s[18:19]
	s_cbranch_execz .LBB83_7
; %bb.6:
	global_load_dword v1, v[6:7], off offset:2048
	s_waitcnt vmcnt(0)
	v_xor_b32_e32 v14, 0x7fffffff, v1
.LBB83_7:
	s_or_b64 exec, exec, s[0:1]
	v_or_b32_e32 v1, 0x300, v0
	v_cmp_gt_u32_e64 s[16:17], s28, v1
                                        ; implicit-def: $vgpr13
	s_and_saveexec_b64 s[0:1], s[16:17]
	s_cbranch_execz .LBB83_9
; %bb.8:
	global_load_dword v1, v[6:7], off offset:3072
	s_waitcnt vmcnt(0)
	v_xor_b32_e32 v13, 0x7fffffff, v1
.LBB83_9:
	s_or_b64 exec, exec, s[0:1]
	v_or_b32_e32 v1, 0x400, v0
	v_cmp_gt_u32_e64 s[14:15], s28, v1
                                        ; implicit-def: $vgpr12
	s_and_saveexec_b64 s[0:1], s[14:15]
	s_cbranch_execz .LBB83_11
; %bb.10:
	v_add_co_u32_e32 v8, vcc, 0x1000, v6
	s_nop 1
	v_addc_co_u32_e32 v9, vcc, 0, v7, vcc
	global_load_dword v1, v[8:9], off
	s_waitcnt vmcnt(0)
	v_xor_b32_e32 v12, 0x7fffffff, v1
.LBB83_11:
	s_or_b64 exec, exec, s[0:1]
	v_or_b32_e32 v1, 0x500, v0
	v_cmp_gt_u32_e64 s[12:13], s28, v1
                                        ; implicit-def: $vgpr11
	s_and_saveexec_b64 s[0:1], s[12:13]
	s_cbranch_execz .LBB83_13
; %bb.12:
	v_add_co_u32_e32 v8, vcc, 0x1000, v6
	s_nop 1
	v_addc_co_u32_e32 v9, vcc, 0, v7, vcc
	global_load_dword v1, v[8:9], off offset:1024
	s_waitcnt vmcnt(0)
	v_xor_b32_e32 v11, 0x7fffffff, v1
.LBB83_13:
	s_or_b64 exec, exec, s[0:1]
	v_or_b32_e32 v1, 0x600, v0
	v_cmp_gt_u32_e64 s[10:11], s28, v1
                                        ; implicit-def: $vgpr10
	s_and_saveexec_b64 s[0:1], s[10:11]
	s_cbranch_execz .LBB83_15
; %bb.14:
	v_add_co_u32_e32 v8, vcc, 0x1000, v6
	s_nop 1
	v_addc_co_u32_e32 v9, vcc, 0, v7, vcc
	global_load_dword v1, v[8:9], off offset:2048
	s_waitcnt vmcnt(0)
	v_xor_b32_e32 v10, 0x7fffffff, v1
.LBB83_15:
	s_or_b64 exec, exec, s[0:1]
	v_or_b32_e32 v1, 0x700, v0
	v_cmp_gt_u32_e64 s[8:9], s28, v1
                                        ; implicit-def: $vgpr9
	s_and_saveexec_b64 s[0:1], s[8:9]
	s_cbranch_execz .LBB83_17
; %bb.16:
	v_add_co_u32_e32 v8, vcc, 0x1000, v6
	s_nop 1
	v_addc_co_u32_e32 v9, vcc, 0, v7, vcc
	global_load_dword v1, v[8:9], off offset:3072
	s_waitcnt vmcnt(0)
	v_xor_b32_e32 v9, 0x7fffffff, v1
.LBB83_17:
	s_or_b64 exec, exec, s[0:1]
	v_or_b32_e32 v1, 0x800, v0
	v_cmp_gt_u32_e64 s[6:7], s28, v1
                                        ; implicit-def: $vgpr8
	s_and_saveexec_b64 s[0:1], s[6:7]
	s_cbranch_execz .LBB83_19
; %bb.18:
	v_add_co_u32_e32 v18, vcc, 0x2000, v6
	s_nop 1
	v_addc_co_u32_e32 v19, vcc, 0, v7, vcc
	global_load_dword v1, v[18:19], off
	s_waitcnt vmcnt(0)
	v_xor_b32_e32 v8, 0x7fffffff, v1
.LBB83_19:
	s_or_b64 exec, exec, s[0:1]
	v_or_b32_e32 v1, 0x900, v0
	v_cmp_gt_u32_e64 s[4:5], s28, v1
                                        ; implicit-def: $vgpr5
	s_and_saveexec_b64 s[0:1], s[4:5]
	s_cbranch_execz .LBB83_21
; %bb.20:
	v_add_co_u32_e32 v18, vcc, 0x2000, v6
	s_nop 1
	v_addc_co_u32_e32 v19, vcc, 0, v7, vcc
	global_load_dword v1, v[18:19], off offset:1024
	s_waitcnt vmcnt(0)
	v_xor_b32_e32 v5, 0x7fffffff, v1
.LBB83_21:
	s_or_b64 exec, exec, s[0:1]
	v_or_b32_e32 v1, 0xa00, v0
	v_cmp_gt_u32_e64 s[2:3], s28, v1
                                        ; implicit-def: $vgpr3
	s_and_saveexec_b64 s[0:1], s[2:3]
	s_cbranch_execz .LBB83_23
; %bb.22:
	v_add_co_u32_e32 v18, vcc, 0x2000, v6
	s_nop 1
	v_addc_co_u32_e32 v19, vcc, 0, v7, vcc
	global_load_dword v1, v[18:19], off offset:2048
	s_waitcnt vmcnt(0)
	v_xor_b32_e32 v3, 0x7fffffff, v1
.LBB83_23:
	s_or_b64 exec, exec, s[0:1]
	v_or_b32_e32 v1, 0xb00, v0
	v_cmp_gt_u32_e64 s[0:1], s28, v1
                                        ; implicit-def: $vgpr1
	s_and_saveexec_b64 s[28:29], s[0:1]
	s_cbranch_execz .LBB83_25
; %bb.24:
	v_add_co_u32_e32 v6, vcc, 0x2000, v6
	s_nop 1
	v_addc_co_u32_e32 v7, vcc, 0, v7, vcc
	global_load_dword v1, v[6:7], off offset:3072
	s_waitcnt vmcnt(0)
	v_xor_b32_e32 v1, 0x7fffffff, v1
.LBB83_25:
	s_or_b64 exec, exec, s[28:29]
	v_or_b32_e32 v6, 0xffffff00, v0
	s_mov_b64 s[28:29], 0
	v_mov_b32_e32 v7, 0
	s_movk_i32 s30, 0xeff
.LBB83_26:                              ; =>This Inner Loop Header: Depth=1
	v_add_u32_e32 v6, 0x100, v6
	v_cmp_lt_u32_e32 vcc, s30, v6
	ds_write_b32 v4, v7
	s_or_b64 s[28:29], vcc, s[28:29]
	v_add_u32_e32 v4, 0x400, v4
	s_andn2_b64 exec, exec, s[28:29]
	s_cbranch_execnz .LBB83_26
; %bb.27:
	s_or_b64 exec, exec, s[28:29]
	s_cmp_gt_u32 s35, s34
	s_cselect_b64 s[28:29], -1, 0
	s_cmp_le_u32 s35, s34
	s_waitcnt lgkmcnt(0)
	s_barrier
	s_cbranch_scc1 .LBB83_76
; %bb.28:
	v_and_b32_e32 v4, 3, v0
	v_lshlrev_b32_e32 v4, 2, v4
	s_sub_i32 s33, s35, s34
	v_mov_b32_e32 v6, 1
	s_mov_b32 s36, s33
	v_mov_b32_e32 v7, v4
	s_mov_b32 s37, s34
	s_branch .LBB83_30
.LBB83_29:                              ;   in Loop: Header=BB83_30 Depth=1
	s_or_b64 exec, exec, s[30:31]
	s_add_i32 s37, s37, 8
	s_add_i32 s36, s36, -8
	s_cmp_lt_u32 s37, s35
	v_add_u32_e32 v7, 0x1000, v7
	s_cbranch_scc0 .LBB83_32
.LBB83_30:                              ; =>This Inner Loop Header: Depth=1
	s_and_saveexec_b64 s[30:31], s[22:23]
	s_cbranch_execz .LBB83_29
; %bb.31:                               ;   in Loop: Header=BB83_30 Depth=1
	s_min_u32 s38, s36, 8
	v_lshrrev_b32_e32 v17, s37, v16
	v_bfe_u32 v17, v17, 0, s38
	v_lshl_add_u32 v17, v17, 4, v7
	ds_add_u32 v17, v6
	s_branch .LBB83_29
.LBB83_32:
	v_mov_b32_e32 v6, 1
	s_mov_b32 s30, s33
	v_mov_b32_e32 v7, v4
	s_mov_b32 s31, s34
	s_branch .LBB83_34
.LBB83_33:                              ;   in Loop: Header=BB83_34 Depth=1
	s_or_b64 exec, exec, s[22:23]
	s_add_i32 s31, s31, 8
	s_add_i32 s30, s30, -8
	s_cmp_lt_u32 s31, s35
	v_add_u32_e32 v7, 0x1000, v7
	s_cbranch_scc0 .LBB83_36
.LBB83_34:                              ; =>This Inner Loop Header: Depth=1
	s_and_saveexec_b64 s[22:23], s[20:21]
	s_cbranch_execz .LBB83_33
; %bb.35:                               ;   in Loop: Header=BB83_34 Depth=1
	s_min_u32 s36, s30, 8
	v_lshrrev_b32_e32 v16, s31, v15
	v_bfe_u32 v16, v16, 0, s36
	v_lshl_add_u32 v16, v16, 4, v7
	ds_add_u32 v16, v6
	s_branch .LBB83_33
.LBB83_36:
	;; [unrolled: 23-line block ×11, first 2 shown]
	v_mov_b32_e32 v3, 1
	s_mov_b32 s4, s34
	s_branch .LBB83_74
.LBB83_73:                              ;   in Loop: Header=BB83_74 Depth=1
	s_or_b64 exec, exec, s[2:3]
	s_add_i32 s4, s4, 8
	s_add_i32 s33, s33, -8
	s_cmp_lt_u32 s4, s35
	v_add_u32_e32 v4, 0x1000, v4
	s_cbranch_scc0 .LBB83_76
.LBB83_74:                              ; =>This Inner Loop Header: Depth=1
	s_and_saveexec_b64 s[2:3], s[0:1]
	s_cbranch_execz .LBB83_73
; %bb.75:                               ;   in Loop: Header=BB83_74 Depth=1
	s_min_u32 s5, s33, 8
	v_lshrrev_b32_e32 v5, s4, v1
	v_bfe_u32 v5, v5, 0, s5
	v_lshl_add_u32 v5, v5, 4, v4
	ds_add_u32 v5, v3
	s_branch .LBB83_73
.LBB83_76:
	s_and_b64 vcc, exec, s[28:29]
	s_waitcnt lgkmcnt(0)
	s_barrier
	s_cbranch_vccz .LBB83_81
; %bb.77:
	s_movk_i32 s0, 0x100
	v_cmp_gt_u32_e32 vcc, s0, v0
	v_lshlrev_b32_e32 v1, 4, v0
	v_mov_b32_e32 v5, 0
	v_mov_b32_e32 v4, v0
	s_mov_b32 s2, s34
	s_branch .LBB83_79
.LBB83_78:                              ;   in Loop: Header=BB83_79 Depth=1
	s_or_b64 exec, exec, s[0:1]
	s_add_i32 s2, s2, 8
	v_add_u32_e32 v4, 0x100, v4
	s_cmp_lt_u32 s2, s35
	v_add_u32_e32 v1, 0x1000, v1
	s_cbranch_scc0 .LBB83_81
.LBB83_79:                              ; =>This Inner Loop Header: Depth=1
	s_and_saveexec_b64 s[0:1], vcc
	s_cbranch_execz .LBB83_78
; %bb.80:                               ;   in Loop: Header=BB83_79 Depth=1
	ds_read2_b32 v[6:7], v1 offset1:1
	ds_read2_b32 v[8:9], v1 offset0:2 offset1:3
	v_lshl_add_u64 v[10:11], v[4:5], 3, s[26:27]
	s_waitcnt lgkmcnt(1)
	v_add_u32_e32 v3, v7, v6
	s_waitcnt lgkmcnt(0)
	v_add3_u32 v6, v3, v8, v9
	v_mov_b32_e32 v7, v5
	global_atomic_add_x2 v[10:11], v[6:7], off
	s_branch .LBB83_78
.LBB83_81:
	s_mov_b64 s[0:1], 0
.LBB83_82:
	s_and_b64 vcc, exec, s[0:1]
	s_cbranch_vccz .LBB83_122
; %bb.83:
	v_mov_b32_e32 v3, 0
	v_lshl_add_u64 v[8:9], s[24:25], 0, v[2:3]
	v_add_co_u32_e32 v16, vcc, 0x1000, v8
	global_load_dword v1, v2, s[24:25]
	global_load_dword v4, v2, s[24:25] offset:1024
	global_load_dword v5, v2, s[24:25] offset:2048
	;; [unrolled: 1-line block ×3, first 2 shown]
	v_addc_co_u32_e32 v17, vcc, 0, v9, vcc
	v_add_co_u32_e32 v18, vcc, 0x2000, v8
	s_cmp_eq_u32 s34, 0
	s_nop 0
	v_addc_co_u32_e32 v19, vcc, 0, v9, vcc
	global_load_dword v7, v[16:17], off
	global_load_dword v8, v[16:17], off offset:1024
	global_load_dword v9, v[16:17], off offset:2048
	;; [unrolled: 1-line block ×3, first 2 shown]
	global_load_dword v11, v[18:19], off
	global_load_dword v12, v[18:19], off offset:1024
	global_load_dword v13, v[18:19], off offset:2048
	;; [unrolled: 1-line block ×3, first 2 shown]
	s_cselect_b64 s[0:1], -1, 0
	s_cmp_eq_u32 s35, 32
	s_cselect_b64 s[2:3], -1, 0
	s_and_b64 s[2:3], s[0:1], s[2:3]
	s_mov_b64 s[0:1], -1
	s_and_b64 vcc, exec, s[2:3]
	s_cbranch_vccnz .LBB83_117
; %bb.84:
	v_or_b32_e32 v15, 0xffffff00, v0
	s_mov_b64 s[0:1], 0
	s_movk_i32 s2, 0xeff
.LBB83_85:                              ; =>This Inner Loop Header: Depth=1
	v_add_u32_e32 v15, 0x100, v15
	v_cmp_lt_u32_e32 vcc, s2, v15
	ds_write_b32 v2, v3
	s_or_b64 s[0:1], vcc, s[0:1]
	v_add_u32_e32 v2, 0x400, v2
	s_andn2_b64 exec, exec, s[0:1]
	s_cbranch_execnz .LBB83_85
; %bb.86:
	s_or_b64 exec, exec, s[0:1]
	s_cmp_gt_u32 s35, s34
	s_cselect_b64 s[0:1], -1, 0
	s_cmp_le_u32 s35, s34
	s_waitcnt lgkmcnt(0)
	s_barrier
	s_cbranch_scc1 .LBB83_111
; %bb.87:
	v_and_b32_e32 v2, 3, v0
	v_lshlrev_b32_e32 v2, 2, v2
	s_sub_i32 s2, s35, s34
	s_waitcnt vmcnt(11)
	v_xor_b32_e32 v3, 0x7fffffff, v1
	v_mov_b32_e32 v15, 1
	s_mov_b32 s3, s2
	v_mov_b32_e32 v16, v2
	s_mov_b32 s4, s34
.LBB83_88:                              ; =>This Inner Loop Header: Depth=1
	s_min_u32 s5, s3, 8
	v_lshrrev_b32_e32 v17, s4, v3
	v_bfe_u32 v17, v17, 0, s5
	v_lshl_add_u32 v17, v17, 4, v16
	ds_add_u32 v17, v15
	s_add_i32 s4, s4, 8
	s_add_i32 s3, s3, -8
	s_cmp_lt_u32 s4, s35
	v_add_u32_e32 v16, 0x1000, v16
	s_cbranch_scc1 .LBB83_88
; %bb.89:
	s_waitcnt vmcnt(10)
	v_xor_b32_e32 v3, 0x7fffffff, v4
	v_mov_b32_e32 v15, 1
	s_mov_b32 s3, s2
	v_mov_b32_e32 v16, v2
	s_mov_b32 s4, s34
.LBB83_90:                              ; =>This Inner Loop Header: Depth=1
	s_min_u32 s5, s3, 8
	v_lshrrev_b32_e32 v17, s4, v3
	v_bfe_u32 v17, v17, 0, s5
	v_lshl_add_u32 v17, v17, 4, v16
	ds_add_u32 v17, v15
	s_add_i32 s4, s4, 8
	s_add_i32 s3, s3, -8
	s_cmp_lt_u32 s4, s35
	v_add_u32_e32 v16, 0x1000, v16
	s_cbranch_scc1 .LBB83_90
; %bb.91:
	;; [unrolled: 18-line block ×6, first 2 shown]
	s_waitcnt vmcnt(5)
	v_xor_b32_e32 v3, 0x7fffffff, v9
	v_mov_b32_e32 v15, 1
	s_mov_b32 s3, s2
	v_mov_b32_e32 v16, v2
	s_mov_b32 s4, s34
.LBB83_100:                             ; =>This Inner Loop Header: Depth=1
	s_min_u32 s5, s3, 8
	v_lshrrev_b32_e32 v17, s4, v3
	v_bfe_u32 v17, v17, 0, s5
	v_lshl_add_u32 v17, v17, 4, v16
	ds_add_u32 v17, v15
	s_add_i32 s4, s4, 8
	s_add_i32 s3, s3, -8
	s_cmp_lt_u32 s4, s35
	v_add_u32_e32 v16, 0x1000, v16
	s_cbranch_scc1 .LBB83_100
; %bb.101:
	s_waitcnt vmcnt(4)
	v_xor_b32_e32 v3, 0x7fffffff, v10
	v_mov_b32_e32 v15, 1
	s_mov_b32 s3, s2
	v_mov_b32_e32 v16, v2
	s_mov_b32 s4, s34
.LBB83_102:                             ; =>This Inner Loop Header: Depth=1
	s_min_u32 s5, s3, 8
	v_lshrrev_b32_e32 v17, s4, v3
	v_bfe_u32 v17, v17, 0, s5
	v_lshl_add_u32 v17, v17, 4, v16
	ds_add_u32 v17, v15
	s_add_i32 s4, s4, 8
	s_add_i32 s3, s3, -8
	s_cmp_lt_u32 s4, s35
	v_add_u32_e32 v16, 0x1000, v16
	s_cbranch_scc1 .LBB83_102
; %bb.103:
	;; [unrolled: 18-line block ×5, first 2 shown]
	s_waitcnt vmcnt(0)
	v_xor_b32_e32 v3, 0x7fffffff, v14
	v_mov_b32_e32 v15, 1
	s_mov_b32 s3, s34
.LBB83_110:                             ; =>This Inner Loop Header: Depth=1
	s_min_u32 s4, s2, 8
	v_lshrrev_b32_e32 v16, s3, v3
	v_bfe_u32 v16, v16, 0, s4
	v_lshl_add_u32 v16, v16, 4, v2
	ds_add_u32 v16, v15
	s_add_i32 s3, s3, 8
	s_add_i32 s2, s2, -8
	s_cmp_lt_u32 s3, s35
	v_add_u32_e32 v2, 0x1000, v2
	s_cbranch_scc1 .LBB83_110
.LBB83_111:
	s_and_b64 vcc, exec, s[0:1]
	s_waitcnt lgkmcnt(0)
	s_barrier
	s_cbranch_vccz .LBB83_116
; %bb.112:
	s_movk_i32 s0, 0x100
	v_cmp_gt_u32_e32 vcc, s0, v0
	v_lshlrev_b32_e32 v15, 4, v0
	v_mov_b32_e32 v3, 0
	v_mov_b32_e32 v2, v0
	s_branch .LBB83_114
.LBB83_113:                             ;   in Loop: Header=BB83_114 Depth=1
	s_or_b64 exec, exec, s[0:1]
	s_add_i32 s34, s34, 8
	v_add_u32_e32 v2, 0x100, v2
	s_cmp_ge_u32 s34, s35
	v_add_u32_e32 v15, 0x1000, v15
	s_cbranch_scc1 .LBB83_116
.LBB83_114:                             ; =>This Inner Loop Header: Depth=1
	s_and_saveexec_b64 s[0:1], vcc
	s_cbranch_execz .LBB83_113
; %bb.115:                              ;   in Loop: Header=BB83_114 Depth=1
	ds_read2_b32 v[16:17], v15 offset1:1
	ds_read2_b32 v[18:19], v15 offset0:2 offset1:3
	v_lshl_add_u64 v[20:21], v[2:3], 3, s[26:27]
	s_waitcnt lgkmcnt(1)
	v_add_u32_e32 v16, v17, v16
	s_waitcnt lgkmcnt(0)
	v_add3_u32 v16, v16, v18, v19
	v_mov_b32_e32 v17, v3
	global_atomic_add_x2 v[20:21], v[16:17], off
	s_branch .LBB83_113
.LBB83_116:
	s_mov_b64 s[0:1], 0
.LBB83_117:
	s_and_b64 vcc, exec, s[0:1]
	s_cbranch_vccz .LBB83_122
; %bb.118:
	v_or_b32_e32 v2, 0xffffff00, v0
	v_lshlrev_b32_e32 v3, 2, v0
	s_mov_b64 s[0:1], 0
	v_mov_b32_e32 v15, 0
	s_movk_i32 s2, 0xeff
.LBB83_119:                             ; =>This Inner Loop Header: Depth=1
	v_add_u32_e32 v2, 0x100, v2
	v_cmp_lt_u32_e32 vcc, s2, v2
	ds_write_b32 v3, v15
	s_or_b64 s[0:1], vcc, s[0:1]
	v_add_u32_e32 v3, 0x400, v3
	s_andn2_b64 exec, exec, s[0:1]
	s_cbranch_execnz .LBB83_119
; %bb.120:
	s_or_b64 exec, exec, s[0:1]
	s_waitcnt vmcnt(11)
	v_xor_b32_e32 v1, 0x7fffffff, v1
	s_waitcnt vmcnt(9)
	v_xor_b32_e32 v3, 0x7fffffff, v5
	;; [unrolled: 2-line block ×6, first 2 shown]
	v_and_b32_e32 v13, 3, v0
	v_xor_b32_e32 v2, 0x7fffffff, v4
	v_xor_b32_e32 v4, 0x7fffffff, v6
	v_xor_b32_e32 v6, 0x7fffffff, v8
	v_xor_b32_e32 v8, 0x7fffffff, v10
	v_xor_b32_e32 v10, 0x7fffffff, v12
	s_waitcnt vmcnt(0)
	v_xor_b32_e32 v12, 0x7fffffff, v14
	v_lshlrev_b32_e32 v14, 4, v1
	v_lshlrev_b32_e32 v13, 2, v13
	s_movk_i32 s0, 0xff0
	v_and_or_b32 v14, v14, s0, v13
	v_mov_b32_e32 v15, 1
	s_waitcnt lgkmcnt(0)
	s_barrier
	ds_add_u32 v14, v15
	v_bfe_u32 v14, v1, 8, 8
	v_lshl_or_b32 v14, v14, 4, v13
	ds_add_u32 v14, v15 offset:4096
	v_bfe_u32 v14, v1, 16, 8
	v_lshl_or_b32 v14, v14, 4, v13
	v_lshrrev_b32_e32 v1, 24, v1
	ds_add_u32 v14, v15 offset:8192
	v_lshl_or_b32 v1, v1, 4, v13
	ds_add_u32 v1, v15 offset:12288
	v_lshlrev_b32_e32 v1, 4, v2
	v_and_or_b32 v1, v1, s0, v13
	ds_add_u32 v1, v15
	v_bfe_u32 v1, v2, 8, 8
	v_lshl_or_b32 v1, v1, 4, v13
	ds_add_u32 v1, v15 offset:4096
	v_bfe_u32 v1, v2, 16, 8
	v_lshl_or_b32 v1, v1, 4, v13
	ds_add_u32 v1, v15 offset:8192
	v_lshrrev_b32_e32 v1, 24, v2
	v_lshl_or_b32 v1, v1, 4, v13
	ds_add_u32 v1, v15 offset:12288
	v_lshlrev_b32_e32 v1, 4, v3
	v_and_or_b32 v1, v1, s0, v13
	ds_add_u32 v1, v15
	v_bfe_u32 v1, v3, 8, 8
	v_lshl_or_b32 v1, v1, 4, v13
	ds_add_u32 v1, v15 offset:4096
	v_bfe_u32 v1, v3, 16, 8
	v_lshl_or_b32 v1, v1, 4, v13
	ds_add_u32 v1, v15 offset:8192
	v_lshrrev_b32_e32 v1, 24, v3
	;; [unrolled: 12-line block ×11, first 2 shown]
	v_lshl_or_b32 v1, v1, 4, v13
	ds_add_u32 v1, v15 offset:12288
	s_movk_i32 s0, 0x100
	v_cmp_gt_u32_e32 vcc, s0, v0
	s_waitcnt lgkmcnt(0)
	s_barrier
	s_and_saveexec_b64 s[0:1], vcc
	s_cbranch_execz .LBB83_122
; %bb.121:
	v_lshlrev_b32_e32 v8, 4, v0
	ds_read2_b32 v[2:3], v8 offset1:1
	ds_read2_b32 v[4:5], v8 offset0:2 offset1:3
	v_mov_b32_e32 v1, 0
	v_lshlrev_b32_e32 v0, 3, v0
	v_mov_b32_e32 v7, v1
	s_waitcnt lgkmcnt(1)
	v_add_u32_e32 v2, v3, v2
	s_waitcnt lgkmcnt(0)
	v_add3_u32 v6, v2, v4, v5
	global_atomic_add_x2 v0, v[6:7], s[26:27]
	v_or_b32_e32 v2, 0x1000, v8
	v_or_b32_e32 v4, 0x1008, v8
	ds_read2_b32 v[2:3], v2 offset1:1
	ds_read2_b32 v[4:5], v4 offset1:1
	s_movk_i32 s0, 0x1000
	s_waitcnt lgkmcnt(1)
	v_add_u32_e32 v2, v3, v2
	s_waitcnt lgkmcnt(0)
	v_add3_u32 v6, v2, v4, v5
	global_atomic_add_x2 v0, v[6:7], s[26:27] offset:2048
	v_or_b32_e32 v2, 0x2000, v8
	v_or_b32_e32 v4, 0x2008, v8
	ds_read2_b32 v[2:3], v2 offset1:1
	ds_read2_b32 v[4:5], v4 offset1:1
	v_lshl_add_u64 v[6:7], s[26:27], 0, v[0:1]
	s_waitcnt lgkmcnt(1)
	v_add_u32_e32 v0, v3, v2
	v_add_co_u32_e32 v2, vcc, s0, v6
	s_waitcnt lgkmcnt(0)
	v_add3_u32 v0, v0, v4, v5
	v_addc_co_u32_e32 v3, vcc, 0, v7, vcc
	global_atomic_add_x2 v[2:3], v[0:1], off
	v_or_b32_e32 v0, 0x3000, v8
	v_or_b32_e32 v6, 0x3008, v8
	ds_read2_b32 v[4:5], v0 offset1:1
	ds_read2_b32 v[6:7], v6 offset1:1
	s_waitcnt lgkmcnt(1)
	v_add_u32_e32 v0, v5, v4
	s_waitcnt lgkmcnt(0)
	v_add3_u32 v0, v0, v6, v7
	global_atomic_add_x2 v[2:3], v[0:1], off offset:2048
.LBB83_122:
	s_endpgm
	.section	.rodata,"a",@progbits
	.p2align	6, 0x0
	.amdhsa_kernel _ZN7rocprim17ROCPRIM_304000_NS6detail26onesweep_histograms_kernelINS1_34wrapped_radix_sort_onesweep_configINS0_14default_configEiN2at4cuda3cub6detail10OpaqueTypeILi8EEEEELb1EPKimNS0_19identity_decomposerEEEvT1_PT2_SG_SG_T3_jj
		.amdhsa_group_segment_fixed_size 16384
		.amdhsa_private_segment_fixed_size 0
		.amdhsa_kernarg_size 44
		.amdhsa_user_sgpr_count 2
		.amdhsa_user_sgpr_dispatch_ptr 0
		.amdhsa_user_sgpr_queue_ptr 0
		.amdhsa_user_sgpr_kernarg_segment_ptr 1
		.amdhsa_user_sgpr_dispatch_id 0
		.amdhsa_user_sgpr_kernarg_preload_length 0
		.amdhsa_user_sgpr_kernarg_preload_offset 0
		.amdhsa_user_sgpr_private_segment_size 0
		.amdhsa_uses_dynamic_stack 0
		.amdhsa_enable_private_segment 0
		.amdhsa_system_sgpr_workgroup_id_x 1
		.amdhsa_system_sgpr_workgroup_id_y 0
		.amdhsa_system_sgpr_workgroup_id_z 0
		.amdhsa_system_sgpr_workgroup_info 0
		.amdhsa_system_vgpr_workitem_id 0
		.amdhsa_next_free_vgpr 22
		.amdhsa_next_free_sgpr 39
		.amdhsa_accum_offset 24
		.amdhsa_reserve_vcc 1
		.amdhsa_float_round_mode_32 0
		.amdhsa_float_round_mode_16_64 0
		.amdhsa_float_denorm_mode_32 3
		.amdhsa_float_denorm_mode_16_64 3
		.amdhsa_dx10_clamp 1
		.amdhsa_ieee_mode 1
		.amdhsa_fp16_overflow 0
		.amdhsa_tg_split 0
		.amdhsa_exception_fp_ieee_invalid_op 0
		.amdhsa_exception_fp_denorm_src 0
		.amdhsa_exception_fp_ieee_div_zero 0
		.amdhsa_exception_fp_ieee_overflow 0
		.amdhsa_exception_fp_ieee_underflow 0
		.amdhsa_exception_fp_ieee_inexact 0
		.amdhsa_exception_int_div_zero 0
	.end_amdhsa_kernel
	.section	.text._ZN7rocprim17ROCPRIM_304000_NS6detail26onesweep_histograms_kernelINS1_34wrapped_radix_sort_onesweep_configINS0_14default_configEiN2at4cuda3cub6detail10OpaqueTypeILi8EEEEELb1EPKimNS0_19identity_decomposerEEEvT1_PT2_SG_SG_T3_jj,"axG",@progbits,_ZN7rocprim17ROCPRIM_304000_NS6detail26onesweep_histograms_kernelINS1_34wrapped_radix_sort_onesweep_configINS0_14default_configEiN2at4cuda3cub6detail10OpaqueTypeILi8EEEEELb1EPKimNS0_19identity_decomposerEEEvT1_PT2_SG_SG_T3_jj,comdat
.Lfunc_end83:
	.size	_ZN7rocprim17ROCPRIM_304000_NS6detail26onesweep_histograms_kernelINS1_34wrapped_radix_sort_onesweep_configINS0_14default_configEiN2at4cuda3cub6detail10OpaqueTypeILi8EEEEELb1EPKimNS0_19identity_decomposerEEEvT1_PT2_SG_SG_T3_jj, .Lfunc_end83-_ZN7rocprim17ROCPRIM_304000_NS6detail26onesweep_histograms_kernelINS1_34wrapped_radix_sort_onesweep_configINS0_14default_configEiN2at4cuda3cub6detail10OpaqueTypeILi8EEEEELb1EPKimNS0_19identity_decomposerEEEvT1_PT2_SG_SG_T3_jj
                                        ; -- End function
	.set _ZN7rocprim17ROCPRIM_304000_NS6detail26onesweep_histograms_kernelINS1_34wrapped_radix_sort_onesweep_configINS0_14default_configEiN2at4cuda3cub6detail10OpaqueTypeILi8EEEEELb1EPKimNS0_19identity_decomposerEEEvT1_PT2_SG_SG_T3_jj.num_vgpr, 22
	.set _ZN7rocprim17ROCPRIM_304000_NS6detail26onesweep_histograms_kernelINS1_34wrapped_radix_sort_onesweep_configINS0_14default_configEiN2at4cuda3cub6detail10OpaqueTypeILi8EEEEELb1EPKimNS0_19identity_decomposerEEEvT1_PT2_SG_SG_T3_jj.num_agpr, 0
	.set _ZN7rocprim17ROCPRIM_304000_NS6detail26onesweep_histograms_kernelINS1_34wrapped_radix_sort_onesweep_configINS0_14default_configEiN2at4cuda3cub6detail10OpaqueTypeILi8EEEEELb1EPKimNS0_19identity_decomposerEEEvT1_PT2_SG_SG_T3_jj.numbered_sgpr, 39
	.set _ZN7rocprim17ROCPRIM_304000_NS6detail26onesweep_histograms_kernelINS1_34wrapped_radix_sort_onesweep_configINS0_14default_configEiN2at4cuda3cub6detail10OpaqueTypeILi8EEEEELb1EPKimNS0_19identity_decomposerEEEvT1_PT2_SG_SG_T3_jj.num_named_barrier, 0
	.set _ZN7rocprim17ROCPRIM_304000_NS6detail26onesweep_histograms_kernelINS1_34wrapped_radix_sort_onesweep_configINS0_14default_configEiN2at4cuda3cub6detail10OpaqueTypeILi8EEEEELb1EPKimNS0_19identity_decomposerEEEvT1_PT2_SG_SG_T3_jj.private_seg_size, 0
	.set _ZN7rocprim17ROCPRIM_304000_NS6detail26onesweep_histograms_kernelINS1_34wrapped_radix_sort_onesweep_configINS0_14default_configEiN2at4cuda3cub6detail10OpaqueTypeILi8EEEEELb1EPKimNS0_19identity_decomposerEEEvT1_PT2_SG_SG_T3_jj.uses_vcc, 1
	.set _ZN7rocprim17ROCPRIM_304000_NS6detail26onesweep_histograms_kernelINS1_34wrapped_radix_sort_onesweep_configINS0_14default_configEiN2at4cuda3cub6detail10OpaqueTypeILi8EEEEELb1EPKimNS0_19identity_decomposerEEEvT1_PT2_SG_SG_T3_jj.uses_flat_scratch, 0
	.set _ZN7rocprim17ROCPRIM_304000_NS6detail26onesweep_histograms_kernelINS1_34wrapped_radix_sort_onesweep_configINS0_14default_configEiN2at4cuda3cub6detail10OpaqueTypeILi8EEEEELb1EPKimNS0_19identity_decomposerEEEvT1_PT2_SG_SG_T3_jj.has_dyn_sized_stack, 0
	.set _ZN7rocprim17ROCPRIM_304000_NS6detail26onesweep_histograms_kernelINS1_34wrapped_radix_sort_onesweep_configINS0_14default_configEiN2at4cuda3cub6detail10OpaqueTypeILi8EEEEELb1EPKimNS0_19identity_decomposerEEEvT1_PT2_SG_SG_T3_jj.has_recursion, 0
	.set _ZN7rocprim17ROCPRIM_304000_NS6detail26onesweep_histograms_kernelINS1_34wrapped_radix_sort_onesweep_configINS0_14default_configEiN2at4cuda3cub6detail10OpaqueTypeILi8EEEEELb1EPKimNS0_19identity_decomposerEEEvT1_PT2_SG_SG_T3_jj.has_indirect_call, 0
	.section	.AMDGPU.csdata,"",@progbits
; Kernel info:
; codeLenInByte = 5112
; TotalNumSgprs: 45
; NumVgprs: 22
; NumAgprs: 0
; TotalNumVgprs: 22
; ScratchSize: 0
; MemoryBound: 0
; FloatMode: 240
; IeeeMode: 1
; LDSByteSize: 16384 bytes/workgroup (compile time only)
; SGPRBlocks: 5
; VGPRBlocks: 2
; NumSGPRsForWavesPerEU: 45
; NumVGPRsForWavesPerEU: 22
; AccumOffset: 24
; Occupancy: 8
; WaveLimiterHint : 1
; COMPUTE_PGM_RSRC2:SCRATCH_EN: 0
; COMPUTE_PGM_RSRC2:USER_SGPR: 2
; COMPUTE_PGM_RSRC2:TRAP_HANDLER: 0
; COMPUTE_PGM_RSRC2:TGID_X_EN: 1
; COMPUTE_PGM_RSRC2:TGID_Y_EN: 0
; COMPUTE_PGM_RSRC2:TGID_Z_EN: 0
; COMPUTE_PGM_RSRC2:TIDIG_COMP_CNT: 0
; COMPUTE_PGM_RSRC3_GFX90A:ACCUM_OFFSET: 5
; COMPUTE_PGM_RSRC3_GFX90A:TG_SPLIT: 0
	.section	.text._ZN7rocprim17ROCPRIM_304000_NS6detail31onesweep_scan_histograms_kernelINS1_34wrapped_radix_sort_onesweep_configINS0_14default_configEiN2at4cuda3cub6detail10OpaqueTypeILi8EEEEEmEEvPT0_,"axG",@progbits,_ZN7rocprim17ROCPRIM_304000_NS6detail31onesweep_scan_histograms_kernelINS1_34wrapped_radix_sort_onesweep_configINS0_14default_configEiN2at4cuda3cub6detail10OpaqueTypeILi8EEEEEmEEvPT0_,comdat
	.protected	_ZN7rocprim17ROCPRIM_304000_NS6detail31onesweep_scan_histograms_kernelINS1_34wrapped_radix_sort_onesweep_configINS0_14default_configEiN2at4cuda3cub6detail10OpaqueTypeILi8EEEEEmEEvPT0_ ; -- Begin function _ZN7rocprim17ROCPRIM_304000_NS6detail31onesweep_scan_histograms_kernelINS1_34wrapped_radix_sort_onesweep_configINS0_14default_configEiN2at4cuda3cub6detail10OpaqueTypeILi8EEEEEmEEvPT0_
	.globl	_ZN7rocprim17ROCPRIM_304000_NS6detail31onesweep_scan_histograms_kernelINS1_34wrapped_radix_sort_onesweep_configINS0_14default_configEiN2at4cuda3cub6detail10OpaqueTypeILi8EEEEEmEEvPT0_
	.p2align	8
	.type	_ZN7rocprim17ROCPRIM_304000_NS6detail31onesweep_scan_histograms_kernelINS1_34wrapped_radix_sort_onesweep_configINS0_14default_configEiN2at4cuda3cub6detail10OpaqueTypeILi8EEEEEmEEvPT0_,@function
_ZN7rocprim17ROCPRIM_304000_NS6detail31onesweep_scan_histograms_kernelINS1_34wrapped_radix_sort_onesweep_configINS0_14default_configEiN2at4cuda3cub6detail10OpaqueTypeILi8EEEEEmEEvPT0_: ; @_ZN7rocprim17ROCPRIM_304000_NS6detail31onesweep_scan_histograms_kernelINS1_34wrapped_radix_sort_onesweep_configINS0_14default_configEiN2at4cuda3cub6detail10OpaqueTypeILi8EEEEEmEEvPT0_
; %bb.0:
	s_load_dwordx2 s[0:1], s[0:1], 0x0
	s_lshl_b32 s2, s2, 8
	s_mov_b32 s3, 0
	s_lshl_b64 s[2:3], s[2:3], 3
	v_lshlrev_b32_e32 v8, 3, v0
	s_waitcnt lgkmcnt(0)
	s_add_u32 s6, s0, s2
	s_movk_i32 s0, 0x100
	s_addc_u32 s7, s1, s3
	v_cmp_gt_u32_e32 vcc, s0, v0
                                        ; implicit-def: $vgpr2_vgpr3
	s_and_saveexec_b64 s[0:1], vcc
	s_cbranch_execz .LBB84_2
; %bb.1:
	global_load_dwordx2 v[2:3], v8, s[6:7]
.LBB84_2:
	s_or_b64 exec, exec, s[0:1]
	v_mbcnt_lo_u32_b32 v1, -1, 0
	v_mov_b32_e32 v6, 0
	v_mbcnt_hi_u32_b32 v9, -1, v1
	s_waitcnt vmcnt(0)
	v_mov_b32_dpp v4, v2 row_shr:1 row_mask:0xf bank_mask:0xf
	v_mov_b32_e32 v5, v6
	v_and_b32_e32 v1, 15, v9
	v_mov_b32_dpp v7, v3 row_shr:1 row_mask:0xf bank_mask:0xf
	v_lshl_add_u64 v[4:5], v[2:3], 0, v[4:5]
	v_lshl_add_u64 v[6:7], v[6:7], 0, v[4:5]
	v_cmp_eq_u32_e64 s[0:1], 0, v1
	v_cmp_ne_u32_e64 s[4:5], 0, v9
	s_nop 0
	v_cndmask_b32_e64 v10, v4, v2, s[0:1]
	v_cndmask_b32_e64 v5, v7, v3, s[0:1]
	v_cndmask_b32_e64 v4, v6, v2, s[0:1]
	v_mov_b32_dpp v6, v10 row_shr:2 row_mask:0xf bank_mask:0xf
	v_mov_b32_dpp v7, v5 row_shr:2 row_mask:0xf bank_mask:0xf
	v_lshl_add_u64 v[6:7], v[6:7], 0, v[4:5]
	v_cmp_lt_u32_e64 s[0:1], 1, v1
	s_nop 1
	v_cndmask_b32_e64 v10, v10, v6, s[0:1]
	v_cndmask_b32_e64 v5, v5, v7, s[0:1]
	v_cndmask_b32_e64 v4, v4, v6, s[0:1]
	v_mov_b32_dpp v6, v10 row_shr:4 row_mask:0xf bank_mask:0xf
	v_mov_b32_dpp v7, v5 row_shr:4 row_mask:0xf bank_mask:0xf
	v_lshl_add_u64 v[6:7], v[6:7], 0, v[4:5]
	v_cmp_lt_u32_e64 s[0:1], 3, v1
	;; [unrolled: 8-line block ×3, first 2 shown]
	s_nop 1
	v_cndmask_b32_e64 v1, v10, v6, s[0:1]
	v_cndmask_b32_e64 v5, v5, v7, s[0:1]
	;; [unrolled: 1-line block ×3, first 2 shown]
	v_mov_b32_dpp v6, v1 row_bcast:15 row_mask:0xf bank_mask:0xf
	v_mov_b32_dpp v7, v5 row_bcast:15 row_mask:0xf bank_mask:0xf
	v_and_b32_e32 v10, 16, v9
	v_lshl_add_u64 v[6:7], v[6:7], 0, v[4:5]
	v_cmp_eq_u32_e64 s[2:3], 0, v10
	v_cmp_eq_u32_e64 s[0:1], 0, v9
	s_nop 0
	v_cndmask_b32_e64 v10, v7, v5, s[2:3]
	v_cndmask_b32_e64 v1, v6, v1, s[2:3]
	s_nop 0
	v_mov_b32_dpp v10, v10 row_bcast:31 row_mask:0xf bank_mask:0xf
	v_mov_b32_dpp v1, v1 row_bcast:31 row_mask:0xf bank_mask:0xf
	s_and_saveexec_b64 s[8:9], s[4:5]
; %bb.3:
	v_cndmask_b32_e64 v3, v7, v5, s[2:3]
	v_cndmask_b32_e64 v2, v6, v4, s[2:3]
	v_cmp_lt_u32_e64 s[2:3], 31, v9
	s_nop 1
	v_cndmask_b32_e64 v5, 0, v10, s[2:3]
	v_cndmask_b32_e64 v4, 0, v1, s[2:3]
	v_lshl_add_u64 v[2:3], v[4:5], 0, v[2:3]
; %bb.4:
	s_or_b64 exec, exec, s[8:9]
	v_or_b32_e32 v1, 63, v0
	v_lshrrev_b32_e32 v4, 6, v0
	v_cmp_eq_u32_e64 s[2:3], v0, v1
	s_and_saveexec_b64 s[4:5], s[2:3]
; %bb.5:
	v_lshlrev_b32_e32 v1, 3, v4
	ds_write_b64 v1, v[2:3]
; %bb.6:
	s_or_b64 exec, exec, s[4:5]
	v_cmp_gt_u32_e64 s[2:3], 4, v0
	s_waitcnt lgkmcnt(0)
	s_barrier
	s_and_saveexec_b64 s[4:5], s[2:3]
	s_cbranch_execz .LBB84_8
; %bb.7:
	ds_read_b64 v[6:7], v8
	v_mov_b32_e32 v10, 0
	v_mov_b32_e32 v13, v10
	v_and_b32_e32 v1, 3, v9
	v_cmp_eq_u32_e64 s[2:3], 0, v1
	s_waitcnt lgkmcnt(0)
	v_mov_b32_dpp v12, v6 row_shr:1 row_mask:0xf bank_mask:0xf
	v_mov_b32_dpp v11, v7 row_shr:1 row_mask:0xf bank_mask:0xf
	v_lshl_add_u64 v[12:13], v[6:7], 0, v[12:13]
	v_lshl_add_u64 v[10:11], v[10:11], 0, v[12:13]
	v_cndmask_b32_e64 v11, v11, v7, s[2:3]
	v_cndmask_b32_e64 v5, v12, v6, s[2:3]
	;; [unrolled: 1-line block ×3, first 2 shown]
	v_mov_b32_dpp v7, v11 row_shr:2 row_mask:0xf bank_mask:0xf
	v_mov_b32_dpp v5, v5 row_shr:2 row_mask:0xf bank_mask:0xf
	v_cmp_lt_u32_e64 s[2:3], 1, v1
	s_nop 1
	v_cndmask_b32_e64 v6, 0, v5, s[2:3]
	v_cndmask_b32_e64 v7, 0, v7, s[2:3]
	v_lshl_add_u64 v[6:7], v[6:7], 0, v[10:11]
	ds_write_b64 v8, v[6:7]
.LBB84_8:
	s_or_b64 exec, exec, s[4:5]
	v_cmp_lt_u32_e64 s[2:3], 63, v0
	v_mov_b64_e32 v[0:1], 0
	s_waitcnt lgkmcnt(0)
	s_barrier
	s_and_saveexec_b64 s[4:5], s[2:3]
; %bb.9:
	v_lshl_add_u32 v0, v4, 3, -8
	ds_read_b64 v[0:1], v0
; %bb.10:
	s_or_b64 exec, exec, s[4:5]
	v_add_u32_e32 v4, -1, v9
	v_and_b32_e32 v5, 64, v9
	v_cmp_lt_i32_e64 s[2:3], v4, v5
	s_waitcnt lgkmcnt(0)
	v_lshl_add_u64 v[2:3], v[0:1], 0, v[2:3]
	v_cndmask_b32_e64 v4, v4, v9, s[2:3]
	v_lshlrev_b32_e32 v4, 2, v4
	ds_bpermute_b32 v2, v4, v2
	ds_bpermute_b32 v3, v4, v3
	s_and_saveexec_b64 s[2:3], vcc
	s_cbranch_execz .LBB84_12
; %bb.11:
	s_waitcnt lgkmcnt(0)
	v_cndmask_b32_e64 v1, v3, v1, s[0:1]
	v_cndmask_b32_e64 v0, v2, v0, s[0:1]
	global_store_dwordx2 v8, v[0:1], s[6:7]
.LBB84_12:
	s_endpgm
	.section	.rodata,"a",@progbits
	.p2align	6, 0x0
	.amdhsa_kernel _ZN7rocprim17ROCPRIM_304000_NS6detail31onesweep_scan_histograms_kernelINS1_34wrapped_radix_sort_onesweep_configINS0_14default_configEiN2at4cuda3cub6detail10OpaqueTypeILi8EEEEEmEEvPT0_
		.amdhsa_group_segment_fixed_size 32
		.amdhsa_private_segment_fixed_size 0
		.amdhsa_kernarg_size 8
		.amdhsa_user_sgpr_count 2
		.amdhsa_user_sgpr_dispatch_ptr 0
		.amdhsa_user_sgpr_queue_ptr 0
		.amdhsa_user_sgpr_kernarg_segment_ptr 1
		.amdhsa_user_sgpr_dispatch_id 0
		.amdhsa_user_sgpr_kernarg_preload_length 0
		.amdhsa_user_sgpr_kernarg_preload_offset 0
		.amdhsa_user_sgpr_private_segment_size 0
		.amdhsa_uses_dynamic_stack 0
		.amdhsa_enable_private_segment 0
		.amdhsa_system_sgpr_workgroup_id_x 1
		.amdhsa_system_sgpr_workgroup_id_y 0
		.amdhsa_system_sgpr_workgroup_id_z 0
		.amdhsa_system_sgpr_workgroup_info 0
		.amdhsa_system_vgpr_workitem_id 0
		.amdhsa_next_free_vgpr 14
		.amdhsa_next_free_sgpr 10
		.amdhsa_accum_offset 16
		.amdhsa_reserve_vcc 1
		.amdhsa_float_round_mode_32 0
		.amdhsa_float_round_mode_16_64 0
		.amdhsa_float_denorm_mode_32 3
		.amdhsa_float_denorm_mode_16_64 3
		.amdhsa_dx10_clamp 1
		.amdhsa_ieee_mode 1
		.amdhsa_fp16_overflow 0
		.amdhsa_tg_split 0
		.amdhsa_exception_fp_ieee_invalid_op 0
		.amdhsa_exception_fp_denorm_src 0
		.amdhsa_exception_fp_ieee_div_zero 0
		.amdhsa_exception_fp_ieee_overflow 0
		.amdhsa_exception_fp_ieee_underflow 0
		.amdhsa_exception_fp_ieee_inexact 0
		.amdhsa_exception_int_div_zero 0
	.end_amdhsa_kernel
	.section	.text._ZN7rocprim17ROCPRIM_304000_NS6detail31onesweep_scan_histograms_kernelINS1_34wrapped_radix_sort_onesweep_configINS0_14default_configEiN2at4cuda3cub6detail10OpaqueTypeILi8EEEEEmEEvPT0_,"axG",@progbits,_ZN7rocprim17ROCPRIM_304000_NS6detail31onesweep_scan_histograms_kernelINS1_34wrapped_radix_sort_onesweep_configINS0_14default_configEiN2at4cuda3cub6detail10OpaqueTypeILi8EEEEEmEEvPT0_,comdat
.Lfunc_end84:
	.size	_ZN7rocprim17ROCPRIM_304000_NS6detail31onesweep_scan_histograms_kernelINS1_34wrapped_radix_sort_onesweep_configINS0_14default_configEiN2at4cuda3cub6detail10OpaqueTypeILi8EEEEEmEEvPT0_, .Lfunc_end84-_ZN7rocprim17ROCPRIM_304000_NS6detail31onesweep_scan_histograms_kernelINS1_34wrapped_radix_sort_onesweep_configINS0_14default_configEiN2at4cuda3cub6detail10OpaqueTypeILi8EEEEEmEEvPT0_
                                        ; -- End function
	.set _ZN7rocprim17ROCPRIM_304000_NS6detail31onesweep_scan_histograms_kernelINS1_34wrapped_radix_sort_onesweep_configINS0_14default_configEiN2at4cuda3cub6detail10OpaqueTypeILi8EEEEEmEEvPT0_.num_vgpr, 14
	.set _ZN7rocprim17ROCPRIM_304000_NS6detail31onesweep_scan_histograms_kernelINS1_34wrapped_radix_sort_onesweep_configINS0_14default_configEiN2at4cuda3cub6detail10OpaqueTypeILi8EEEEEmEEvPT0_.num_agpr, 0
	.set _ZN7rocprim17ROCPRIM_304000_NS6detail31onesweep_scan_histograms_kernelINS1_34wrapped_radix_sort_onesweep_configINS0_14default_configEiN2at4cuda3cub6detail10OpaqueTypeILi8EEEEEmEEvPT0_.numbered_sgpr, 10
	.set _ZN7rocprim17ROCPRIM_304000_NS6detail31onesweep_scan_histograms_kernelINS1_34wrapped_radix_sort_onesweep_configINS0_14default_configEiN2at4cuda3cub6detail10OpaqueTypeILi8EEEEEmEEvPT0_.num_named_barrier, 0
	.set _ZN7rocprim17ROCPRIM_304000_NS6detail31onesweep_scan_histograms_kernelINS1_34wrapped_radix_sort_onesweep_configINS0_14default_configEiN2at4cuda3cub6detail10OpaqueTypeILi8EEEEEmEEvPT0_.private_seg_size, 0
	.set _ZN7rocprim17ROCPRIM_304000_NS6detail31onesweep_scan_histograms_kernelINS1_34wrapped_radix_sort_onesweep_configINS0_14default_configEiN2at4cuda3cub6detail10OpaqueTypeILi8EEEEEmEEvPT0_.uses_vcc, 1
	.set _ZN7rocprim17ROCPRIM_304000_NS6detail31onesweep_scan_histograms_kernelINS1_34wrapped_radix_sort_onesweep_configINS0_14default_configEiN2at4cuda3cub6detail10OpaqueTypeILi8EEEEEmEEvPT0_.uses_flat_scratch, 0
	.set _ZN7rocprim17ROCPRIM_304000_NS6detail31onesweep_scan_histograms_kernelINS1_34wrapped_radix_sort_onesweep_configINS0_14default_configEiN2at4cuda3cub6detail10OpaqueTypeILi8EEEEEmEEvPT0_.has_dyn_sized_stack, 0
	.set _ZN7rocprim17ROCPRIM_304000_NS6detail31onesweep_scan_histograms_kernelINS1_34wrapped_radix_sort_onesweep_configINS0_14default_configEiN2at4cuda3cub6detail10OpaqueTypeILi8EEEEEmEEvPT0_.has_recursion, 0
	.set _ZN7rocprim17ROCPRIM_304000_NS6detail31onesweep_scan_histograms_kernelINS1_34wrapped_radix_sort_onesweep_configINS0_14default_configEiN2at4cuda3cub6detail10OpaqueTypeILi8EEEEEmEEvPT0_.has_indirect_call, 0
	.section	.AMDGPU.csdata,"",@progbits
; Kernel info:
; codeLenInByte = 848
; TotalNumSgprs: 16
; NumVgprs: 14
; NumAgprs: 0
; TotalNumVgprs: 14
; ScratchSize: 0
; MemoryBound: 0
; FloatMode: 240
; IeeeMode: 1
; LDSByteSize: 32 bytes/workgroup (compile time only)
; SGPRBlocks: 1
; VGPRBlocks: 1
; NumSGPRsForWavesPerEU: 16
; NumVGPRsForWavesPerEU: 14
; AccumOffset: 16
; Occupancy: 8
; WaveLimiterHint : 0
; COMPUTE_PGM_RSRC2:SCRATCH_EN: 0
; COMPUTE_PGM_RSRC2:USER_SGPR: 2
; COMPUTE_PGM_RSRC2:TRAP_HANDLER: 0
; COMPUTE_PGM_RSRC2:TGID_X_EN: 1
; COMPUTE_PGM_RSRC2:TGID_Y_EN: 0
; COMPUTE_PGM_RSRC2:TGID_Z_EN: 0
; COMPUTE_PGM_RSRC2:TIDIG_COMP_CNT: 0
; COMPUTE_PGM_RSRC3_GFX90A:ACCUM_OFFSET: 3
; COMPUTE_PGM_RSRC3_GFX90A:TG_SPLIT: 0
	.section	.text._ZN7rocprim17ROCPRIM_304000_NS6detail16transform_kernelINS1_24wrapped_transform_configINS0_14default_configEiEEiPKiPiNS0_8identityIiEEEEvT1_mT2_T3_,"axG",@progbits,_ZN7rocprim17ROCPRIM_304000_NS6detail16transform_kernelINS1_24wrapped_transform_configINS0_14default_configEiEEiPKiPiNS0_8identityIiEEEEvT1_mT2_T3_,comdat
	.protected	_ZN7rocprim17ROCPRIM_304000_NS6detail16transform_kernelINS1_24wrapped_transform_configINS0_14default_configEiEEiPKiPiNS0_8identityIiEEEEvT1_mT2_T3_ ; -- Begin function _ZN7rocprim17ROCPRIM_304000_NS6detail16transform_kernelINS1_24wrapped_transform_configINS0_14default_configEiEEiPKiPiNS0_8identityIiEEEEvT1_mT2_T3_
	.globl	_ZN7rocprim17ROCPRIM_304000_NS6detail16transform_kernelINS1_24wrapped_transform_configINS0_14default_configEiEEiPKiPiNS0_8identityIiEEEEvT1_mT2_T3_
	.p2align	8
	.type	_ZN7rocprim17ROCPRIM_304000_NS6detail16transform_kernelINS1_24wrapped_transform_configINS0_14default_configEiEEiPKiPiNS0_8identityIiEEEEvT1_mT2_T3_,@function
_ZN7rocprim17ROCPRIM_304000_NS6detail16transform_kernelINS1_24wrapped_transform_configINS0_14default_configEiEEiPKiPiNS0_8identityIiEEEEvT1_mT2_T3_: ; @_ZN7rocprim17ROCPRIM_304000_NS6detail16transform_kernelINS1_24wrapped_transform_configINS0_14default_configEiEEiPKiPiNS0_8identityIiEEEEvT1_mT2_T3_
; %bb.0:
	s_load_dword s3, s[0:1], 0x20
	s_load_dwordx4 s[4:7], s[0:1], 0x0
	s_load_dwordx2 s[8:9], s[0:1], 0x10
	s_lshl_b32 s0, s2, 8
	s_mov_b32 s1, 0
	s_waitcnt lgkmcnt(0)
	s_add_i32 s3, s3, -1
	s_lshl_b64 s[10:11], s[0:1], 2
	s_add_u32 s4, s4, s10
	s_addc_u32 s5, s5, s11
	v_mov_b32_e32 v3, 0
	v_lshlrev_b32_e32 v2, 2, v0
	s_cmp_lg_u32 s2, s3
	v_lshl_add_u64 v[4:5], s[4:5], 0, v[2:3]
	s_cbranch_scc0 .LBB85_2
; %bb.1:
	global_load_dword v3, v[4:5], off
	global_load_dword v1, v[4:5], off offset:512
	s_add_u32 s2, s8, s10
	s_addc_u32 s3, s9, s11
	s_waitcnt vmcnt(1)
	global_store_dword v2, v3, s[2:3]
	s_mov_b64 s[2:3], -1
	s_cbranch_execz .LBB85_3
	s_branch .LBB85_10
.LBB85_2:
	s_mov_b64 s[2:3], 0
                                        ; implicit-def: $vgpr1
.LBB85_3:
	s_sub_i32 s4, s6, s0
	v_mov_b32_e32 v6, 0
	v_cmp_gt_u32_e32 vcc, s4, v0
	v_mov_b32_e32 v7, v6
	s_and_saveexec_b64 s[0:1], vcc
	s_cbranch_execz .LBB85_5
; %bb.4:
	global_load_dword v8, v[4:5], off
	v_mov_b32_e32 v9, v6
	s_waitcnt vmcnt(0)
	v_mov_b64_e32 v[6:7], v[8:9]
.LBB85_5:
	s_or_b64 exec, exec, s[0:1]
	v_or_b32_e32 v0, 0x80, v0
	v_cmp_gt_u32_e64 s[0:1], s4, v0
	s_and_saveexec_b64 s[4:5], s[0:1]
	s_cbranch_execnz .LBB85_13
; %bb.6:
	s_or_b64 exec, exec, s[4:5]
	v_cndmask_b32_e32 v0, 0, v6, vcc
	s_and_saveexec_b64 s[4:5], vcc
	s_cbranch_execnz .LBB85_14
.LBB85_7:
	s_or_b64 exec, exec, s[4:5]
                                        ; implicit-def: $vgpr1
	s_and_saveexec_b64 s[4:5], s[0:1]
	s_cbranch_execz .LBB85_9
.LBB85_8:
	s_waitcnt vmcnt(0)
	v_cndmask_b32_e64 v1, 0, v7, s[0:1]
	s_or_b64 s[2:3], s[2:3], exec
.LBB85_9:
	s_or_b64 exec, exec, s[4:5]
.LBB85_10:
	s_and_saveexec_b64 s[0:1], s[2:3]
	s_cbranch_execnz .LBB85_12
; %bb.11:
	s_endpgm
.LBB85_12:
	s_add_u32 s0, s8, s10
	s_addc_u32 s1, s9, s11
	s_waitcnt vmcnt(1)
	global_store_dword v2, v1, s[0:1] offset:512
	s_endpgm
.LBB85_13:
	global_load_dword v7, v[4:5], off offset:512
	s_or_b64 exec, exec, s[4:5]
	v_cndmask_b32_e32 v0, 0, v6, vcc
	s_and_saveexec_b64 s[4:5], vcc
	s_cbranch_execz .LBB85_7
.LBB85_14:
	s_add_u32 s6, s8, s10
	s_addc_u32 s7, s9, s11
	global_store_dword v2, v0, s[6:7]
	s_or_b64 exec, exec, s[4:5]
                                        ; implicit-def: $vgpr1
	s_and_saveexec_b64 s[4:5], s[0:1]
	s_cbranch_execnz .LBB85_8
	s_branch .LBB85_9
	.section	.rodata,"a",@progbits
	.p2align	6, 0x0
	.amdhsa_kernel _ZN7rocprim17ROCPRIM_304000_NS6detail16transform_kernelINS1_24wrapped_transform_configINS0_14default_configEiEEiPKiPiNS0_8identityIiEEEEvT1_mT2_T3_
		.amdhsa_group_segment_fixed_size 0
		.amdhsa_private_segment_fixed_size 0
		.amdhsa_kernarg_size 288
		.amdhsa_user_sgpr_count 2
		.amdhsa_user_sgpr_dispatch_ptr 0
		.amdhsa_user_sgpr_queue_ptr 0
		.amdhsa_user_sgpr_kernarg_segment_ptr 1
		.amdhsa_user_sgpr_dispatch_id 0
		.amdhsa_user_sgpr_kernarg_preload_length 0
		.amdhsa_user_sgpr_kernarg_preload_offset 0
		.amdhsa_user_sgpr_private_segment_size 0
		.amdhsa_uses_dynamic_stack 0
		.amdhsa_enable_private_segment 0
		.amdhsa_system_sgpr_workgroup_id_x 1
		.amdhsa_system_sgpr_workgroup_id_y 0
		.amdhsa_system_sgpr_workgroup_id_z 0
		.amdhsa_system_sgpr_workgroup_info 0
		.amdhsa_system_vgpr_workitem_id 0
		.amdhsa_next_free_vgpr 10
		.amdhsa_next_free_sgpr 12
		.amdhsa_accum_offset 12
		.amdhsa_reserve_vcc 1
		.amdhsa_float_round_mode_32 0
		.amdhsa_float_round_mode_16_64 0
		.amdhsa_float_denorm_mode_32 3
		.amdhsa_float_denorm_mode_16_64 3
		.amdhsa_dx10_clamp 1
		.amdhsa_ieee_mode 1
		.amdhsa_fp16_overflow 0
		.amdhsa_tg_split 0
		.amdhsa_exception_fp_ieee_invalid_op 0
		.amdhsa_exception_fp_denorm_src 0
		.amdhsa_exception_fp_ieee_div_zero 0
		.amdhsa_exception_fp_ieee_overflow 0
		.amdhsa_exception_fp_ieee_underflow 0
		.amdhsa_exception_fp_ieee_inexact 0
		.amdhsa_exception_int_div_zero 0
	.end_amdhsa_kernel
	.section	.text._ZN7rocprim17ROCPRIM_304000_NS6detail16transform_kernelINS1_24wrapped_transform_configINS0_14default_configEiEEiPKiPiNS0_8identityIiEEEEvT1_mT2_T3_,"axG",@progbits,_ZN7rocprim17ROCPRIM_304000_NS6detail16transform_kernelINS1_24wrapped_transform_configINS0_14default_configEiEEiPKiPiNS0_8identityIiEEEEvT1_mT2_T3_,comdat
.Lfunc_end85:
	.size	_ZN7rocprim17ROCPRIM_304000_NS6detail16transform_kernelINS1_24wrapped_transform_configINS0_14default_configEiEEiPKiPiNS0_8identityIiEEEEvT1_mT2_T3_, .Lfunc_end85-_ZN7rocprim17ROCPRIM_304000_NS6detail16transform_kernelINS1_24wrapped_transform_configINS0_14default_configEiEEiPKiPiNS0_8identityIiEEEEvT1_mT2_T3_
                                        ; -- End function
	.set _ZN7rocprim17ROCPRIM_304000_NS6detail16transform_kernelINS1_24wrapped_transform_configINS0_14default_configEiEEiPKiPiNS0_8identityIiEEEEvT1_mT2_T3_.num_vgpr, 10
	.set _ZN7rocprim17ROCPRIM_304000_NS6detail16transform_kernelINS1_24wrapped_transform_configINS0_14default_configEiEEiPKiPiNS0_8identityIiEEEEvT1_mT2_T3_.num_agpr, 0
	.set _ZN7rocprim17ROCPRIM_304000_NS6detail16transform_kernelINS1_24wrapped_transform_configINS0_14default_configEiEEiPKiPiNS0_8identityIiEEEEvT1_mT2_T3_.numbered_sgpr, 12
	.set _ZN7rocprim17ROCPRIM_304000_NS6detail16transform_kernelINS1_24wrapped_transform_configINS0_14default_configEiEEiPKiPiNS0_8identityIiEEEEvT1_mT2_T3_.num_named_barrier, 0
	.set _ZN7rocprim17ROCPRIM_304000_NS6detail16transform_kernelINS1_24wrapped_transform_configINS0_14default_configEiEEiPKiPiNS0_8identityIiEEEEvT1_mT2_T3_.private_seg_size, 0
	.set _ZN7rocprim17ROCPRIM_304000_NS6detail16transform_kernelINS1_24wrapped_transform_configINS0_14default_configEiEEiPKiPiNS0_8identityIiEEEEvT1_mT2_T3_.uses_vcc, 1
	.set _ZN7rocprim17ROCPRIM_304000_NS6detail16transform_kernelINS1_24wrapped_transform_configINS0_14default_configEiEEiPKiPiNS0_8identityIiEEEEvT1_mT2_T3_.uses_flat_scratch, 0
	.set _ZN7rocprim17ROCPRIM_304000_NS6detail16transform_kernelINS1_24wrapped_transform_configINS0_14default_configEiEEiPKiPiNS0_8identityIiEEEEvT1_mT2_T3_.has_dyn_sized_stack, 0
	.set _ZN7rocprim17ROCPRIM_304000_NS6detail16transform_kernelINS1_24wrapped_transform_configINS0_14default_configEiEEiPKiPiNS0_8identityIiEEEEvT1_mT2_T3_.has_recursion, 0
	.set _ZN7rocprim17ROCPRIM_304000_NS6detail16transform_kernelINS1_24wrapped_transform_configINS0_14default_configEiEEiPKiPiNS0_8identityIiEEEEvT1_mT2_T3_.has_indirect_call, 0
	.section	.AMDGPU.csdata,"",@progbits
; Kernel info:
; codeLenInByte = 340
; TotalNumSgprs: 18
; NumVgprs: 10
; NumAgprs: 0
; TotalNumVgprs: 10
; ScratchSize: 0
; MemoryBound: 0
; FloatMode: 240
; IeeeMode: 1
; LDSByteSize: 0 bytes/workgroup (compile time only)
; SGPRBlocks: 2
; VGPRBlocks: 1
; NumSGPRsForWavesPerEU: 18
; NumVGPRsForWavesPerEU: 10
; AccumOffset: 12
; Occupancy: 8
; WaveLimiterHint : 1
; COMPUTE_PGM_RSRC2:SCRATCH_EN: 0
; COMPUTE_PGM_RSRC2:USER_SGPR: 2
; COMPUTE_PGM_RSRC2:TRAP_HANDLER: 0
; COMPUTE_PGM_RSRC2:TGID_X_EN: 1
; COMPUTE_PGM_RSRC2:TGID_Y_EN: 0
; COMPUTE_PGM_RSRC2:TGID_Z_EN: 0
; COMPUTE_PGM_RSRC2:TIDIG_COMP_CNT: 0
; COMPUTE_PGM_RSRC3_GFX90A:ACCUM_OFFSET: 2
; COMPUTE_PGM_RSRC3_GFX90A:TG_SPLIT: 0
	.section	.text._ZN7rocprim17ROCPRIM_304000_NS6detail25onesweep_iteration_kernelINS1_34wrapped_radix_sort_onesweep_configINS0_14default_configEiN2at4cuda3cub6detail10OpaqueTypeILi8EEEEELb1EPKiPiPKSA_PSA_mNS0_19identity_decomposerEEEvT1_T2_T3_T4_jPT5_SO_PNS1_23onesweep_lookback_stateET6_jjj,"axG",@progbits,_ZN7rocprim17ROCPRIM_304000_NS6detail25onesweep_iteration_kernelINS1_34wrapped_radix_sort_onesweep_configINS0_14default_configEiN2at4cuda3cub6detail10OpaqueTypeILi8EEEEELb1EPKiPiPKSA_PSA_mNS0_19identity_decomposerEEEvT1_T2_T3_T4_jPT5_SO_PNS1_23onesweep_lookback_stateET6_jjj,comdat
	.protected	_ZN7rocprim17ROCPRIM_304000_NS6detail25onesweep_iteration_kernelINS1_34wrapped_radix_sort_onesweep_configINS0_14default_configEiN2at4cuda3cub6detail10OpaqueTypeILi8EEEEELb1EPKiPiPKSA_PSA_mNS0_19identity_decomposerEEEvT1_T2_T3_T4_jPT5_SO_PNS1_23onesweep_lookback_stateET6_jjj ; -- Begin function _ZN7rocprim17ROCPRIM_304000_NS6detail25onesweep_iteration_kernelINS1_34wrapped_radix_sort_onesweep_configINS0_14default_configEiN2at4cuda3cub6detail10OpaqueTypeILi8EEEEELb1EPKiPiPKSA_PSA_mNS0_19identity_decomposerEEEvT1_T2_T3_T4_jPT5_SO_PNS1_23onesweep_lookback_stateET6_jjj
	.globl	_ZN7rocprim17ROCPRIM_304000_NS6detail25onesweep_iteration_kernelINS1_34wrapped_radix_sort_onesweep_configINS0_14default_configEiN2at4cuda3cub6detail10OpaqueTypeILi8EEEEELb1EPKiPiPKSA_PSA_mNS0_19identity_decomposerEEEvT1_T2_T3_T4_jPT5_SO_PNS1_23onesweep_lookback_stateET6_jjj
	.p2align	8
	.type	_ZN7rocprim17ROCPRIM_304000_NS6detail25onesweep_iteration_kernelINS1_34wrapped_radix_sort_onesweep_configINS0_14default_configEiN2at4cuda3cub6detail10OpaqueTypeILi8EEEEELb1EPKiPiPKSA_PSA_mNS0_19identity_decomposerEEEvT1_T2_T3_T4_jPT5_SO_PNS1_23onesweep_lookback_stateET6_jjj,@function
_ZN7rocprim17ROCPRIM_304000_NS6detail25onesweep_iteration_kernelINS1_34wrapped_radix_sort_onesweep_configINS0_14default_configEiN2at4cuda3cub6detail10OpaqueTypeILi8EEEEELb1EPKiPiPKSA_PSA_mNS0_19identity_decomposerEEEvT1_T2_T3_T4_jPT5_SO_PNS1_23onesweep_lookback_stateET6_jjj: ; @_ZN7rocprim17ROCPRIM_304000_NS6detail25onesweep_iteration_kernelINS1_34wrapped_radix_sort_onesweep_configINS0_14default_configEiN2at4cuda3cub6detail10OpaqueTypeILi8EEEEELb1EPKiPiPKSA_PSA_mNS0_19identity_decomposerEEEvT1_T2_T3_T4_jPT5_SO_PNS1_23onesweep_lookback_stateET6_jjj
; %bb.0:
	s_load_dwordx8 s[52:59], s[0:1], 0x0
	s_load_dwordx4 s[64:67], s[0:1], 0x44
	s_load_dwordx4 s[60:63], s[0:1], 0x28
	s_load_dwordx2 s[70:71], s[0:1], 0x38
	s_mov_b32 s3, s2
	s_mov_b64 s[4:5], -1
	s_waitcnt lgkmcnt(0)
	s_cmp_ge_u32 s2, s66
	s_mul_i32 s68, s2, 0xc00
	v_mbcnt_lo_u32_b32 v1, -1, 0
	s_cbranch_scc0 .LBB86_152
; %bb.1:
	s_load_dword s6, s[0:1], 0x20
	s_mulk_i32 s66, 0xf400
	s_mov_b32 s69, 0
	s_lshl_b64 s[4:5], s[68:69], 2
	v_mbcnt_hi_u32_b32 v14, -1, v1
	s_waitcnt lgkmcnt(0)
	s_add_i32 s66, s66, s6
	s_add_u32 s4, s52, s4
	v_and_b32_e32 v19, 0xc0, v0
	s_addc_u32 s5, s53, s5
	v_mul_u32_u24_e32 v3, 12, v19
	v_mov_b32_e32 v5, 0
	v_lshlrev_b32_e32 v4, 2, v14
	v_lshl_add_u64 v[6:7], s[4:5], 0, v[4:5]
	v_lshlrev_b32_e32 v4, 2, v3
	v_lshl_add_u64 v[4:5], v[6:7], 0, v[4:5]
	v_or_b32_e32 v6, v14, v3
	v_mov_b32_e32 v8, -1
	v_cmp_gt_u32_e32 vcc, s66, v6
	v_mov_b32_e32 v9, -1
	s_and_saveexec_b64 s[4:5], vcc
	s_cbranch_execz .LBB86_3
; %bb.2:
	global_load_dword v2, v[4:5], off
	s_waitcnt vmcnt(0)
	v_xor_b32_e32 v9, 0x7fffffff, v2
.LBB86_3:
	s_or_b64 exec, exec, s[4:5]
	v_add_u32_e32 v2, 64, v6
	v_cmp_gt_u32_e64 s[50:51], s66, v2
	s_and_saveexec_b64 s[4:5], s[50:51]
	s_cbranch_execz .LBB86_5
; %bb.4:
	global_load_dword v2, v[4:5], off offset:256
	s_waitcnt vmcnt(0)
	v_xor_b32_e32 v8, 0x7fffffff, v2
.LBB86_5:
	s_or_b64 exec, exec, s[4:5]
	v_add_u32_e32 v2, 0x80, v6
	v_cmp_gt_u32_e64 s[4:5], s66, v2
	v_mov_b32_e32 v10, -1
	v_mov_b32_e32 v11, -1
	s_and_saveexec_b64 s[6:7], s[4:5]
	s_cbranch_execz .LBB86_7
; %bb.6:
	global_load_dword v2, v[4:5], off offset:512
	s_waitcnt vmcnt(0)
	v_xor_b32_e32 v11, 0x7fffffff, v2
.LBB86_7:
	s_or_b64 exec, exec, s[6:7]
	v_add_u32_e32 v2, 0xc0, v6
	v_cmp_gt_u32_e64 s[6:7], s66, v2
	s_and_saveexec_b64 s[8:9], s[6:7]
	s_cbranch_execz .LBB86_9
; %bb.8:
	global_load_dword v2, v[4:5], off offset:768
	s_waitcnt vmcnt(0)
	v_xor_b32_e32 v10, 0x7fffffff, v2
.LBB86_9:
	s_or_b64 exec, exec, s[8:9]
	v_add_u32_e32 v2, 0x100, v6
	v_cmp_gt_u32_e64 s[8:9], s66, v2
	v_mov_b32_e32 v12, -1
	v_mov_b32_e32 v13, -1
	s_and_saveexec_b64 s[10:11], s[8:9]
	s_cbranch_execz .LBB86_11
; %bb.10:
	global_load_dword v2, v[4:5], off offset:1024
	s_waitcnt vmcnt(0)
	v_xor_b32_e32 v13, 0x7fffffff, v2
.LBB86_11:
	;; [unrolled: 22-line block ×5, first 2 shown]
	s_or_b64 exec, exec, s[14:15]
	v_add_u32_e32 v6, 0x2c0, v6
	v_and_b32_e32 v2, 0x3ff, v0
	v_cmp_gt_u32_e64 s[14:15], s66, v6
	s_and_saveexec_b64 s[24:25], s[14:15]
	s_cbranch_execz .LBB86_25
; %bb.24:
	global_load_dword v4, v[4:5], off offset:2816
	s_waitcnt vmcnt(0)
	v_xor_b32_e32 v20, 0x7fffffff, v4
.LBB86_25:
	s_or_b64 exec, exec, s[24:25]
	s_load_dword s24, s[0:1], 0x5c
	s_load_dword s33, s[0:1], 0x50
	s_add_u32 s25, s0, 0x50
	s_addc_u32 s26, s1, 0
	v_mov_b32_e32 v5, 0
	s_waitcnt lgkmcnt(0)
	s_lshr_b32 s27, s24, 16
	s_cmp_lt_u32 s2, s33
	s_cselect_b32 s24, 12, 18
	s_add_u32 s24, s25, s24
	s_addc_u32 s25, s26, 0
	global_load_ushort v23, v5, s[24:25]
	v_lshrrev_b32_e32 v25, s64, v9
	s_lshl_b32 s24, -1, s65
	v_bfe_u32 v4, v0, 10, 10
	v_bfe_u32 v7, v0, 20, 10
	v_bitop3_b32 v35, v25, s24, v25 bitop3:0x30
	v_mad_u32_u24 v38, v7, s27, v4
	v_and_b32_e32 v4, 1, v35
	v_lshlrev_b32_e32 v7, 30, v35
	v_mov_b32_e32 v6, v5
	v_mov_b32_e32 v26, v5
	s_not_b32 s72, s24
	v_lshlrev_b32_e32 v25, 29, v35
	v_lshlrev_b32_e32 v27, 28, v35
	v_lshl_add_u64 v[36:37], v[4:5], 0, -1
	v_cmp_ne_u32_e64 s[24:25], 0, v4
	v_not_b32_e32 v4, v7
	v_mov_b32_e32 v24, v5
	v_mov_b32_e32 v28, v5
	v_lshlrev_b32_e32 v29, 27, v35
	v_cmp_gt_i64_e64 s[26:27], 0, v[6:7]
	v_not_b32_e32 v6, v25
	v_cmp_gt_i64_e64 s[30:31], 0, v[26:27]
	v_not_b32_e32 v7, v27
	v_xor_b32_e32 v27, s25, v37
	v_ashrrev_i32_e32 v4, 31, v4
	v_mov_b32_e32 v30, v5
	v_lshlrev_b32_e32 v31, 26, v35
	v_cmp_gt_i64_e64 s[28:29], 0, v[24:25]
	v_cmp_gt_i64_e64 s[34:35], 0, v[28:29]
	v_not_b32_e32 v24, v29
	v_xor_b32_e32 v28, s24, v36
	v_ashrrev_i32_e32 v6, 31, v6
	v_and_b32_e32 v27, exec_hi, v27
	v_xor_b32_e32 v29, s27, v4
	v_cmp_gt_i64_e64 s[36:37], 0, v[30:31]
	v_ashrrev_i32_e32 v7, 31, v7
	v_and_b32_e32 v28, exec_lo, v28
	v_xor_b32_e32 v4, s26, v4
	v_xor_b32_e32 v30, s29, v6
	v_and_b32_e32 v27, v27, v29
	v_mov_b32_e32 v32, v5
	v_lshlrev_b32_e32 v33, 25, v35
	v_not_b32_e32 v25, v31
	v_ashrrev_i32_e32 v24, 31, v24
	v_xor_b32_e32 v6, s28, v6
	v_xor_b32_e32 v31, s31, v7
	v_and_b32_e32 v4, v28, v4
	v_and_b32_e32 v27, v27, v30
	v_cmp_gt_i64_e64 s[38:39], 0, v[32:33]
	v_not_b32_e32 v26, v33
	v_ashrrev_i32_e32 v25, 31, v25
	v_xor_b32_e32 v7, s30, v7
	v_xor_b32_e32 v32, s35, v24
	v_and_b32_e32 v4, v4, v6
	v_and_b32_e32 v6, v27, v31
	v_ashrrev_i32_e32 v26, 31, v26
	v_xor_b32_e32 v24, s34, v24
	v_xor_b32_e32 v33, s37, v25
	v_and_b32_e32 v4, v4, v7
	v_and_b32_e32 v6, v6, v32
	v_xor_b32_e32 v25, s36, v25
	v_xor_b32_e32 v36, s39, v26
	v_and_b32_e32 v4, v4, v24
	v_and_b32_e32 v6, v6, v33
	v_mul_lo_u32 v39, v35, 20
	v_lshlrev_b32_e32 v35, 24, v35
	v_and_b32_e32 v4, v4, v25
	v_and_b32_e32 v25, v6, v36
	v_mov_b32_e32 v34, v5
	v_xor_b32_e32 v26, s38, v26
	v_and_b32_e32 v4, v4, v26
	v_mul_u32_u24_e32 v22, 20, v2
	ds_write2_b32 v22, v5, v5 offset0:4 offset1:5
	ds_write2_b32 v22, v5, v5 offset0:6 offset1:7
	ds_write_b32 v22, v5 offset:32
	s_waitcnt lgkmcnt(0)
	s_barrier
	s_waitcnt vmcnt(0)
	; wave barrier
	v_mad_u64_u32 v[6:7], s[24:25], v38, v23, v[2:3]
	v_lshrrev_b32_e32 v32, 6, v6
	v_not_b32_e32 v6, v35
	v_cmp_gt_i64_e64 s[24:25], 0, v[34:35]
	v_ashrrev_i32_e32 v6, 31, v6
	v_lshl_add_u32 v24, v32, 2, v39
	v_xor_b32_e32 v7, s25, v6
	v_xor_b32_e32 v6, s24, v6
	v_and_b32_e32 v6, v4, v6
	v_and_b32_e32 v7, v25, v7
	v_mbcnt_lo_u32_b32 v4, v6, 0
	v_mbcnt_hi_u32_b32 v23, v7, v4
	v_cmp_eq_u32_e64 s[24:25], 0, v23
	v_cmp_ne_u64_e64 s[26:27], 0, v[6:7]
	s_and_b64 s[26:27], s[26:27], s[24:25]
	s_and_saveexec_b64 s[24:25], s[26:27]
; %bb.26:
	v_bcnt_u32_b32 v4, v6, 0
	v_bcnt_u32_b32 v4, v7, v4
	ds_write_b32 v24, v4 offset:16
; %bb.27:
	s_or_b64 exec, exec, s[24:25]
	v_lshrrev_b32_e32 v4, s64, v8
	v_and_b32_e32 v27, s72, v4
	v_mul_lo_u32 v4, v27, 20
	v_lshl_add_u32 v26, v32, 2, v4
	v_and_b32_e32 v4, 1, v27
	v_lshl_add_u64 v[6:7], v[4:5], 0, -1
	v_cmp_ne_u32_e64 s[24:25], 0, v4
	; wave barrier
	s_nop 1
	v_xor_b32_e32 v6, s24, v6
	v_xor_b32_e32 v4, s25, v7
	v_and_b32_e32 v28, exec_lo, v6
	v_lshlrev_b32_e32 v7, 30, v27
	v_mov_b32_e32 v6, v5
	v_cmp_gt_i64_e64 s[24:25], 0, v[6:7]
	v_not_b32_e32 v6, v7
	v_ashrrev_i32_e32 v6, 31, v6
	v_and_b32_e32 v4, exec_hi, v4
	v_xor_b32_e32 v7, s25, v6
	v_xor_b32_e32 v6, s24, v6
	v_and_b32_e32 v4, v4, v7
	v_and_b32_e32 v28, v28, v6
	v_lshlrev_b32_e32 v7, 29, v27
	v_mov_b32_e32 v6, v5
	v_cmp_gt_i64_e64 s[24:25], 0, v[6:7]
	v_not_b32_e32 v6, v7
	v_ashrrev_i32_e32 v6, 31, v6
	v_xor_b32_e32 v7, s25, v6
	v_xor_b32_e32 v6, s24, v6
	v_and_b32_e32 v4, v4, v7
	v_and_b32_e32 v28, v28, v6
	v_lshlrev_b32_e32 v7, 28, v27
	v_mov_b32_e32 v6, v5
	v_cmp_gt_i64_e64 s[24:25], 0, v[6:7]
	v_not_b32_e32 v6, v7
	v_ashrrev_i32_e32 v6, 31, v6
	;; [unrolled: 9-line block ×5, first 2 shown]
	v_xor_b32_e32 v7, s25, v6
	v_xor_b32_e32 v6, s24, v6
	v_and_b32_e32 v4, v4, v7
	v_lshlrev_b32_e32 v7, 24, v27
	v_and_b32_e32 v28, v28, v6
	v_mov_b32_e32 v6, v5
	v_not_b32_e32 v5, v7
	v_cmp_gt_i64_e64 s[24:25], 0, v[6:7]
	v_ashrrev_i32_e32 v5, 31, v5
	ds_read_b32 v25, v26 offset:16
	v_xor_b32_e32 v6, s25, v5
	v_xor_b32_e32 v7, s24, v5
	v_and_b32_e32 v5, v4, v6
	v_and_b32_e32 v4, v28, v7
	v_mbcnt_lo_u32_b32 v6, v4, 0
	v_mbcnt_hi_u32_b32 v27, v5, v6
	v_cmp_eq_u32_e64 s[24:25], 0, v27
	v_cmp_ne_u64_e64 s[26:27], 0, v[4:5]
	s_and_b64 s[26:27], s[26:27], s[24:25]
	; wave barrier
	s_and_saveexec_b64 s[24:25], s[26:27]
	s_cbranch_execz .LBB86_29
; %bb.28:
	v_bcnt_u32_b32 v4, v4, 0
	v_bcnt_u32_b32 v4, v5, v4
	s_waitcnt lgkmcnt(0)
	v_add_u32_e32 v4, v25, v4
	ds_write_b32 v26, v4 offset:16
.LBB86_29:
	s_or_b64 exec, exec, s[24:25]
	v_lshrrev_b32_e32 v4, s64, v11
	v_and_b32_e32 v30, s72, v4
	v_mul_lo_u32 v4, v30, 20
	v_lshl_add_u32 v29, v32, 2, v4
	v_and_b32_e32 v4, 1, v30
	v_mov_b32_e32 v5, 0
	v_lshl_add_u64 v[6:7], v[4:5], 0, -1
	v_cmp_ne_u32_e64 s[24:25], 0, v4
	; wave barrier
	s_nop 1
	v_xor_b32_e32 v6, s24, v6
	v_xor_b32_e32 v4, s25, v7
	v_and_b32_e32 v31, exec_lo, v6
	v_lshlrev_b32_e32 v7, 30, v30
	v_mov_b32_e32 v6, v5
	v_cmp_gt_i64_e64 s[24:25], 0, v[6:7]
	v_not_b32_e32 v6, v7
	v_ashrrev_i32_e32 v6, 31, v6
	v_and_b32_e32 v4, exec_hi, v4
	v_xor_b32_e32 v7, s25, v6
	v_xor_b32_e32 v6, s24, v6
	v_and_b32_e32 v4, v4, v7
	v_and_b32_e32 v31, v31, v6
	v_lshlrev_b32_e32 v7, 29, v30
	v_mov_b32_e32 v6, v5
	v_cmp_gt_i64_e64 s[24:25], 0, v[6:7]
	v_not_b32_e32 v6, v7
	v_ashrrev_i32_e32 v6, 31, v6
	v_xor_b32_e32 v7, s25, v6
	v_xor_b32_e32 v6, s24, v6
	v_and_b32_e32 v4, v4, v7
	v_and_b32_e32 v31, v31, v6
	v_lshlrev_b32_e32 v7, 28, v30
	v_mov_b32_e32 v6, v5
	v_cmp_gt_i64_e64 s[24:25], 0, v[6:7]
	v_not_b32_e32 v6, v7
	v_ashrrev_i32_e32 v6, 31, v6
	;; [unrolled: 9-line block ×6, first 2 shown]
	v_xor_b32_e32 v7, s25, v6
	v_xor_b32_e32 v6, s24, v6
	ds_read_b32 v28, v29 offset:16
	v_and_b32_e32 v6, v31, v6
	v_and_b32_e32 v7, v4, v7
	v_mbcnt_lo_u32_b32 v4, v6, 0
	v_mbcnt_hi_u32_b32 v30, v7, v4
	v_cmp_eq_u32_e64 s[24:25], 0, v30
	v_cmp_ne_u64_e64 s[26:27], 0, v[6:7]
	s_and_b64 s[26:27], s[26:27], s[24:25]
	; wave barrier
	s_and_saveexec_b64 s[24:25], s[26:27]
	s_cbranch_execz .LBB86_31
; %bb.30:
	v_bcnt_u32_b32 v4, v6, 0
	v_bcnt_u32_b32 v4, v7, v4
	s_waitcnt lgkmcnt(0)
	v_add_u32_e32 v4, v28, v4
	ds_write_b32 v29, v4 offset:16
.LBB86_31:
	s_or_b64 exec, exec, s[24:25]
	v_lshrrev_b32_e32 v4, s64, v10
	v_and_b32_e32 v34, s72, v4
	v_mul_lo_u32 v4, v34, 20
	v_lshl_add_u32 v33, v32, 2, v4
	v_and_b32_e32 v4, 1, v34
	v_lshl_add_u64 v[6:7], v[4:5], 0, -1
	v_cmp_ne_u32_e64 s[24:25], 0, v4
	; wave barrier
	s_nop 1
	v_xor_b32_e32 v6, s24, v6
	v_xor_b32_e32 v4, s25, v7
	v_and_b32_e32 v35, exec_lo, v6
	v_lshlrev_b32_e32 v7, 30, v34
	v_mov_b32_e32 v6, v5
	v_cmp_gt_i64_e64 s[24:25], 0, v[6:7]
	v_not_b32_e32 v6, v7
	v_ashrrev_i32_e32 v6, 31, v6
	v_and_b32_e32 v4, exec_hi, v4
	v_xor_b32_e32 v7, s25, v6
	v_xor_b32_e32 v6, s24, v6
	v_and_b32_e32 v4, v4, v7
	v_and_b32_e32 v35, v35, v6
	v_lshlrev_b32_e32 v7, 29, v34
	v_mov_b32_e32 v6, v5
	v_cmp_gt_i64_e64 s[24:25], 0, v[6:7]
	v_not_b32_e32 v6, v7
	v_ashrrev_i32_e32 v6, 31, v6
	v_xor_b32_e32 v7, s25, v6
	v_xor_b32_e32 v6, s24, v6
	v_and_b32_e32 v4, v4, v7
	v_and_b32_e32 v35, v35, v6
	v_lshlrev_b32_e32 v7, 28, v34
	v_mov_b32_e32 v6, v5
	v_cmp_gt_i64_e64 s[24:25], 0, v[6:7]
	v_not_b32_e32 v6, v7
	v_ashrrev_i32_e32 v6, 31, v6
	;; [unrolled: 9-line block ×5, first 2 shown]
	v_xor_b32_e32 v7, s25, v6
	v_xor_b32_e32 v6, s24, v6
	v_and_b32_e32 v4, v4, v7
	v_lshlrev_b32_e32 v7, 24, v34
	v_and_b32_e32 v35, v35, v6
	v_mov_b32_e32 v6, v5
	v_not_b32_e32 v5, v7
	v_cmp_gt_i64_e64 s[24:25], 0, v[6:7]
	v_ashrrev_i32_e32 v5, 31, v5
	ds_read_b32 v31, v33 offset:16
	v_xor_b32_e32 v6, s25, v5
	v_xor_b32_e32 v7, s24, v5
	v_and_b32_e32 v5, v4, v6
	v_and_b32_e32 v4, v35, v7
	v_mbcnt_lo_u32_b32 v6, v4, 0
	v_mbcnt_hi_u32_b32 v34, v5, v6
	v_cmp_eq_u32_e64 s[24:25], 0, v34
	v_cmp_ne_u64_e64 s[26:27], 0, v[4:5]
	s_and_b64 s[26:27], s[26:27], s[24:25]
	; wave barrier
	s_and_saveexec_b64 s[24:25], s[26:27]
	s_cbranch_execz .LBB86_33
; %bb.32:
	v_bcnt_u32_b32 v4, v4, 0
	v_bcnt_u32_b32 v4, v5, v4
	s_waitcnt lgkmcnt(0)
	v_add_u32_e32 v4, v31, v4
	ds_write_b32 v33, v4 offset:16
.LBB86_33:
	s_or_b64 exec, exec, s[24:25]
	v_lshrrev_b32_e32 v4, s64, v13
	v_and_b32_e32 v37, s72, v4
	v_mul_lo_u32 v4, v37, 20
	v_lshl_add_u32 v36, v32, 2, v4
	v_and_b32_e32 v4, 1, v37
	v_mov_b32_e32 v5, 0
	v_lshl_add_u64 v[6:7], v[4:5], 0, -1
	v_cmp_ne_u32_e64 s[24:25], 0, v4
	; wave barrier
	s_nop 1
	v_xor_b32_e32 v6, s24, v6
	v_xor_b32_e32 v4, s25, v7
	v_and_b32_e32 v38, exec_lo, v6
	v_lshlrev_b32_e32 v7, 30, v37
	v_mov_b32_e32 v6, v5
	v_cmp_gt_i64_e64 s[24:25], 0, v[6:7]
	v_not_b32_e32 v6, v7
	v_ashrrev_i32_e32 v6, 31, v6
	v_and_b32_e32 v4, exec_hi, v4
	v_xor_b32_e32 v7, s25, v6
	v_xor_b32_e32 v6, s24, v6
	v_and_b32_e32 v4, v4, v7
	v_and_b32_e32 v38, v38, v6
	v_lshlrev_b32_e32 v7, 29, v37
	v_mov_b32_e32 v6, v5
	v_cmp_gt_i64_e64 s[24:25], 0, v[6:7]
	v_not_b32_e32 v6, v7
	v_ashrrev_i32_e32 v6, 31, v6
	v_xor_b32_e32 v7, s25, v6
	v_xor_b32_e32 v6, s24, v6
	v_and_b32_e32 v4, v4, v7
	v_and_b32_e32 v38, v38, v6
	v_lshlrev_b32_e32 v7, 28, v37
	v_mov_b32_e32 v6, v5
	v_cmp_gt_i64_e64 s[24:25], 0, v[6:7]
	v_not_b32_e32 v6, v7
	v_ashrrev_i32_e32 v6, 31, v6
	v_xor_b32_e32 v7, s25, v6
	v_xor_b32_e32 v6, s24, v6
	v_and_b32_e32 v4, v4, v7
	v_and_b32_e32 v38, v38, v6
	v_lshlrev_b32_e32 v7, 27, v37
	v_mov_b32_e32 v6, v5
	v_cmp_gt_i64_e64 s[24:25], 0, v[6:7]
	v_not_b32_e32 v6, v7
	v_ashrrev_i32_e32 v6, 31, v6
	v_xor_b32_e32 v7, s25, v6
	v_xor_b32_e32 v6, s24, v6
	v_and_b32_e32 v4, v4, v7
	v_and_b32_e32 v38, v38, v6
	v_lshlrev_b32_e32 v7, 26, v37
	v_mov_b32_e32 v6, v5
	v_cmp_gt_i64_e64 s[24:25], 0, v[6:7]
	v_not_b32_e32 v6, v7
	v_ashrrev_i32_e32 v6, 31, v6
	v_xor_b32_e32 v7, s25, v6
	v_xor_b32_e32 v6, s24, v6
	v_and_b32_e32 v4, v4, v7
	v_and_b32_e32 v38, v38, v6
	v_lshlrev_b32_e32 v7, 25, v37
	v_mov_b32_e32 v6, v5
	v_cmp_gt_i64_e64 s[24:25], 0, v[6:7]
	v_not_b32_e32 v6, v7
	v_ashrrev_i32_e32 v6, 31, v6
	v_xor_b32_e32 v7, s25, v6
	v_xor_b32_e32 v6, s24, v6
	v_and_b32_e32 v4, v4, v7
	v_and_b32_e32 v38, v38, v6
	v_lshlrev_b32_e32 v7, 24, v37
	v_mov_b32_e32 v6, v5
	v_cmp_gt_i64_e64 s[24:25], 0, v[6:7]
	v_not_b32_e32 v6, v7
	v_ashrrev_i32_e32 v6, 31, v6
	v_xor_b32_e32 v7, s25, v6
	v_xor_b32_e32 v6, s24, v6
	ds_read_b32 v35, v36 offset:16
	v_and_b32_e32 v6, v38, v6
	v_and_b32_e32 v7, v4, v7
	v_mbcnt_lo_u32_b32 v4, v6, 0
	v_mbcnt_hi_u32_b32 v37, v7, v4
	v_cmp_eq_u32_e64 s[24:25], 0, v37
	v_cmp_ne_u64_e64 s[26:27], 0, v[6:7]
	s_and_b64 s[26:27], s[26:27], s[24:25]
	; wave barrier
	s_and_saveexec_b64 s[24:25], s[26:27]
	s_cbranch_execz .LBB86_35
; %bb.34:
	v_bcnt_u32_b32 v4, v6, 0
	v_bcnt_u32_b32 v4, v7, v4
	s_waitcnt lgkmcnt(0)
	v_add_u32_e32 v4, v35, v4
	ds_write_b32 v36, v4 offset:16
.LBB86_35:
	s_or_b64 exec, exec, s[24:25]
	v_lshrrev_b32_e32 v4, s64, v12
	v_and_b32_e32 v40, s72, v4
	v_mul_lo_u32 v4, v40, 20
	v_lshl_add_u32 v39, v32, 2, v4
	v_and_b32_e32 v4, 1, v40
	v_lshl_add_u64 v[6:7], v[4:5], 0, -1
	v_cmp_ne_u32_e64 s[24:25], 0, v4
	; wave barrier
	s_nop 1
	v_xor_b32_e32 v6, s24, v6
	v_xor_b32_e32 v4, s25, v7
	v_and_b32_e32 v41, exec_lo, v6
	v_lshlrev_b32_e32 v7, 30, v40
	v_mov_b32_e32 v6, v5
	v_cmp_gt_i64_e64 s[24:25], 0, v[6:7]
	v_not_b32_e32 v6, v7
	v_ashrrev_i32_e32 v6, 31, v6
	v_and_b32_e32 v4, exec_hi, v4
	v_xor_b32_e32 v7, s25, v6
	v_xor_b32_e32 v6, s24, v6
	v_and_b32_e32 v4, v4, v7
	v_and_b32_e32 v41, v41, v6
	v_lshlrev_b32_e32 v7, 29, v40
	v_mov_b32_e32 v6, v5
	v_cmp_gt_i64_e64 s[24:25], 0, v[6:7]
	v_not_b32_e32 v6, v7
	v_ashrrev_i32_e32 v6, 31, v6
	v_xor_b32_e32 v7, s25, v6
	v_xor_b32_e32 v6, s24, v6
	v_and_b32_e32 v4, v4, v7
	v_and_b32_e32 v41, v41, v6
	v_lshlrev_b32_e32 v7, 28, v40
	v_mov_b32_e32 v6, v5
	v_cmp_gt_i64_e64 s[24:25], 0, v[6:7]
	v_not_b32_e32 v6, v7
	v_ashrrev_i32_e32 v6, 31, v6
	;; [unrolled: 9-line block ×5, first 2 shown]
	v_xor_b32_e32 v7, s25, v6
	v_xor_b32_e32 v6, s24, v6
	v_and_b32_e32 v4, v4, v7
	v_lshlrev_b32_e32 v7, 24, v40
	v_and_b32_e32 v41, v41, v6
	v_mov_b32_e32 v6, v5
	v_not_b32_e32 v5, v7
	v_cmp_gt_i64_e64 s[24:25], 0, v[6:7]
	v_ashrrev_i32_e32 v5, 31, v5
	ds_read_b32 v38, v39 offset:16
	v_xor_b32_e32 v6, s25, v5
	v_xor_b32_e32 v7, s24, v5
	v_and_b32_e32 v5, v4, v6
	v_and_b32_e32 v4, v41, v7
	v_mbcnt_lo_u32_b32 v6, v4, 0
	v_mbcnt_hi_u32_b32 v40, v5, v6
	v_cmp_eq_u32_e64 s[24:25], 0, v40
	v_cmp_ne_u64_e64 s[26:27], 0, v[4:5]
	s_and_b64 s[26:27], s[26:27], s[24:25]
	; wave barrier
	s_and_saveexec_b64 s[24:25], s[26:27]
	s_cbranch_execz .LBB86_37
; %bb.36:
	v_bcnt_u32_b32 v4, v4, 0
	v_bcnt_u32_b32 v4, v5, v4
	s_waitcnt lgkmcnt(0)
	v_add_u32_e32 v4, v38, v4
	ds_write_b32 v39, v4 offset:16
.LBB86_37:
	s_or_b64 exec, exec, s[24:25]
	v_lshrrev_b32_e32 v4, s64, v16
	v_and_b32_e32 v43, s72, v4
	v_mul_lo_u32 v4, v43, 20
	v_lshl_add_u32 v42, v32, 2, v4
	v_and_b32_e32 v4, 1, v43
	v_mov_b32_e32 v5, 0
	v_lshl_add_u64 v[6:7], v[4:5], 0, -1
	v_cmp_ne_u32_e64 s[24:25], 0, v4
	; wave barrier
	s_nop 1
	v_xor_b32_e32 v6, s24, v6
	v_xor_b32_e32 v4, s25, v7
	v_and_b32_e32 v44, exec_lo, v6
	v_lshlrev_b32_e32 v7, 30, v43
	v_mov_b32_e32 v6, v5
	v_cmp_gt_i64_e64 s[24:25], 0, v[6:7]
	v_not_b32_e32 v6, v7
	v_ashrrev_i32_e32 v6, 31, v6
	v_and_b32_e32 v4, exec_hi, v4
	v_xor_b32_e32 v7, s25, v6
	v_xor_b32_e32 v6, s24, v6
	v_and_b32_e32 v4, v4, v7
	v_and_b32_e32 v44, v44, v6
	v_lshlrev_b32_e32 v7, 29, v43
	v_mov_b32_e32 v6, v5
	v_cmp_gt_i64_e64 s[24:25], 0, v[6:7]
	v_not_b32_e32 v6, v7
	v_ashrrev_i32_e32 v6, 31, v6
	v_xor_b32_e32 v7, s25, v6
	v_xor_b32_e32 v6, s24, v6
	v_and_b32_e32 v4, v4, v7
	v_and_b32_e32 v44, v44, v6
	v_lshlrev_b32_e32 v7, 28, v43
	v_mov_b32_e32 v6, v5
	v_cmp_gt_i64_e64 s[24:25], 0, v[6:7]
	v_not_b32_e32 v6, v7
	v_ashrrev_i32_e32 v6, 31, v6
	;; [unrolled: 9-line block ×6, first 2 shown]
	v_xor_b32_e32 v7, s25, v6
	v_xor_b32_e32 v6, s24, v6
	ds_read_b32 v41, v42 offset:16
	v_and_b32_e32 v6, v44, v6
	v_and_b32_e32 v7, v4, v7
	v_mbcnt_lo_u32_b32 v4, v6, 0
	v_mbcnt_hi_u32_b32 v43, v7, v4
	v_cmp_eq_u32_e64 s[24:25], 0, v43
	v_cmp_ne_u64_e64 s[26:27], 0, v[6:7]
	s_and_b64 s[26:27], s[26:27], s[24:25]
	; wave barrier
	s_and_saveexec_b64 s[24:25], s[26:27]
	s_cbranch_execz .LBB86_39
; %bb.38:
	v_bcnt_u32_b32 v4, v6, 0
	v_bcnt_u32_b32 v4, v7, v4
	s_waitcnt lgkmcnt(0)
	v_add_u32_e32 v4, v41, v4
	ds_write_b32 v42, v4 offset:16
.LBB86_39:
	s_or_b64 exec, exec, s[24:25]
	v_lshrrev_b32_e32 v4, s64, v15
	v_and_b32_e32 v46, s72, v4
	v_mul_lo_u32 v4, v46, 20
	v_lshl_add_u32 v45, v32, 2, v4
	v_and_b32_e32 v4, 1, v46
	v_lshl_add_u64 v[6:7], v[4:5], 0, -1
	v_cmp_ne_u32_e64 s[24:25], 0, v4
	; wave barrier
	s_nop 1
	v_xor_b32_e32 v6, s24, v6
	v_xor_b32_e32 v4, s25, v7
	v_and_b32_e32 v47, exec_lo, v6
	v_lshlrev_b32_e32 v7, 30, v46
	v_mov_b32_e32 v6, v5
	v_cmp_gt_i64_e64 s[24:25], 0, v[6:7]
	v_not_b32_e32 v6, v7
	v_ashrrev_i32_e32 v6, 31, v6
	v_and_b32_e32 v4, exec_hi, v4
	v_xor_b32_e32 v7, s25, v6
	v_xor_b32_e32 v6, s24, v6
	v_and_b32_e32 v4, v4, v7
	v_and_b32_e32 v47, v47, v6
	v_lshlrev_b32_e32 v7, 29, v46
	v_mov_b32_e32 v6, v5
	v_cmp_gt_i64_e64 s[24:25], 0, v[6:7]
	v_not_b32_e32 v6, v7
	v_ashrrev_i32_e32 v6, 31, v6
	v_xor_b32_e32 v7, s25, v6
	v_xor_b32_e32 v6, s24, v6
	v_and_b32_e32 v4, v4, v7
	v_and_b32_e32 v47, v47, v6
	v_lshlrev_b32_e32 v7, 28, v46
	v_mov_b32_e32 v6, v5
	v_cmp_gt_i64_e64 s[24:25], 0, v[6:7]
	v_not_b32_e32 v6, v7
	v_ashrrev_i32_e32 v6, 31, v6
	;; [unrolled: 9-line block ×5, first 2 shown]
	v_xor_b32_e32 v7, s25, v6
	v_xor_b32_e32 v6, s24, v6
	v_and_b32_e32 v4, v4, v7
	v_lshlrev_b32_e32 v7, 24, v46
	v_and_b32_e32 v47, v47, v6
	v_mov_b32_e32 v6, v5
	v_not_b32_e32 v5, v7
	v_cmp_gt_i64_e64 s[24:25], 0, v[6:7]
	v_ashrrev_i32_e32 v5, 31, v5
	ds_read_b32 v44, v45 offset:16
	v_xor_b32_e32 v6, s25, v5
	v_xor_b32_e32 v7, s24, v5
	v_and_b32_e32 v5, v4, v6
	v_and_b32_e32 v4, v47, v7
	v_mbcnt_lo_u32_b32 v6, v4, 0
	v_mbcnt_hi_u32_b32 v46, v5, v6
	v_cmp_eq_u32_e64 s[24:25], 0, v46
	v_cmp_ne_u64_e64 s[26:27], 0, v[4:5]
	s_and_b64 s[26:27], s[26:27], s[24:25]
	; wave barrier
	s_and_saveexec_b64 s[24:25], s[26:27]
	s_cbranch_execz .LBB86_41
; %bb.40:
	v_bcnt_u32_b32 v4, v4, 0
	v_bcnt_u32_b32 v4, v5, v4
	s_waitcnt lgkmcnt(0)
	v_add_u32_e32 v4, v44, v4
	ds_write_b32 v45, v4 offset:16
.LBB86_41:
	s_or_b64 exec, exec, s[24:25]
	v_lshrrev_b32_e32 v4, s64, v18
	v_and_b32_e32 v49, s72, v4
	v_mul_lo_u32 v4, v49, 20
	v_lshl_add_u32 v48, v32, 2, v4
	v_and_b32_e32 v4, 1, v49
	v_mov_b32_e32 v5, 0
	v_lshl_add_u64 v[6:7], v[4:5], 0, -1
	v_cmp_ne_u32_e64 s[24:25], 0, v4
	; wave barrier
	s_nop 1
	v_xor_b32_e32 v6, s24, v6
	v_xor_b32_e32 v4, s25, v7
	v_and_b32_e32 v50, exec_lo, v6
	v_lshlrev_b32_e32 v7, 30, v49
	v_mov_b32_e32 v6, v5
	v_cmp_gt_i64_e64 s[24:25], 0, v[6:7]
	v_not_b32_e32 v6, v7
	v_ashrrev_i32_e32 v6, 31, v6
	v_and_b32_e32 v4, exec_hi, v4
	v_xor_b32_e32 v7, s25, v6
	v_xor_b32_e32 v6, s24, v6
	v_and_b32_e32 v4, v4, v7
	v_and_b32_e32 v50, v50, v6
	v_lshlrev_b32_e32 v7, 29, v49
	v_mov_b32_e32 v6, v5
	v_cmp_gt_i64_e64 s[24:25], 0, v[6:7]
	v_not_b32_e32 v6, v7
	v_ashrrev_i32_e32 v6, 31, v6
	v_xor_b32_e32 v7, s25, v6
	v_xor_b32_e32 v6, s24, v6
	v_and_b32_e32 v4, v4, v7
	v_and_b32_e32 v50, v50, v6
	v_lshlrev_b32_e32 v7, 28, v49
	v_mov_b32_e32 v6, v5
	v_cmp_gt_i64_e64 s[24:25], 0, v[6:7]
	v_not_b32_e32 v6, v7
	v_ashrrev_i32_e32 v6, 31, v6
	;; [unrolled: 9-line block ×6, first 2 shown]
	v_xor_b32_e32 v7, s25, v6
	v_xor_b32_e32 v6, s24, v6
	ds_read_b32 v47, v48 offset:16
	v_and_b32_e32 v6, v50, v6
	v_and_b32_e32 v7, v4, v7
	v_mbcnt_lo_u32_b32 v4, v6, 0
	v_mbcnt_hi_u32_b32 v49, v7, v4
	v_cmp_eq_u32_e64 s[24:25], 0, v49
	v_cmp_ne_u64_e64 s[26:27], 0, v[6:7]
	s_and_b64 s[26:27], s[26:27], s[24:25]
	; wave barrier
	s_and_saveexec_b64 s[24:25], s[26:27]
	s_cbranch_execz .LBB86_43
; %bb.42:
	v_bcnt_u32_b32 v4, v6, 0
	v_bcnt_u32_b32 v4, v7, v4
	s_waitcnt lgkmcnt(0)
	v_add_u32_e32 v4, v47, v4
	ds_write_b32 v48, v4 offset:16
.LBB86_43:
	s_or_b64 exec, exec, s[24:25]
	v_lshrrev_b32_e32 v4, s64, v17
	v_and_b32_e32 v52, s72, v4
	v_mul_lo_u32 v4, v52, 20
	v_lshl_add_u32 v51, v32, 2, v4
	v_and_b32_e32 v4, 1, v52
	v_lshl_add_u64 v[6:7], v[4:5], 0, -1
	v_cmp_ne_u32_e64 s[24:25], 0, v4
	; wave barrier
	s_nop 1
	v_xor_b32_e32 v6, s24, v6
	v_xor_b32_e32 v4, s25, v7
	v_and_b32_e32 v53, exec_lo, v6
	v_lshlrev_b32_e32 v7, 30, v52
	v_mov_b32_e32 v6, v5
	v_cmp_gt_i64_e64 s[24:25], 0, v[6:7]
	v_not_b32_e32 v6, v7
	v_ashrrev_i32_e32 v6, 31, v6
	v_and_b32_e32 v4, exec_hi, v4
	v_xor_b32_e32 v7, s25, v6
	v_xor_b32_e32 v6, s24, v6
	v_and_b32_e32 v4, v4, v7
	v_and_b32_e32 v53, v53, v6
	v_lshlrev_b32_e32 v7, 29, v52
	v_mov_b32_e32 v6, v5
	v_cmp_gt_i64_e64 s[24:25], 0, v[6:7]
	v_not_b32_e32 v6, v7
	v_ashrrev_i32_e32 v6, 31, v6
	v_xor_b32_e32 v7, s25, v6
	v_xor_b32_e32 v6, s24, v6
	v_and_b32_e32 v4, v4, v7
	v_and_b32_e32 v53, v53, v6
	v_lshlrev_b32_e32 v7, 28, v52
	v_mov_b32_e32 v6, v5
	v_cmp_gt_i64_e64 s[24:25], 0, v[6:7]
	v_not_b32_e32 v6, v7
	v_ashrrev_i32_e32 v6, 31, v6
	;; [unrolled: 9-line block ×5, first 2 shown]
	v_xor_b32_e32 v7, s25, v6
	v_xor_b32_e32 v6, s24, v6
	v_and_b32_e32 v4, v4, v7
	v_lshlrev_b32_e32 v7, 24, v52
	v_and_b32_e32 v53, v53, v6
	v_mov_b32_e32 v6, v5
	v_not_b32_e32 v5, v7
	v_cmp_gt_i64_e64 s[24:25], 0, v[6:7]
	v_ashrrev_i32_e32 v5, 31, v5
	ds_read_b32 v50, v51 offset:16
	v_xor_b32_e32 v6, s25, v5
	v_xor_b32_e32 v7, s24, v5
	v_and_b32_e32 v5, v4, v6
	v_and_b32_e32 v4, v53, v7
	v_mbcnt_lo_u32_b32 v6, v4, 0
	v_mbcnt_hi_u32_b32 v52, v5, v6
	v_cmp_eq_u32_e64 s[24:25], 0, v52
	v_cmp_ne_u64_e64 s[26:27], 0, v[4:5]
	s_and_b64 s[26:27], s[26:27], s[24:25]
	; wave barrier
	s_and_saveexec_b64 s[24:25], s[26:27]
	s_cbranch_execz .LBB86_45
; %bb.44:
	v_bcnt_u32_b32 v4, v4, 0
	v_bcnt_u32_b32 v4, v5, v4
	s_waitcnt lgkmcnt(0)
	v_add_u32_e32 v4, v50, v4
	ds_write_b32 v51, v4 offset:16
.LBB86_45:
	s_or_b64 exec, exec, s[24:25]
	v_lshrrev_b32_e32 v4, s64, v21
	v_and_b32_e32 v55, s72, v4
	v_mul_lo_u32 v4, v55, 20
	v_lshl_add_u32 v54, v32, 2, v4
	v_and_b32_e32 v4, 1, v55
	v_mov_b32_e32 v5, 0
	v_lshl_add_u64 v[6:7], v[4:5], 0, -1
	v_cmp_ne_u32_e64 s[24:25], 0, v4
	; wave barrier
	s_nop 1
	v_xor_b32_e32 v6, s24, v6
	v_xor_b32_e32 v4, s25, v7
	v_and_b32_e32 v56, exec_lo, v6
	v_lshlrev_b32_e32 v7, 30, v55
	v_mov_b32_e32 v6, v5
	v_cmp_gt_i64_e64 s[24:25], 0, v[6:7]
	v_not_b32_e32 v6, v7
	v_ashrrev_i32_e32 v6, 31, v6
	v_and_b32_e32 v4, exec_hi, v4
	v_xor_b32_e32 v7, s25, v6
	v_xor_b32_e32 v6, s24, v6
	v_and_b32_e32 v4, v4, v7
	v_and_b32_e32 v56, v56, v6
	v_lshlrev_b32_e32 v7, 29, v55
	v_mov_b32_e32 v6, v5
	v_cmp_gt_i64_e64 s[24:25], 0, v[6:7]
	v_not_b32_e32 v6, v7
	v_ashrrev_i32_e32 v6, 31, v6
	v_xor_b32_e32 v7, s25, v6
	v_xor_b32_e32 v6, s24, v6
	v_and_b32_e32 v4, v4, v7
	v_and_b32_e32 v56, v56, v6
	v_lshlrev_b32_e32 v7, 28, v55
	v_mov_b32_e32 v6, v5
	v_cmp_gt_i64_e64 s[24:25], 0, v[6:7]
	v_not_b32_e32 v6, v7
	v_ashrrev_i32_e32 v6, 31, v6
	;; [unrolled: 9-line block ×6, first 2 shown]
	v_xor_b32_e32 v7, s25, v6
	v_xor_b32_e32 v6, s24, v6
	ds_read_b32 v53, v54 offset:16
	v_and_b32_e32 v6, v56, v6
	v_and_b32_e32 v7, v4, v7
	v_mbcnt_lo_u32_b32 v4, v6, 0
	v_mbcnt_hi_u32_b32 v55, v7, v4
	v_cmp_eq_u32_e64 s[24:25], 0, v55
	v_cmp_ne_u64_e64 s[26:27], 0, v[6:7]
	s_and_b64 s[26:27], s[26:27], s[24:25]
	; wave barrier
	s_and_saveexec_b64 s[24:25], s[26:27]
	s_cbranch_execz .LBB86_47
; %bb.46:
	v_bcnt_u32_b32 v4, v6, 0
	v_bcnt_u32_b32 v4, v7, v4
	s_waitcnt lgkmcnt(0)
	v_add_u32_e32 v4, v53, v4
	ds_write_b32 v54, v4 offset:16
.LBB86_47:
	s_or_b64 exec, exec, s[24:25]
	v_lshrrev_b32_e32 v4, s64, v20
	v_and_b32_e32 v57, s72, v4
	v_mul_lo_u32 v4, v57, 20
	v_lshl_add_u32 v32, v32, 2, v4
	v_and_b32_e32 v4, 1, v57
	v_lshl_add_u64 v[6:7], v[4:5], 0, -1
	v_cmp_ne_u32_e64 s[24:25], 0, v4
	; wave barrier
	s_nop 1
	v_xor_b32_e32 v6, s24, v6
	v_xor_b32_e32 v4, s25, v7
	v_and_b32_e32 v58, exec_lo, v6
	v_lshlrev_b32_e32 v7, 30, v57
	v_mov_b32_e32 v6, v5
	v_cmp_gt_i64_e64 s[24:25], 0, v[6:7]
	v_not_b32_e32 v6, v7
	v_ashrrev_i32_e32 v6, 31, v6
	v_and_b32_e32 v4, exec_hi, v4
	v_xor_b32_e32 v7, s25, v6
	v_xor_b32_e32 v6, s24, v6
	v_and_b32_e32 v4, v4, v7
	v_and_b32_e32 v58, v58, v6
	v_lshlrev_b32_e32 v7, 29, v57
	v_mov_b32_e32 v6, v5
	v_cmp_gt_i64_e64 s[24:25], 0, v[6:7]
	v_not_b32_e32 v6, v7
	v_ashrrev_i32_e32 v6, 31, v6
	v_xor_b32_e32 v7, s25, v6
	v_xor_b32_e32 v6, s24, v6
	v_and_b32_e32 v4, v4, v7
	v_and_b32_e32 v58, v58, v6
	v_lshlrev_b32_e32 v7, 28, v57
	v_mov_b32_e32 v6, v5
	v_cmp_gt_i64_e64 s[24:25], 0, v[6:7]
	v_not_b32_e32 v6, v7
	v_ashrrev_i32_e32 v6, 31, v6
	;; [unrolled: 9-line block ×5, first 2 shown]
	v_xor_b32_e32 v7, s25, v6
	v_xor_b32_e32 v6, s24, v6
	v_and_b32_e32 v4, v4, v7
	v_lshlrev_b32_e32 v7, 24, v57
	v_and_b32_e32 v58, v58, v6
	v_mov_b32_e32 v6, v5
	v_not_b32_e32 v5, v7
	v_cmp_gt_i64_e64 s[24:25], 0, v[6:7]
	v_ashrrev_i32_e32 v5, 31, v5
	ds_read_b32 v56, v32 offset:16
	v_xor_b32_e32 v6, s25, v5
	v_xor_b32_e32 v7, s24, v5
	v_and_b32_e32 v5, v4, v6
	v_and_b32_e32 v4, v58, v7
	v_mbcnt_lo_u32_b32 v6, v4, 0
	v_mbcnt_hi_u32_b32 v57, v5, v6
	v_cmp_eq_u32_e64 s[24:25], 0, v57
	v_cmp_ne_u64_e64 s[26:27], 0, v[4:5]
	s_and_b64 s[26:27], s[26:27], s[24:25]
	; wave barrier
	s_and_saveexec_b64 s[24:25], s[26:27]
	s_cbranch_execz .LBB86_49
; %bb.48:
	v_bcnt_u32_b32 v4, v4, 0
	v_bcnt_u32_b32 v4, v5, v4
	s_waitcnt lgkmcnt(0)
	v_add_u32_e32 v4, v56, v4
	ds_write_b32 v32, v4 offset:16
.LBB86_49:
	s_or_b64 exec, exec, s[24:25]
	; wave barrier
	s_waitcnt lgkmcnt(0)
	s_barrier
	ds_read2_b32 v[6:7], v22 offset0:4 offset1:5
	ds_read2_b32 v[4:5], v22 offset0:6 offset1:7
	ds_read_b32 v58, v22 offset:32
	v_min_u32_e32 v19, 0xc0, v19
	v_or_b32_e32 v19, 63, v19
	s_waitcnt lgkmcnt(1)
	v_add3_u32 v59, v7, v6, v4
	s_waitcnt lgkmcnt(0)
	v_add3_u32 v58, v59, v5, v58
	v_and_b32_e32 v59, 15, v14
	v_cmp_ne_u32_e64 s[24:25], 0, v59
	v_mov_b32_dpp v60, v58 row_shr:1 row_mask:0xf bank_mask:0xf
	s_nop 0
	v_cndmask_b32_e64 v60, 0, v60, s[24:25]
	v_add_u32_e32 v58, v60, v58
	v_cmp_lt_u32_e64 s[24:25], 1, v59
	s_nop 0
	v_mov_b32_dpp v60, v58 row_shr:2 row_mask:0xf bank_mask:0xf
	v_cndmask_b32_e64 v60, 0, v60, s[24:25]
	v_add_u32_e32 v58, v58, v60
	v_cmp_lt_u32_e64 s[24:25], 3, v59
	s_nop 0
	v_mov_b32_dpp v60, v58 row_shr:4 row_mask:0xf bank_mask:0xf
	;; [unrolled: 5-line block ×3, first 2 shown]
	v_cndmask_b32_e64 v59, 0, v60, s[24:25]
	v_add_u32_e32 v58, v58, v59
	v_bfe_i32 v60, v14, 4, 1
	v_cmp_lt_u32_e64 s[24:25], 31, v14
	v_mov_b32_dpp v59, v58 row_bcast:15 row_mask:0xf bank_mask:0xf
	v_and_b32_e32 v59, v60, v59
	v_add_u32_e32 v58, v58, v59
	s_nop 1
	v_mov_b32_dpp v59, v58 row_bcast:31 row_mask:0xf bank_mask:0xf
	v_cndmask_b32_e64 v59, 0, v59, s[24:25]
	v_add_u32_e32 v58, v58, v59
	v_lshrrev_b32_e32 v59, 6, v2
	v_cmp_eq_u32_e64 s[24:25], v2, v19
	s_and_saveexec_b64 s[26:27], s[24:25]
; %bb.50:
	v_lshlrev_b32_e32 v19, 2, v59
	ds_write_b32 v19, v58
; %bb.51:
	s_or_b64 exec, exec, s[26:27]
	v_cmp_gt_u32_e64 s[24:25], 4, v2
	s_waitcnt lgkmcnt(0)
	s_barrier
	s_and_saveexec_b64 s[26:27], s[24:25]
	s_cbranch_execz .LBB86_53
; %bb.52:
	v_lshlrev_b32_e32 v19, 2, v2
	ds_read_b32 v60, v19
	v_and_b32_e32 v61, 3, v14
	v_cmp_ne_u32_e64 s[24:25], 0, v61
	s_waitcnt lgkmcnt(0)
	v_mov_b32_dpp v62, v60 row_shr:1 row_mask:0xf bank_mask:0xf
	v_cndmask_b32_e64 v62, 0, v62, s[24:25]
	v_add_u32_e32 v60, v62, v60
	v_cmp_lt_u32_e64 s[24:25], 1, v61
	s_nop 0
	v_mov_b32_dpp v62, v60 row_shr:2 row_mask:0xf bank_mask:0xf
	v_cndmask_b32_e64 v61, 0, v62, s[24:25]
	v_add_u32_e32 v60, v60, v61
	ds_write_b32 v19, v60
.LBB86_53:
	s_or_b64 exec, exec, s[26:27]
	v_cmp_lt_u32_e64 s[24:25], 63, v2
	v_mov_b32_e32 v19, 0
	s_waitcnt lgkmcnt(0)
	s_barrier
	s_and_saveexec_b64 s[26:27], s[24:25]
; %bb.54:
	v_lshl_add_u32 v19, v59, 2, -4
	ds_read_b32 v19, v19
; %bb.55:
	s_or_b64 exec, exec, s[26:27]
	v_add_u32_e32 v59, -1, v14
	v_and_b32_e32 v60, 64, v14
	v_cmp_lt_i32_e64 s[24:25], v59, v60
	s_waitcnt lgkmcnt(0)
	v_add_u32_e32 v58, v19, v58
	v_cndmask_b32_e64 v59, v59, v14, s[24:25]
	v_lshlrev_b32_e32 v59, 2, v59
	ds_bpermute_b32 v58, v59, v58
	v_cmp_eq_u32_e64 s[24:25], 0, v14
	s_waitcnt lgkmcnt(0)
	s_nop 0
	v_cndmask_b32_e64 v19, v58, v19, s[24:25]
	v_cmp_ne_u32_e64 s[24:25], 0, v2
	s_nop 1
	v_cndmask_b32_e64 v19, 0, v19, s[24:25]
	v_add_u32_e32 v6, v19, v6
	v_add_u32_e32 v7, v6, v7
	;; [unrolled: 1-line block ×4, first 2 shown]
	ds_write2_b32 v22, v19, v6 offset0:4 offset1:5
	ds_write2_b32 v22, v7, v4 offset0:6 offset1:7
	ds_write_b32 v22, v5 offset:32
	s_waitcnt lgkmcnt(0)
	s_barrier
	ds_read_b32 v6, v45 offset:16
	ds_read_b32 v7, v48 offset:16
	;; [unrolled: 1-line block ×13, first 2 shown]
	v_add_u32_e32 v22, 1, v2
	s_movk_i32 s24, 0x100
	v_cmp_ne_u32_e64 s[24:25], s24, v22
	v_mov_b32_e32 v5, 0xc00
	s_and_saveexec_b64 s[26:27], s[24:25]
; %bb.56:
	v_mul_u32_u24_e32 v5, 20, v22
	ds_read_b32 v5, v5 offset:16
; %bb.57:
	s_or_b64 exec, exec, s[26:27]
	s_waitcnt lgkmcnt(7)
	v_add_u32_e32 v33, v24, v23
	s_waitcnt lgkmcnt(6)
	v_add3_u32 v32, v27, v25, v26
	v_add3_u32 v24, v46, v44, v6
	v_lshlrev_b32_e32 v6, 2, v33
	s_waitcnt lgkmcnt(5)
	v_add3_u32 v29, v30, v28, v29
	s_waitcnt lgkmcnt(0)
	s_barrier
	ds_write_b32 v6, v9 offset:2048
	v_lshlrev_b32_e32 v6, 2, v32
	v_add3_u32 v28, v34, v31, v51
	ds_write_b32 v6, v8 offset:2048
	v_lshlrev_b32_e32 v6, 2, v29
	v_add3_u32 v27, v37, v35, v36
	ds_write_b32 v6, v11 offset:2048
	v_lshlrev_b32_e32 v6, 2, v28
	v_add3_u32 v26, v40, v38, v39
	ds_write_b32 v6, v10 offset:2048
	v_lshlrev_b32_e32 v6, 2, v27
	v_add3_u32 v25, v43, v41, v42
	ds_write_b32 v6, v13 offset:2048
	v_lshlrev_b32_e32 v6, 2, v26
	ds_write_b32 v6, v12 offset:2048
	v_lshlrev_b32_e32 v6, 2, v25
	v_add3_u32 v23, v49, v47, v7
	ds_write_b32 v6, v16 offset:2048
	v_lshlrev_b32_e32 v6, 2, v24
	v_add3_u32 v22, v52, v50, v19
	;; [unrolled: 3-line block ×4, first 2 shown]
	ds_write_b32 v6, v17 offset:2048
	v_lshlrev_b32_e32 v6, 2, v19
	ds_write_b32 v6, v21 offset:2048
	v_lshlrev_b32_e32 v6, 2, v7
	ds_write_b32 v6, v20 offset:2048
	v_sub_u32_e32 v6, v5, v4
	v_lshl_add_u32 v8, s2, 8, v2
	v_mov_b32_e32 v9, 0
	v_lshl_add_u64 v[10:11], v[8:9], 2, s[70:71]
	v_or_b32_e32 v5, 2.0, v6
	s_mov_b64 s[26:27], 0
	s_brev_b32 s34, -4
	s_mov_b32 s35, s3
	v_mov_b32_e32 v15, 0
	s_waitcnt lgkmcnt(0)
	s_barrier
	global_store_dword v[10:11], v5, off sc1
                                        ; implicit-def: $sgpr24_sgpr25
	s_branch .LBB86_60
.LBB86_58:                              ;   in Loop: Header=BB86_60 Depth=1
	s_or_b64 exec, exec, s[30:31]
.LBB86_59:                              ;   in Loop: Header=BB86_60 Depth=1
	s_or_b64 exec, exec, s[28:29]
	v_and_b32_e32 v8, 0x3fffffff, v5
	v_add_u32_e32 v15, v8, v15
	v_cmp_gt_i32_e64 s[24:25], -2.0, v5
	s_and_b64 s[28:29], exec, s[24:25]
	s_or_b64 s[26:27], s[28:29], s[26:27]
	s_andn2_b64 exec, exec, s[26:27]
	s_cbranch_execz .LBB86_65
.LBB86_60:                              ; =>This Loop Header: Depth=1
                                        ;     Child Loop BB86_63 Depth 2
	s_or_b64 s[24:25], s[24:25], exec
	s_cmp_eq_u32 s35, 0
	s_cbranch_scc1 .LBB86_64
; %bb.61:                               ;   in Loop: Header=BB86_60 Depth=1
	s_add_i32 s35, s35, -1
	v_lshl_add_u32 v8, s35, 8, v2
	v_lshl_add_u64 v[12:13], v[8:9], 2, s[70:71]
	global_load_dword v5, v[12:13], off sc1
	s_waitcnt vmcnt(0)
	v_cmp_gt_u32_e64 s[24:25], 2.0, v5
	s_and_saveexec_b64 s[28:29], s[24:25]
	s_cbranch_execz .LBB86_59
; %bb.62:                               ;   in Loop: Header=BB86_60 Depth=1
	s_mov_b64 s[30:31], 0
.LBB86_63:                              ;   Parent Loop BB86_60 Depth=1
                                        ; =>  This Inner Loop Header: Depth=2
	global_load_dword v5, v[12:13], off sc1
	s_waitcnt vmcnt(0)
	v_cmp_lt_u32_e64 s[24:25], s34, v5
	s_or_b64 s[30:31], s[24:25], s[30:31]
	s_andn2_b64 exec, exec, s[30:31]
	s_cbranch_execnz .LBB86_63
	s_branch .LBB86_58
.LBB86_64:                              ;   in Loop: Header=BB86_60 Depth=1
                                        ; implicit-def: $sgpr35
	s_and_b64 s[28:29], exec, s[24:25]
	s_or_b64 s[26:27], s[28:29], s[26:27]
	s_andn2_b64 exec, exec, s[26:27]
	s_cbranch_execnz .LBB86_60
.LBB86_65:
	s_or_b64 exec, exec, s[26:27]
	v_add_u32_e32 v5, v15, v6
	v_or_b32_e32 v5, 0x80000000, v5
	v_lshlrev_b32_e32 v8, 3, v2
	global_store_dword v[10:11], v5, off sc1
	global_load_dwordx2 v[10:11], v8, s[60:61]
	v_sub_co_u32_e64 v12, s[24:25], v15, v4
	v_mov_b32_e32 v5, 0
	s_nop 0
	v_subb_co_u32_e64 v13, s[24:25], 0, 0, s[24:25]
	v_cmp_gt_u32_e64 s[24:25], s66, v2
	s_waitcnt vmcnt(0)
	v_lshl_add_u64 v[10:11], v[12:13], 0, v[10:11]
	ds_write_b64 v8, v[10:11]
	s_waitcnt lgkmcnt(0)
	s_barrier
	s_and_saveexec_b64 s[26:27], s[24:25]
	s_cbranch_execz .LBB86_67
; %bb.66:
	v_lshlrev_b32_e32 v10, 2, v2
	v_sub_u32_e32 v9, v8, v10
	ds_read_b32 v9, v9 offset:2048
	s_waitcnt lgkmcnt(0)
	v_lshrrev_b32_e32 v11, s64, v9
	v_and_b32_e32 v11, s72, v11
	v_lshlrev_b32_e32 v11, 3, v11
	ds_read_b64 v[12:13], v11
	v_mov_b32_e32 v11, v5
	v_xor_b32_e32 v9, 0x7fffffff, v9
	s_waitcnt lgkmcnt(0)
	v_lshl_add_u64 v[12:13], v[12:13], 2, s[54:55]
	v_lshl_add_u64 v[10:11], v[12:13], 0, v[10:11]
	global_store_dword v[10:11], v9, off
.LBB86_67:
	s_or_b64 exec, exec, s[26:27]
	v_add_u32_e32 v9, 0x100, v2
	v_cmp_gt_u32_e64 s[26:27], s66, v9
	s_and_saveexec_b64 s[28:29], s[26:27]
	s_cbranch_execz .LBB86_69
; %bb.68:
	v_lshlrev_b32_e32 v10, 2, v2
	v_sub_u32_e32 v9, v8, v10
	ds_read_b32 v9, v9 offset:3072
	s_waitcnt lgkmcnt(0)
	v_lshrrev_b32_e32 v11, s64, v9
	v_and_b32_e32 v11, s72, v11
	v_lshlrev_b32_e32 v11, 3, v11
	ds_read_b64 v[12:13], v11
	v_mov_b32_e32 v11, 0
	v_xor_b32_e32 v9, 0x7fffffff, v9
	s_waitcnt lgkmcnt(0)
	v_lshl_add_u64 v[12:13], v[12:13], 2, s[54:55]
	v_lshl_add_u64 v[10:11], v[12:13], 0, v[10:11]
	global_store_dword v[10:11], v9, off offset:1024
.LBB86_69:
	s_or_b64 exec, exec, s[28:29]
	v_add_u32_e32 v12, 0x200, v2
	v_cmp_gt_u32_e64 s[28:29], s66, v12
	s_and_saveexec_b64 s[30:31], s[28:29]
	s_cbranch_execz .LBB86_71
; %bb.70:
	v_lshlrev_b32_e32 v10, 2, v2
	v_sub_u32_e32 v9, v8, v10
	ds_read_b32 v9, v9 offset:4096
	s_waitcnt lgkmcnt(0)
	v_lshrrev_b32_e32 v11, s64, v9
	v_and_b32_e32 v11, s72, v11
	v_lshlrev_b32_e32 v11, 3, v11
	ds_read_b64 v[16:17], v11
	v_mov_b32_e32 v11, 0
	v_xor_b32_e32 v9, 0x7fffffff, v9
	s_waitcnt lgkmcnt(0)
	v_lshl_add_u64 v[16:17], v[16:17], 2, s[54:55]
	v_lshl_add_u64 v[10:11], v[16:17], 0, v[10:11]
	global_store_dword v[10:11], v9, off offset:2048
.LBB86_71:
	;; [unrolled: 21-line block ×3, first 2 shown]
	s_or_b64 exec, exec, s[34:35]
	v_or_b32_e32 v15, 0x400, v2
	v_cmp_gt_u32_e64 s[34:35], s66, v15
	s_and_saveexec_b64 s[36:37], s[34:35]
	s_cbranch_execz .LBB86_75
; %bb.74:
	v_lshlrev_b32_e32 v9, 2, v2
	v_sub_u32_e32 v9, v8, v9
	ds_read_b32 v9, v9 offset:6144
	v_lshlrev_b32_e32 v16, 2, v15
	v_mov_b32_e32 v17, 0
	s_waitcnt lgkmcnt(0)
	v_lshrrev_b32_e32 v10, s64, v9
	v_and_b32_e32 v10, s72, v10
	v_lshlrev_b32_e32 v10, 3, v10
	ds_read_b64 v[10:11], v10
	v_xor_b32_e32 v9, 0x7fffffff, v9
	s_waitcnt lgkmcnt(0)
	v_lshl_add_u64 v[10:11], v[10:11], 2, s[54:55]
	v_lshl_add_u64 v[10:11], v[10:11], 0, v[16:17]
	global_store_dword v[10:11], v9, off
.LBB86_75:
	s_or_b64 exec, exec, s[36:37]
	v_add_u32_e32 v16, 0x500, v2
	v_cmp_gt_u32_e64 s[36:37], s66, v16
	s_and_saveexec_b64 s[38:39], s[36:37]
	s_cbranch_execz .LBB86_77
; %bb.76:
	v_lshlrev_b32_e32 v9, 2, v2
	v_sub_u32_e32 v9, v8, v9
	ds_read_b32 v9, v9 offset:7168
	v_lshlrev_b32_e32 v20, 2, v16
	v_mov_b32_e32 v21, 0
	s_waitcnt lgkmcnt(0)
	v_lshrrev_b32_e32 v10, s64, v9
	v_and_b32_e32 v10, s72, v10
	v_lshlrev_b32_e32 v10, 3, v10
	ds_read_b64 v[10:11], v10
	v_xor_b32_e32 v9, 0x7fffffff, v9
	s_waitcnt lgkmcnt(0)
	v_lshl_add_u64 v[10:11], v[10:11], 2, s[54:55]
	v_lshl_add_u64 v[10:11], v[10:11], 0, v[20:21]
	global_store_dword v[10:11], v9, off
.LBB86_77:
	s_or_b64 exec, exec, s[38:39]
	v_add_u32_e32 v17, 0x600, v2
	;; [unrolled: 22-line block ×3, first 2 shown]
	v_cmp_gt_u32_e64 s[40:41], s66, v18
	s_and_saveexec_b64 s[42:43], s[40:41]
	s_cbranch_execz .LBB86_81
; %bb.80:
	v_lshlrev_b32_e32 v9, 2, v2
	ds_read_b32 v9, v9 offset:9216
	v_lshlrev_b32_e32 v20, 2, v18
	v_mov_b32_e32 v21, 0
	s_waitcnt lgkmcnt(0)
	v_lshrrev_b32_e32 v10, s64, v9
	v_and_b32_e32 v10, s72, v10
	v_lshlrev_b32_e32 v10, 3, v10
	ds_read_b64 v[10:11], v10
	v_xor_b32_e32 v9, 0x7fffffff, v9
	s_waitcnt lgkmcnt(0)
	v_lshl_add_u64 v[10:11], v[10:11], 2, s[54:55]
	v_lshl_add_u64 v[10:11], v[10:11], 0, v[20:21]
	global_store_dword v[10:11], v9, off
.LBB86_81:
	s_or_b64 exec, exec, s[42:43]
	v_or_b32_e32 v20, 0x800, v2
	v_cmp_gt_u32_e64 s[42:43], s66, v20
	s_and_saveexec_b64 s[44:45], s[42:43]
	s_cbranch_execz .LBB86_83
; %bb.82:
	v_lshlrev_b32_e32 v9, 2, v2
	ds_read_b32 v9, v9 offset:10240
	v_lshlrev_b32_e32 v30, 2, v20
	v_mov_b32_e32 v31, 0
	s_waitcnt lgkmcnt(0)
	v_lshrrev_b32_e32 v10, s64, v9
	v_and_b32_e32 v10, s72, v10
	v_lshlrev_b32_e32 v10, 3, v10
	ds_read_b64 v[10:11], v10
	v_xor_b32_e32 v9, 0x7fffffff, v9
	s_waitcnt lgkmcnt(0)
	v_lshl_add_u64 v[10:11], v[10:11], 2, s[54:55]
	v_lshl_add_u64 v[10:11], v[10:11], 0, v[30:31]
	global_store_dword v[10:11], v9, off
.LBB86_83:
	s_or_b64 exec, exec, s[44:45]
	v_add_u32_e32 v21, 0x900, v2
	v_cmp_gt_u32_e64 s[44:45], s66, v21
	s_and_saveexec_b64 s[46:47], s[44:45]
	s_cbranch_execz .LBB86_85
; %bb.84:
	v_lshlrev_b32_e32 v9, 2, v2
	ds_read_b32 v9, v9 offset:11264
	v_lshlrev_b32_e32 v30, 2, v21
	v_mov_b32_e32 v31, 0
	s_waitcnt lgkmcnt(0)
	v_lshrrev_b32_e32 v10, s64, v9
	v_and_b32_e32 v10, s72, v10
	v_lshlrev_b32_e32 v10, 3, v10
	ds_read_b64 v[10:11], v10
	v_xor_b32_e32 v9, 0x7fffffff, v9
	s_waitcnt lgkmcnt(0)
	v_lshl_add_u64 v[10:11], v[10:11], 2, s[54:55]
	v_lshl_add_u64 v[10:11], v[10:11], 0, v[30:31]
	global_store_dword v[10:11], v9, off
.LBB86_85:
	s_or_b64 exec, exec, s[46:47]
	v_add_u32_e32 v30, 0xa00, v2
	;; [unrolled: 21-line block ×3, first 2 shown]
	v_cmp_gt_u32_e64 s[48:49], s66, v31
	s_and_saveexec_b64 s[66:67], s[48:49]
	s_cbranch_execz .LBB86_89
; %bb.88:
	v_lshlrev_b32_e32 v9, 2, v2
	ds_read_b32 v9, v9 offset:13312
	v_lshlrev_b32_e32 v34, 2, v31
	v_mov_b32_e32 v35, 0
	s_waitcnt lgkmcnt(0)
	v_lshrrev_b32_e32 v10, s64, v9
	v_and_b32_e32 v10, s72, v10
	v_lshlrev_b32_e32 v10, 3, v10
	ds_read_b64 v[10:11], v10
	v_xor_b32_e32 v9, 0x7fffffff, v9
	s_waitcnt lgkmcnt(0)
	v_lshl_add_u64 v[10:11], v[10:11], 2, s[54:55]
	v_lshl_add_u64 v[10:11], v[10:11], 0, v[34:35]
	global_store_dword v[10:11], v9, off
.LBB86_89:
	s_or_b64 exec, exec, s[66:67]
	s_lshl_b64 s[66:67], s[68:69], 3
	s_add_u32 s66, s56, s66
	s_addc_u32 s67, s57, s67
	v_lshlrev_b32_e32 v10, 3, v14
	v_mov_b32_e32 v11, 0
	v_lshl_add_u64 v[34:35], s[66:67], 0, v[10:11]
	v_lshlrev_b32_e32 v10, 3, v3
	v_lshl_add_u64 v[10:11], v[34:35], 0, v[10:11]
                                        ; implicit-def: $vgpr42_vgpr43
	s_and_saveexec_b64 s[66:67], vcc
	s_xor_b64 s[66:67], exec, s[66:67]
	s_cbranch_execz .LBB86_101
; %bb.90:
	global_load_dwordx2 v[42:43], v[10:11], off
	s_or_b64 exec, exec, s[66:67]
                                        ; implicit-def: $vgpr44_vgpr45
	s_and_saveexec_b64 s[66:67], s[50:51]
	s_cbranch_execnz .LBB86_102
.LBB86_91:
	s_or_b64 exec, exec, s[66:67]
                                        ; implicit-def: $vgpr46_vgpr47
	s_and_saveexec_b64 s[50:51], s[4:5]
	s_cbranch_execz .LBB86_103
.LBB86_92:
	global_load_dwordx2 v[46:47], v[10:11], off offset:1024
	s_or_b64 exec, exec, s[50:51]
                                        ; implicit-def: $vgpr48_vgpr49
	s_and_saveexec_b64 s[4:5], s[6:7]
	s_cbranch_execnz .LBB86_104
.LBB86_93:
	s_or_b64 exec, exec, s[4:5]
                                        ; implicit-def: $vgpr50_vgpr51
	s_and_saveexec_b64 s[4:5], s[8:9]
	s_cbranch_execz .LBB86_105
.LBB86_94:
	global_load_dwordx2 v[50:51], v[10:11], off offset:2048
	s_or_b64 exec, exec, s[4:5]
                                        ; implicit-def: $vgpr52_vgpr53
	s_and_saveexec_b64 s[4:5], s[10:11]
	s_cbranch_execnz .LBB86_106
.LBB86_95:
	s_or_b64 exec, exec, s[4:5]
                                        ; implicit-def: $vgpr54_vgpr55
	s_and_saveexec_b64 s[4:5], s[12:13]
	s_cbranch_execz .LBB86_107
.LBB86_96:
	global_load_dwordx2 v[54:55], v[10:11], off offset:3072
	s_or_b64 exec, exec, s[4:5]
                                        ; implicit-def: $vgpr56_vgpr57
	s_and_saveexec_b64 s[4:5], s[18:19]
	s_cbranch_execnz .LBB86_108
.LBB86_97:
	s_or_b64 exec, exec, s[4:5]
                                        ; implicit-def: $vgpr58_vgpr59
	s_and_saveexec_b64 s[4:5], s[22:23]
	s_cbranch_execz .LBB86_109
.LBB86_98:
	v_add_co_u32_e32 v34, vcc, 0x1000, v10
	s_nop 1
	v_addc_co_u32_e32 v35, vcc, 0, v11, vcc
	global_load_dwordx2 v[58:59], v[34:35], off
	s_or_b64 exec, exec, s[4:5]
                                        ; implicit-def: $vgpr60_vgpr61
	s_and_saveexec_b64 s[4:5], s[20:21]
	s_cbranch_execnz .LBB86_110
.LBB86_99:
	s_or_b64 exec, exec, s[4:5]
                                        ; implicit-def: $vgpr62_vgpr63
	s_and_saveexec_b64 s[4:5], s[16:17]
	s_cbranch_execz .LBB86_111
.LBB86_100:
	v_add_co_u32_e32 v34, vcc, 0x1000, v10
	s_nop 1
	v_addc_co_u32_e32 v35, vcc, 0, v11, vcc
	global_load_dwordx2 v[62:63], v[34:35], off offset:1024
	s_or_b64 exec, exec, s[4:5]
                                        ; implicit-def: $vgpr64_vgpr65
	s_and_saveexec_b64 s[4:5], s[14:15]
	s_cbranch_execnz .LBB86_112
	s_branch .LBB86_113
.LBB86_101:
	s_or_b64 exec, exec, s[66:67]
                                        ; implicit-def: $vgpr44_vgpr45
	s_and_saveexec_b64 s[66:67], s[50:51]
	s_cbranch_execz .LBB86_91
.LBB86_102:
	global_load_dwordx2 v[44:45], v[10:11], off offset:512
	s_or_b64 exec, exec, s[66:67]
                                        ; implicit-def: $vgpr46_vgpr47
	s_and_saveexec_b64 s[50:51], s[4:5]
	s_cbranch_execnz .LBB86_92
.LBB86_103:
	s_or_b64 exec, exec, s[50:51]
                                        ; implicit-def: $vgpr48_vgpr49
	s_and_saveexec_b64 s[4:5], s[6:7]
	s_cbranch_execz .LBB86_93
.LBB86_104:
	global_load_dwordx2 v[48:49], v[10:11], off offset:1536
	s_or_b64 exec, exec, s[4:5]
                                        ; implicit-def: $vgpr50_vgpr51
	s_and_saveexec_b64 s[4:5], s[8:9]
	s_cbranch_execnz .LBB86_94
.LBB86_105:
	s_or_b64 exec, exec, s[4:5]
                                        ; implicit-def: $vgpr52_vgpr53
	s_and_saveexec_b64 s[4:5], s[10:11]
	s_cbranch_execz .LBB86_95
.LBB86_106:
	global_load_dwordx2 v[52:53], v[10:11], off offset:2560
	s_or_b64 exec, exec, s[4:5]
                                        ; implicit-def: $vgpr54_vgpr55
	s_and_saveexec_b64 s[4:5], s[12:13]
	s_cbranch_execnz .LBB86_96
.LBB86_107:
	s_or_b64 exec, exec, s[4:5]
                                        ; implicit-def: $vgpr56_vgpr57
	s_and_saveexec_b64 s[4:5], s[18:19]
	s_cbranch_execz .LBB86_97
.LBB86_108:
	global_load_dwordx2 v[56:57], v[10:11], off offset:3584
	s_or_b64 exec, exec, s[4:5]
                                        ; implicit-def: $vgpr58_vgpr59
	s_and_saveexec_b64 s[4:5], s[22:23]
	s_cbranch_execnz .LBB86_98
.LBB86_109:
	s_or_b64 exec, exec, s[4:5]
                                        ; implicit-def: $vgpr60_vgpr61
	s_and_saveexec_b64 s[4:5], s[20:21]
	s_cbranch_execz .LBB86_99
.LBB86_110:
	v_add_co_u32_e32 v34, vcc, 0x1000, v10
	s_nop 1
	v_addc_co_u32_e32 v35, vcc, 0, v11, vcc
	global_load_dwordx2 v[60:61], v[34:35], off offset:512
	s_or_b64 exec, exec, s[4:5]
                                        ; implicit-def: $vgpr62_vgpr63
	s_and_saveexec_b64 s[4:5], s[16:17]
	s_cbranch_execnz .LBB86_100
.LBB86_111:
	s_or_b64 exec, exec, s[4:5]
                                        ; implicit-def: $vgpr64_vgpr65
	s_and_saveexec_b64 s[4:5], s[14:15]
	s_cbranch_execz .LBB86_113
.LBB86_112:
	v_add_co_u32_e32 v10, vcc, 0x1000, v10
	s_nop 1
	v_addc_co_u32_e32 v11, vcc, 0, v11, vcc
	global_load_dwordx2 v[64:65], v[10:11], off offset:1536
.LBB86_113:
	s_or_b64 exec, exec, s[4:5]
	v_mov_b32_e32 v38, 0
	v_mov_b32_e32 v9, 0
	s_and_saveexec_b64 s[4:5], s[24:25]
	s_cbranch_execz .LBB86_115
; %bb.114:
	v_lshlrev_b32_e32 v3, 2, v2
	ds_read_b32 v3, v3 offset:2048
	s_waitcnt lgkmcnt(0)
	v_lshrrev_b32_e32 v3, s64, v3
	v_and_b32_e32 v9, s72, v3
.LBB86_115:
	s_or_b64 exec, exec, s[4:5]
	s_and_saveexec_b64 s[4:5], s[26:27]
	s_cbranch_execz .LBB86_117
; %bb.116:
	v_lshlrev_b32_e32 v3, 2, v2
	ds_read_b32 v3, v3 offset:3072
	s_waitcnt lgkmcnt(0)
	v_lshrrev_b32_e32 v3, s64, v3
	v_and_b32_e32 v38, s72, v3
.LBB86_117:
	s_or_b64 exec, exec, s[4:5]
	v_mov_b32_e32 v36, 0
	v_mov_b32_e32 v40, 0
	s_and_saveexec_b64 s[4:5], s[28:29]
	s_cbranch_execz .LBB86_119
; %bb.118:
	v_lshlrev_b32_e32 v3, 2, v2
	ds_read_b32 v3, v3 offset:4096
	s_waitcnt lgkmcnt(0)
	v_lshrrev_b32_e32 v3, s64, v3
	v_and_b32_e32 v40, s72, v3
.LBB86_119:
	s_or_b64 exec, exec, s[4:5]
	s_and_saveexec_b64 s[4:5], s[30:31]
	s_cbranch_execz .LBB86_121
; %bb.120:
	v_lshlrev_b32_e32 v3, 2, v2
	ds_read_b32 v3, v3 offset:5120
	s_waitcnt lgkmcnt(0)
	v_lshrrev_b32_e32 v3, s64, v3
	v_and_b32_e32 v36, s72, v3
.LBB86_121:
	;; [unrolled: 22-line block ×6, first 2 shown]
	s_or_b64 exec, exec, s[4:5]
	v_lshlrev_b32_e32 v2, 3, v33
	s_barrier
	s_waitcnt vmcnt(0)
	ds_write_b64 v2, v[42:43] offset:2048
	v_lshlrev_b32_e32 v2, 3, v32
	ds_write_b64 v2, v[44:45] offset:2048
	v_lshlrev_b32_e32 v2, 3, v29
	;; [unrolled: 2-line block ×11, first 2 shown]
	ds_write_b64 v2, v[64:65] offset:2048
	s_waitcnt lgkmcnt(0)
	s_barrier
	s_and_saveexec_b64 s[4:5], s[24:25]
	s_cbranch_execz .LBB86_196
; %bb.138:
	v_lshlrev_b32_e32 v2, 3, v9
	ds_read_b64 v[22:23], v2
	ds_read_b64 v[24:25], v8 offset:2048
	v_mov_b32_e32 v9, 0
	s_waitcnt lgkmcnt(1)
	v_lshl_add_u64 v[22:23], v[22:23], 3, s[58:59]
	v_lshl_add_u64 v[22:23], v[22:23], 0, v[8:9]
	s_waitcnt lgkmcnt(0)
	global_store_dwordx2 v[22:23], v[24:25], off
	s_or_b64 exec, exec, s[4:5]
	s_and_saveexec_b64 s[4:5], s[26:27]
	s_cbranch_execnz .LBB86_197
.LBB86_139:
	s_or_b64 exec, exec, s[4:5]
	s_and_saveexec_b64 s[4:5], s[28:29]
	s_cbranch_execz .LBB86_198
.LBB86_140:
	v_lshlrev_b32_e32 v2, 3, v40
	ds_read_b64 v[22:23], v2
	ds_read_b64 v[24:25], v8 offset:6144
	v_lshlrev_b32_e32 v26, 3, v12
	v_mov_b32_e32 v27, 0
	s_waitcnt lgkmcnt(1)
	v_lshl_add_u64 v[22:23], v[22:23], 3, s[58:59]
	v_lshl_add_u64 v[22:23], v[22:23], 0, v[26:27]
	s_waitcnt lgkmcnt(0)
	global_store_dwordx2 v[22:23], v[24:25], off
	s_or_b64 exec, exec, s[4:5]
	s_and_saveexec_b64 s[4:5], s[30:31]
	s_cbranch_execnz .LBB86_199
.LBB86_141:
	s_or_b64 exec, exec, s[4:5]
	s_and_saveexec_b64 s[4:5], s[34:35]
	s_cbranch_execz .LBB86_200
.LBB86_142:
	v_lshlrev_b32_e32 v2, 3, v39
	ds_read_b64 v[12:13], v2
	ds_read_b64 v[22:23], v8 offset:10240
	v_lshlrev_b32_e32 v24, 3, v15
	v_mov_b32_e32 v25, 0
	s_waitcnt lgkmcnt(1)
	v_lshl_add_u64 v[12:13], v[12:13], 3, s[58:59]
	v_lshl_add_u64 v[12:13], v[12:13], 0, v[24:25]
	s_waitcnt lgkmcnt(0)
	global_store_dwordx2 v[12:13], v[22:23], off
	s_or_b64 exec, exec, s[4:5]
	s_and_saveexec_b64 s[4:5], s[36:37]
	s_cbranch_execnz .LBB86_201
.LBB86_143:
	s_or_b64 exec, exec, s[4:5]
	s_and_saveexec_b64 s[4:5], s[38:39]
	s_cbranch_execz .LBB86_202
.LBB86_144:
	v_lshlrev_b32_e32 v2, 3, v37
	ds_read_b64 v[12:13], v2
	ds_read_b64 v[22:23], v8 offset:14336
	v_lshlrev_b32_e32 v16, 3, v17
	v_mov_b32_e32 v17, 0
	s_waitcnt lgkmcnt(1)
	v_lshl_add_u64 v[12:13], v[12:13], 3, s[58:59]
	v_lshl_add_u64 v[12:13], v[12:13], 0, v[16:17]
	s_waitcnt lgkmcnt(0)
	global_store_dwordx2 v[12:13], v[22:23], off
	s_or_b64 exec, exec, s[4:5]
	s_and_saveexec_b64 s[4:5], s[40:41]
	s_cbranch_execnz .LBB86_203
.LBB86_145:
	s_or_b64 exec, exec, s[4:5]
	s_and_saveexec_b64 s[4:5], s[42:43]
	s_cbranch_execz .LBB86_204
.LBB86_146:
	v_lshlrev_b32_e32 v2, 3, v35
	ds_read_b64 v[12:13], v2
	ds_read_b64 v[16:17], v8 offset:18432
	v_lshlrev_b32_e32 v18, 3, v20
	v_mov_b32_e32 v19, 0
	s_waitcnt lgkmcnt(1)
	v_lshl_add_u64 v[12:13], v[12:13], 3, s[58:59]
	v_lshl_add_u64 v[12:13], v[12:13], 0, v[18:19]
	s_waitcnt lgkmcnt(0)
	global_store_dwordx2 v[12:13], v[16:17], off
	s_or_b64 exec, exec, s[4:5]
	s_and_saveexec_b64 s[4:5], s[44:45]
	s_cbranch_execnz .LBB86_205
.LBB86_147:
	s_or_b64 exec, exec, s[4:5]
	s_and_saveexec_b64 s[4:5], s[46:47]
	s_cbranch_execz .LBB86_206
.LBB86_148:
	v_lshlrev_b32_e32 v2, 3, v14
	ds_read_b64 v[10:11], v2
	ds_read_b64 v[12:13], v8 offset:22528
	v_lshlrev_b32_e32 v14, 3, v30
	v_mov_b32_e32 v15, 0
	s_waitcnt lgkmcnt(1)
	v_lshl_add_u64 v[10:11], v[10:11], 3, s[58:59]
	v_lshl_add_u64 v[10:11], v[10:11], 0, v[14:15]
	s_waitcnt lgkmcnt(0)
	global_store_dwordx2 v[10:11], v[12:13], off
	s_or_b64 exec, exec, s[4:5]
	s_and_saveexec_b64 s[4:5], s[48:49]
	s_cbranch_execnz .LBB86_207
.LBB86_149:
	s_or_b64 exec, exec, s[4:5]
	s_add_i32 s33, s33, -1
	s_cmp_eq_u32 s2, s33
	s_cbranch_scc0 .LBB86_151
.LBB86_150:
	ds_read_b64 v[2:3], v8
	v_mov_b32_e32 v7, 0
	v_lshl_add_u64 v[4:5], v[6:7], 0, v[4:5]
	s_waitcnt lgkmcnt(0)
	v_lshl_add_u64 v[2:3], v[4:5], 0, v[2:3]
	global_store_dwordx2 v8, v[2:3], s[62:63]
.LBB86_151:
	s_mov_b64 s[4:5], 0
.LBB86_152:
	s_and_b64 vcc, exec, s[4:5]
	s_cbranch_vccz .LBB86_195
; %bb.153:
	s_mov_b32 s69, 0
	s_lshl_b64 s[4:5], s[68:69], 2
	s_add_u32 s4, s52, s4
	v_mbcnt_hi_u32_b32 v9, -1, v1
	v_and_b32_e32 v8, 0xc0, v0
	s_addc_u32 s5, s53, s5
	v_mul_u32_u24_e32 v3, 12, v8
	v_mov_b32_e32 v5, 0
	v_lshlrev_b32_e32 v4, 2, v9
	v_lshl_add_u64 v[6:7], s[4:5], 0, v[4:5]
	v_lshlrev_b32_e32 v4, 2, v3
	v_lshl_add_u64 v[12:13], v[6:7], 0, v[4:5]
	global_load_dword v1, v[12:13], off
	s_load_dword s4, s[0:1], 0x5c
	s_load_dword s10, s[0:1], 0x50
	s_add_u32 s0, s0, 0x50
	s_addc_u32 s1, s1, 0
	v_and_b32_e32 v2, 0x3ff, v0
	s_waitcnt lgkmcnt(0)
	s_lshr_b32 s4, s4, 16
	s_cmp_lt_u32 s2, s10
	s_cselect_b32 s5, 12, 18
	s_add_u32 s0, s0, s5
	s_addc_u32 s1, s1, 0
	global_load_ushort v10, v5, s[0:1]
	v_mul_u32_u24_e32 v6, 20, v2
	ds_write2_b32 v6, v5, v5 offset0:4 offset1:5
	ds_write2_b32 v6, v5, v5 offset0:6 offset1:7
	ds_write_b32 v6, v5 offset:32
	global_load_dword v11, v[12:13], off offset:256
	global_load_dword v15, v[12:13], off offset:512
	;; [unrolled: 1-line block ×11, first 2 shown]
	v_bfe_u32 v4, v0, 10, 10
	v_bfe_u32 v7, v0, 20, 10
	v_mad_u32_u24 v12, v7, s4, v4
	s_lshl_b32 s0, -1, s65
	v_mov_b32_e32 v0, v5
	s_not_b32 s11, s0
	v_mov_b32_e32 v16, v5
	v_mov_b32_e32 v22, v5
	;; [unrolled: 1-line block ×3, first 2 shown]
	s_waitcnt lgkmcnt(0)
	s_barrier
	s_waitcnt vmcnt(12)
	; wave barrier
	v_xor_b32_e32 v7, 0x7fffffff, v1
	v_lshrrev_b32_e32 v1, s64, v7
	v_bitop3_b32 v14, v1, s0, v1 bitop3:0x30
	v_and_b32_e32 v4, 1, v14
	v_lshlrev_b32_e32 v1, 30, v14
	v_lshlrev_b32_e32 v17, 29, v14
	v_lshl_add_u64 v[32:33], v[4:5], 0, -1
	v_cmp_ne_u32_e32 vcc, 0, v4
	v_lshlrev_b32_e32 v23, 28, v14
	v_lshlrev_b32_e32 v29, 27, v14
	s_waitcnt vmcnt(11)
	v_mad_u64_u32 v[12:13], s[0:1], v12, v10, v[2:3]
	v_cmp_gt_i64_e64 s[0:1], 0, v[0:1]
	v_not_b32_e32 v0, v1
	v_not_b32_e32 v1, v17
	v_lshrrev_b32_e32 v20, 6, v12
	v_xor_b32_e32 v12, vcc_hi, v33
	v_xor_b32_e32 v13, vcc_lo, v32
	v_ashrrev_i32_e32 v0, 31, v0
	v_mul_lo_u32 v18, v14, 20
	v_cmp_gt_i64_e64 s[4:5], 0, v[16:17]
	v_not_b32_e32 v4, v23
	v_not_b32_e32 v10, v29
	v_ashrrev_i32_e32 v1, 31, v1
	v_and_b32_e32 v12, exec_hi, v12
	v_and_b32_e32 v13, exec_lo, v13
	v_xor_b32_e32 v17, s1, v0
	v_xor_b32_e32 v0, s0, v0
	v_cmp_gt_i64_e64 s[6:7], 0, v[22:23]
	v_ashrrev_i32_e32 v4, 31, v4
	v_ashrrev_i32_e32 v16, 31, v10
	v_lshl_add_u32 v10, v20, 2, v18
	v_xor_b32_e32 v18, s5, v1
	v_xor_b32_e32 v1, s4, v1
	v_and_b32_e32 v12, v12, v17
	v_and_b32_e32 v0, v13, v0
	v_cmp_gt_i64_e64 s[8:9], 0, v[28:29]
	v_xor_b32_e32 v22, s7, v4
	v_xor_b32_e32 v4, s6, v4
	v_and_b32_e32 v12, v12, v18
	v_and_b32_e32 v0, v0, v1
	v_xor_b32_e32 v23, s9, v16
	v_xor_b32_e32 v16, s8, v16
	v_and_b32_e32 v1, v12, v22
	v_and_b32_e32 v0, v0, v4
	;; [unrolled: 1-line block ×4, first 2 shown]
	v_lshlrev_b32_e32 v1, 26, v14
	v_mov_b32_e32 v0, v5
	v_cmp_gt_i64_e32 vcc, 0, v[0:1]
	v_not_b32_e32 v0, v1
	v_ashrrev_i32_e32 v0, 31, v0
	v_xor_b32_e32 v1, vcc_hi, v0
	v_xor_b32_e32 v0, vcc_lo, v0
	v_and_b32_e32 v4, v4, v1
	v_and_b32_e32 v12, v12, v0
	v_lshlrev_b32_e32 v1, 25, v14
	v_mov_b32_e32 v0, v5
	v_cmp_gt_i64_e32 vcc, 0, v[0:1]
	v_not_b32_e32 v0, v1
	v_ashrrev_i32_e32 v0, 31, v0
	v_xor_b32_e32 v1, vcc_hi, v0
	v_xor_b32_e32 v0, vcc_lo, v0
	v_and_b32_e32 v4, v4, v1
	v_and_b32_e32 v12, v12, v0
	;; [unrolled: 9-line block ×3, first 2 shown]
	v_mbcnt_lo_u32_b32 v4, v0, 0
	v_mbcnt_hi_u32_b32 v12, v1, v4
	v_cmp_eq_u32_e32 vcc, 0, v12
	v_cmp_ne_u64_e64 s[0:1], 0, v[0:1]
	s_and_b64 s[4:5], s[0:1], vcc
	s_and_saveexec_b64 s[0:1], s[4:5]
; %bb.154:
	v_bcnt_u32_b32 v0, v0, 0
	v_bcnt_u32_b32 v0, v1, v0
	ds_write_b32 v10, v0 offset:16
; %bb.155:
	s_or_b64 exec, exec, s[0:1]
	s_waitcnt vmcnt(10)
	v_xor_b32_e32 v11, 0x7fffffff, v11
	v_lshrrev_b32_e32 v0, s64, v11
	v_and_b32_e32 v16, s11, v0
	v_mul_lo_u32 v0, v16, 20
	v_and_b32_e32 v4, 1, v16
	v_lshl_add_u32 v14, v20, 2, v0
	v_lshl_add_u64 v[0:1], v[4:5], 0, -1
	v_cmp_ne_u32_e32 vcc, 0, v4
	; wave barrier
	s_nop 1
	v_xor_b32_e32 v1, vcc_hi, v1
	v_xor_b32_e32 v0, vcc_lo, v0
	v_and_b32_e32 v4, exec_hi, v1
	v_and_b32_e32 v17, exec_lo, v0
	v_lshlrev_b32_e32 v1, 30, v16
	v_mov_b32_e32 v0, v5
	v_cmp_gt_i64_e32 vcc, 0, v[0:1]
	v_not_b32_e32 v0, v1
	v_ashrrev_i32_e32 v0, 31, v0
	v_xor_b32_e32 v1, vcc_hi, v0
	v_xor_b32_e32 v0, vcc_lo, v0
	v_and_b32_e32 v4, v4, v1
	v_and_b32_e32 v17, v17, v0
	v_lshlrev_b32_e32 v1, 29, v16
	v_mov_b32_e32 v0, v5
	v_cmp_gt_i64_e32 vcc, 0, v[0:1]
	v_not_b32_e32 v0, v1
	v_ashrrev_i32_e32 v0, 31, v0
	v_xor_b32_e32 v1, vcc_hi, v0
	v_xor_b32_e32 v0, vcc_lo, v0
	v_and_b32_e32 v4, v4, v1
	v_and_b32_e32 v17, v17, v0
	;; [unrolled: 9-line block ×6, first 2 shown]
	v_lshlrev_b32_e32 v1, 24, v16
	v_mov_b32_e32 v0, v5
	v_cmp_gt_i64_e32 vcc, 0, v[0:1]
	v_not_b32_e32 v0, v1
	v_ashrrev_i32_e32 v0, 31, v0
	v_xor_b32_e32 v1, vcc_hi, v0
	v_xor_b32_e32 v0, vcc_lo, v0
	ds_read_b32 v13, v14 offset:16
	v_and_b32_e32 v0, v17, v0
	v_and_b32_e32 v1, v4, v1
	v_mbcnt_lo_u32_b32 v4, v0, 0
	v_mbcnt_hi_u32_b32 v16, v1, v4
	v_cmp_eq_u32_e32 vcc, 0, v16
	v_cmp_ne_u64_e64 s[0:1], 0, v[0:1]
	s_and_b64 s[4:5], s[0:1], vcc
	; wave barrier
	s_and_saveexec_b64 s[0:1], s[4:5]
	s_cbranch_execz .LBB86_157
; %bb.156:
	v_bcnt_u32_b32 v0, v0, 0
	v_bcnt_u32_b32 v0, v1, v0
	s_waitcnt lgkmcnt(0)
	v_add_u32_e32 v0, v13, v0
	ds_write_b32 v14, v0 offset:16
.LBB86_157:
	s_or_b64 exec, exec, s[0:1]
	s_waitcnt vmcnt(9)
	v_xor_b32_e32 v15, 0x7fffffff, v15
	v_lshrrev_b32_e32 v0, s64, v15
	v_and_b32_e32 v22, s11, v0
	v_mul_lo_u32 v0, v22, 20
	v_lshl_add_u32 v18, v20, 2, v0
	v_and_b32_e32 v0, 1, v22
	v_mov_b32_e32 v1, 0
	v_lshl_add_u64 v[4:5], v[0:1], 0, -1
	v_cmp_ne_u32_e32 vcc, 0, v0
	; wave barrier
	s_nop 1
	v_xor_b32_e32 v4, vcc_lo, v4
	v_xor_b32_e32 v0, vcc_hi, v5
	v_and_b32_e32 v23, exec_lo, v4
	v_lshlrev_b32_e32 v5, 30, v22
	v_mov_b32_e32 v4, v1
	v_cmp_gt_i64_e32 vcc, 0, v[4:5]
	v_not_b32_e32 v4, v5
	v_ashrrev_i32_e32 v4, 31, v4
	v_and_b32_e32 v0, exec_hi, v0
	v_xor_b32_e32 v5, vcc_hi, v4
	v_xor_b32_e32 v4, vcc_lo, v4
	v_and_b32_e32 v0, v0, v5
	v_and_b32_e32 v23, v23, v4
	v_lshlrev_b32_e32 v5, 29, v22
	v_mov_b32_e32 v4, v1
	v_cmp_gt_i64_e32 vcc, 0, v[4:5]
	v_not_b32_e32 v4, v5
	v_ashrrev_i32_e32 v4, 31, v4
	v_xor_b32_e32 v5, vcc_hi, v4
	v_xor_b32_e32 v4, vcc_lo, v4
	v_and_b32_e32 v0, v0, v5
	v_and_b32_e32 v23, v23, v4
	v_lshlrev_b32_e32 v5, 28, v22
	v_mov_b32_e32 v4, v1
	v_cmp_gt_i64_e32 vcc, 0, v[4:5]
	v_not_b32_e32 v4, v5
	v_ashrrev_i32_e32 v4, 31, v4
	;; [unrolled: 9-line block ×6, first 2 shown]
	v_xor_b32_e32 v5, vcc_hi, v4
	v_xor_b32_e32 v4, vcc_lo, v4
	ds_read_b32 v17, v18 offset:16
	v_and_b32_e32 v4, v23, v4
	v_and_b32_e32 v5, v0, v5
	v_mbcnt_lo_u32_b32 v0, v4, 0
	v_mbcnt_hi_u32_b32 v22, v5, v0
	v_cmp_eq_u32_e32 vcc, 0, v22
	v_cmp_ne_u64_e64 s[0:1], 0, v[4:5]
	s_and_b64 s[4:5], s[0:1], vcc
	; wave barrier
	s_and_saveexec_b64 s[0:1], s[4:5]
	s_cbranch_execz .LBB86_159
; %bb.158:
	v_bcnt_u32_b32 v0, v4, 0
	v_bcnt_u32_b32 v0, v5, v0
	s_waitcnt lgkmcnt(0)
	v_add_u32_e32 v0, v17, v0
	ds_write_b32 v18, v0 offset:16
.LBB86_159:
	s_or_b64 exec, exec, s[0:1]
	s_waitcnt vmcnt(8)
	v_xor_b32_e32 v21, 0x7fffffff, v21
	v_lshrrev_b32_e32 v0, s64, v21
	v_and_b32_e32 v27, s11, v0
	v_mul_lo_u32 v0, v27, 20
	v_lshl_add_u32 v24, v20, 2, v0
	v_and_b32_e32 v0, 1, v27
	v_lshl_add_u64 v[4:5], v[0:1], 0, -1
	v_cmp_ne_u32_e32 vcc, 0, v0
	; wave barrier
	s_nop 1
	v_xor_b32_e32 v4, vcc_lo, v4
	v_xor_b32_e32 v0, vcc_hi, v5
	v_and_b32_e32 v28, exec_lo, v4
	v_lshlrev_b32_e32 v5, 30, v27
	v_mov_b32_e32 v4, v1
	v_cmp_gt_i64_e32 vcc, 0, v[4:5]
	v_not_b32_e32 v4, v5
	v_ashrrev_i32_e32 v4, 31, v4
	v_and_b32_e32 v0, exec_hi, v0
	v_xor_b32_e32 v5, vcc_hi, v4
	v_xor_b32_e32 v4, vcc_lo, v4
	v_and_b32_e32 v0, v0, v5
	v_and_b32_e32 v28, v28, v4
	v_lshlrev_b32_e32 v5, 29, v27
	v_mov_b32_e32 v4, v1
	v_cmp_gt_i64_e32 vcc, 0, v[4:5]
	v_not_b32_e32 v4, v5
	v_ashrrev_i32_e32 v4, 31, v4
	v_xor_b32_e32 v5, vcc_hi, v4
	v_xor_b32_e32 v4, vcc_lo, v4
	v_and_b32_e32 v0, v0, v5
	v_and_b32_e32 v28, v28, v4
	v_lshlrev_b32_e32 v5, 28, v27
	v_mov_b32_e32 v4, v1
	v_cmp_gt_i64_e32 vcc, 0, v[4:5]
	v_not_b32_e32 v4, v5
	v_ashrrev_i32_e32 v4, 31, v4
	;; [unrolled: 9-line block ×5, first 2 shown]
	v_xor_b32_e32 v5, vcc_hi, v4
	v_xor_b32_e32 v4, vcc_lo, v4
	v_and_b32_e32 v0, v0, v5
	v_lshlrev_b32_e32 v5, 24, v27
	v_and_b32_e32 v28, v28, v4
	v_mov_b32_e32 v4, v1
	v_not_b32_e32 v1, v5
	v_cmp_gt_i64_e32 vcc, 0, v[4:5]
	v_ashrrev_i32_e32 v1, 31, v1
	ds_read_b32 v23, v24 offset:16
	v_xor_b32_e32 v4, vcc_hi, v1
	v_xor_b32_e32 v5, vcc_lo, v1
	v_and_b32_e32 v1, v0, v4
	v_and_b32_e32 v0, v28, v5
	v_mbcnt_lo_u32_b32 v4, v0, 0
	v_mbcnt_hi_u32_b32 v27, v1, v4
	v_cmp_eq_u32_e32 vcc, 0, v27
	v_cmp_ne_u64_e64 s[0:1], 0, v[0:1]
	s_and_b64 s[4:5], s[0:1], vcc
	; wave barrier
	s_and_saveexec_b64 s[0:1], s[4:5]
	s_cbranch_execz .LBB86_161
; %bb.160:
	v_bcnt_u32_b32 v0, v0, 0
	v_bcnt_u32_b32 v0, v1, v0
	s_waitcnt lgkmcnt(0)
	v_add_u32_e32 v0, v23, v0
	ds_write_b32 v24, v0 offset:16
.LBB86_161:
	s_or_b64 exec, exec, s[0:1]
	s_waitcnt vmcnt(7)
	v_xor_b32_e32 v26, 0x7fffffff, v26
	v_lshrrev_b32_e32 v0, s64, v26
	v_and_b32_e32 v32, s11, v0
	v_mul_lo_u32 v0, v32, 20
	v_lshl_add_u32 v29, v20, 2, v0
	v_and_b32_e32 v0, 1, v32
	v_mov_b32_e32 v1, 0
	v_lshl_add_u64 v[4:5], v[0:1], 0, -1
	v_cmp_ne_u32_e32 vcc, 0, v0
	; wave barrier
	s_nop 1
	v_xor_b32_e32 v4, vcc_lo, v4
	v_xor_b32_e32 v0, vcc_hi, v5
	v_and_b32_e32 v33, exec_lo, v4
	v_lshlrev_b32_e32 v5, 30, v32
	v_mov_b32_e32 v4, v1
	v_cmp_gt_i64_e32 vcc, 0, v[4:5]
	v_not_b32_e32 v4, v5
	v_ashrrev_i32_e32 v4, 31, v4
	v_and_b32_e32 v0, exec_hi, v0
	v_xor_b32_e32 v5, vcc_hi, v4
	v_xor_b32_e32 v4, vcc_lo, v4
	v_and_b32_e32 v0, v0, v5
	v_and_b32_e32 v33, v33, v4
	v_lshlrev_b32_e32 v5, 29, v32
	v_mov_b32_e32 v4, v1
	v_cmp_gt_i64_e32 vcc, 0, v[4:5]
	v_not_b32_e32 v4, v5
	v_ashrrev_i32_e32 v4, 31, v4
	v_xor_b32_e32 v5, vcc_hi, v4
	v_xor_b32_e32 v4, vcc_lo, v4
	v_and_b32_e32 v0, v0, v5
	v_and_b32_e32 v33, v33, v4
	v_lshlrev_b32_e32 v5, 28, v32
	v_mov_b32_e32 v4, v1
	v_cmp_gt_i64_e32 vcc, 0, v[4:5]
	v_not_b32_e32 v4, v5
	v_ashrrev_i32_e32 v4, 31, v4
	;; [unrolled: 9-line block ×6, first 2 shown]
	v_xor_b32_e32 v5, vcc_hi, v4
	v_xor_b32_e32 v4, vcc_lo, v4
	ds_read_b32 v28, v29 offset:16
	v_and_b32_e32 v4, v33, v4
	v_and_b32_e32 v5, v0, v5
	v_mbcnt_lo_u32_b32 v0, v4, 0
	v_mbcnt_hi_u32_b32 v32, v5, v0
	v_cmp_eq_u32_e32 vcc, 0, v32
	v_cmp_ne_u64_e64 s[0:1], 0, v[4:5]
	s_and_b64 s[4:5], s[0:1], vcc
	; wave barrier
	s_and_saveexec_b64 s[0:1], s[4:5]
	s_cbranch_execz .LBB86_163
; %bb.162:
	v_bcnt_u32_b32 v0, v4, 0
	v_bcnt_u32_b32 v0, v5, v0
	s_waitcnt lgkmcnt(0)
	v_add_u32_e32 v0, v28, v0
	ds_write_b32 v29, v0 offset:16
.LBB86_163:
	s_or_b64 exec, exec, s[0:1]
	s_waitcnt vmcnt(6)
	v_xor_b32_e32 v31, 0x7fffffff, v31
	v_lshrrev_b32_e32 v0, s64, v31
	v_and_b32_e32 v37, s11, v0
	v_mul_lo_u32 v0, v37, 20
	v_lshl_add_u32 v34, v20, 2, v0
	v_and_b32_e32 v0, 1, v37
	v_lshl_add_u64 v[4:5], v[0:1], 0, -1
	v_cmp_ne_u32_e32 vcc, 0, v0
	; wave barrier
	s_nop 1
	v_xor_b32_e32 v4, vcc_lo, v4
	v_xor_b32_e32 v0, vcc_hi, v5
	v_and_b32_e32 v38, exec_lo, v4
	v_lshlrev_b32_e32 v5, 30, v37
	v_mov_b32_e32 v4, v1
	v_cmp_gt_i64_e32 vcc, 0, v[4:5]
	v_not_b32_e32 v4, v5
	v_ashrrev_i32_e32 v4, 31, v4
	v_and_b32_e32 v0, exec_hi, v0
	v_xor_b32_e32 v5, vcc_hi, v4
	v_xor_b32_e32 v4, vcc_lo, v4
	v_and_b32_e32 v0, v0, v5
	v_and_b32_e32 v38, v38, v4
	v_lshlrev_b32_e32 v5, 29, v37
	v_mov_b32_e32 v4, v1
	v_cmp_gt_i64_e32 vcc, 0, v[4:5]
	v_not_b32_e32 v4, v5
	v_ashrrev_i32_e32 v4, 31, v4
	v_xor_b32_e32 v5, vcc_hi, v4
	v_xor_b32_e32 v4, vcc_lo, v4
	v_and_b32_e32 v0, v0, v5
	v_and_b32_e32 v38, v38, v4
	v_lshlrev_b32_e32 v5, 28, v37
	v_mov_b32_e32 v4, v1
	v_cmp_gt_i64_e32 vcc, 0, v[4:5]
	v_not_b32_e32 v4, v5
	v_ashrrev_i32_e32 v4, 31, v4
	v_xor_b32_e32 v5, vcc_hi, v4
	v_xor_b32_e32 v4, vcc_lo, v4
	v_and_b32_e32 v0, v0, v5
	v_and_b32_e32 v38, v38, v4
	v_lshlrev_b32_e32 v5, 27, v37
	v_mov_b32_e32 v4, v1
	v_cmp_gt_i64_e32 vcc, 0, v[4:5]
	v_not_b32_e32 v4, v5
	v_ashrrev_i32_e32 v4, 31, v4
	v_xor_b32_e32 v5, vcc_hi, v4
	v_xor_b32_e32 v4, vcc_lo, v4
	v_and_b32_e32 v0, v0, v5
	v_and_b32_e32 v38, v38, v4
	v_lshlrev_b32_e32 v5, 26, v37
	v_mov_b32_e32 v4, v1
	v_cmp_gt_i64_e32 vcc, 0, v[4:5]
	v_not_b32_e32 v4, v5
	v_ashrrev_i32_e32 v4, 31, v4
	v_xor_b32_e32 v5, vcc_hi, v4
	v_xor_b32_e32 v4, vcc_lo, v4
	v_and_b32_e32 v0, v0, v5
	v_and_b32_e32 v38, v38, v4
	v_lshlrev_b32_e32 v5, 25, v37
	v_mov_b32_e32 v4, v1
	v_cmp_gt_i64_e32 vcc, 0, v[4:5]
	v_not_b32_e32 v4, v5
	v_ashrrev_i32_e32 v4, 31, v4
	v_xor_b32_e32 v5, vcc_hi, v4
	v_xor_b32_e32 v4, vcc_lo, v4
	v_and_b32_e32 v0, v0, v5
	v_lshlrev_b32_e32 v5, 24, v37
	v_and_b32_e32 v38, v38, v4
	v_mov_b32_e32 v4, v1
	v_not_b32_e32 v1, v5
	v_cmp_gt_i64_e32 vcc, 0, v[4:5]
	v_ashrrev_i32_e32 v1, 31, v1
	ds_read_b32 v33, v34 offset:16
	v_xor_b32_e32 v4, vcc_hi, v1
	v_xor_b32_e32 v5, vcc_lo, v1
	v_and_b32_e32 v1, v0, v4
	v_and_b32_e32 v0, v38, v5
	v_mbcnt_lo_u32_b32 v4, v0, 0
	v_mbcnt_hi_u32_b32 v37, v1, v4
	v_cmp_eq_u32_e32 vcc, 0, v37
	v_cmp_ne_u64_e64 s[0:1], 0, v[0:1]
	s_and_b64 s[4:5], s[0:1], vcc
	; wave barrier
	s_and_saveexec_b64 s[0:1], s[4:5]
	s_cbranch_execz .LBB86_165
; %bb.164:
	v_bcnt_u32_b32 v0, v0, 0
	v_bcnt_u32_b32 v0, v1, v0
	s_waitcnt lgkmcnt(0)
	v_add_u32_e32 v0, v33, v0
	ds_write_b32 v34, v0 offset:16
.LBB86_165:
	s_or_b64 exec, exec, s[0:1]
	s_waitcnt vmcnt(5)
	v_xor_b32_e32 v36, 0x7fffffff, v36
	v_lshrrev_b32_e32 v0, s64, v36
	v_and_b32_e32 v41, s11, v0
	v_mul_lo_u32 v0, v41, 20
	v_lshl_add_u32 v39, v20, 2, v0
	v_and_b32_e32 v0, 1, v41
	v_mov_b32_e32 v1, 0
	v_lshl_add_u64 v[4:5], v[0:1], 0, -1
	v_cmp_ne_u32_e32 vcc, 0, v0
	; wave barrier
	s_nop 1
	v_xor_b32_e32 v4, vcc_lo, v4
	v_xor_b32_e32 v0, vcc_hi, v5
	v_and_b32_e32 v42, exec_lo, v4
	v_lshlrev_b32_e32 v5, 30, v41
	v_mov_b32_e32 v4, v1
	v_cmp_gt_i64_e32 vcc, 0, v[4:5]
	v_not_b32_e32 v4, v5
	v_ashrrev_i32_e32 v4, 31, v4
	v_and_b32_e32 v0, exec_hi, v0
	v_xor_b32_e32 v5, vcc_hi, v4
	v_xor_b32_e32 v4, vcc_lo, v4
	v_and_b32_e32 v0, v0, v5
	v_and_b32_e32 v42, v42, v4
	v_lshlrev_b32_e32 v5, 29, v41
	v_mov_b32_e32 v4, v1
	v_cmp_gt_i64_e32 vcc, 0, v[4:5]
	v_not_b32_e32 v4, v5
	v_ashrrev_i32_e32 v4, 31, v4
	v_xor_b32_e32 v5, vcc_hi, v4
	v_xor_b32_e32 v4, vcc_lo, v4
	v_and_b32_e32 v0, v0, v5
	v_and_b32_e32 v42, v42, v4
	v_lshlrev_b32_e32 v5, 28, v41
	v_mov_b32_e32 v4, v1
	v_cmp_gt_i64_e32 vcc, 0, v[4:5]
	v_not_b32_e32 v4, v5
	v_ashrrev_i32_e32 v4, 31, v4
	;; [unrolled: 9-line block ×6, first 2 shown]
	v_xor_b32_e32 v5, vcc_hi, v4
	v_xor_b32_e32 v4, vcc_lo, v4
	ds_read_b32 v38, v39 offset:16
	v_and_b32_e32 v4, v42, v4
	v_and_b32_e32 v5, v0, v5
	v_mbcnt_lo_u32_b32 v0, v4, 0
	v_mbcnt_hi_u32_b32 v41, v5, v0
	v_cmp_eq_u32_e32 vcc, 0, v41
	v_cmp_ne_u64_e64 s[0:1], 0, v[4:5]
	s_and_b64 s[4:5], s[0:1], vcc
	; wave barrier
	s_and_saveexec_b64 s[0:1], s[4:5]
	s_cbranch_execz .LBB86_167
; %bb.166:
	v_bcnt_u32_b32 v0, v4, 0
	v_bcnt_u32_b32 v0, v5, v0
	s_waitcnt lgkmcnt(0)
	v_add_u32_e32 v0, v38, v0
	ds_write_b32 v39, v0 offset:16
.LBB86_167:
	s_or_b64 exec, exec, s[0:1]
	s_waitcnt vmcnt(4)
	v_xor_b32_e32 v40, 0x7fffffff, v40
	v_lshrrev_b32_e32 v0, s64, v40
	v_and_b32_e32 v44, s11, v0
	v_mul_lo_u32 v0, v44, 20
	v_lshl_add_u32 v43, v20, 2, v0
	v_and_b32_e32 v0, 1, v44
	v_lshl_add_u64 v[4:5], v[0:1], 0, -1
	v_cmp_ne_u32_e32 vcc, 0, v0
	; wave barrier
	s_nop 1
	v_xor_b32_e32 v4, vcc_lo, v4
	v_xor_b32_e32 v0, vcc_hi, v5
	v_and_b32_e32 v45, exec_lo, v4
	v_lshlrev_b32_e32 v5, 30, v44
	v_mov_b32_e32 v4, v1
	v_cmp_gt_i64_e32 vcc, 0, v[4:5]
	v_not_b32_e32 v4, v5
	v_ashrrev_i32_e32 v4, 31, v4
	v_and_b32_e32 v0, exec_hi, v0
	v_xor_b32_e32 v5, vcc_hi, v4
	v_xor_b32_e32 v4, vcc_lo, v4
	v_and_b32_e32 v0, v0, v5
	v_and_b32_e32 v45, v45, v4
	v_lshlrev_b32_e32 v5, 29, v44
	v_mov_b32_e32 v4, v1
	v_cmp_gt_i64_e32 vcc, 0, v[4:5]
	v_not_b32_e32 v4, v5
	v_ashrrev_i32_e32 v4, 31, v4
	v_xor_b32_e32 v5, vcc_hi, v4
	v_xor_b32_e32 v4, vcc_lo, v4
	v_and_b32_e32 v0, v0, v5
	v_and_b32_e32 v45, v45, v4
	v_lshlrev_b32_e32 v5, 28, v44
	v_mov_b32_e32 v4, v1
	v_cmp_gt_i64_e32 vcc, 0, v[4:5]
	v_not_b32_e32 v4, v5
	v_ashrrev_i32_e32 v4, 31, v4
	;; [unrolled: 9-line block ×5, first 2 shown]
	v_xor_b32_e32 v5, vcc_hi, v4
	v_xor_b32_e32 v4, vcc_lo, v4
	v_and_b32_e32 v0, v0, v5
	v_lshlrev_b32_e32 v5, 24, v44
	v_and_b32_e32 v45, v45, v4
	v_mov_b32_e32 v4, v1
	v_not_b32_e32 v1, v5
	v_cmp_gt_i64_e32 vcc, 0, v[4:5]
	v_ashrrev_i32_e32 v1, 31, v1
	ds_read_b32 v42, v43 offset:16
	v_xor_b32_e32 v4, vcc_hi, v1
	v_xor_b32_e32 v5, vcc_lo, v1
	v_and_b32_e32 v1, v0, v4
	v_and_b32_e32 v0, v45, v5
	v_mbcnt_lo_u32_b32 v4, v0, 0
	v_mbcnt_hi_u32_b32 v44, v1, v4
	v_cmp_eq_u32_e32 vcc, 0, v44
	v_cmp_ne_u64_e64 s[0:1], 0, v[0:1]
	s_and_b64 s[4:5], s[0:1], vcc
	; wave barrier
	s_and_saveexec_b64 s[0:1], s[4:5]
	s_cbranch_execz .LBB86_169
; %bb.168:
	v_bcnt_u32_b32 v0, v0, 0
	v_bcnt_u32_b32 v0, v1, v0
	s_waitcnt lgkmcnt(0)
	v_add_u32_e32 v0, v42, v0
	ds_write_b32 v43, v0 offset:16
.LBB86_169:
	s_or_b64 exec, exec, s[0:1]
	s_waitcnt vmcnt(3)
	v_xor_b32_e32 v35, 0x7fffffff, v35
	v_lshrrev_b32_e32 v0, s64, v35
	v_and_b32_e32 v47, s11, v0
	v_mul_lo_u32 v0, v47, 20
	v_lshl_add_u32 v46, v20, 2, v0
	v_and_b32_e32 v0, 1, v47
	v_mov_b32_e32 v1, 0
	v_lshl_add_u64 v[4:5], v[0:1], 0, -1
	v_cmp_ne_u32_e32 vcc, 0, v0
	; wave barrier
	s_nop 1
	v_xor_b32_e32 v4, vcc_lo, v4
	v_xor_b32_e32 v0, vcc_hi, v5
	v_and_b32_e32 v48, exec_lo, v4
	v_lshlrev_b32_e32 v5, 30, v47
	v_mov_b32_e32 v4, v1
	v_cmp_gt_i64_e32 vcc, 0, v[4:5]
	v_not_b32_e32 v4, v5
	v_ashrrev_i32_e32 v4, 31, v4
	v_and_b32_e32 v0, exec_hi, v0
	v_xor_b32_e32 v5, vcc_hi, v4
	v_xor_b32_e32 v4, vcc_lo, v4
	v_and_b32_e32 v0, v0, v5
	v_and_b32_e32 v48, v48, v4
	v_lshlrev_b32_e32 v5, 29, v47
	v_mov_b32_e32 v4, v1
	v_cmp_gt_i64_e32 vcc, 0, v[4:5]
	v_not_b32_e32 v4, v5
	v_ashrrev_i32_e32 v4, 31, v4
	v_xor_b32_e32 v5, vcc_hi, v4
	v_xor_b32_e32 v4, vcc_lo, v4
	v_and_b32_e32 v0, v0, v5
	v_and_b32_e32 v48, v48, v4
	v_lshlrev_b32_e32 v5, 28, v47
	v_mov_b32_e32 v4, v1
	v_cmp_gt_i64_e32 vcc, 0, v[4:5]
	v_not_b32_e32 v4, v5
	v_ashrrev_i32_e32 v4, 31, v4
	;; [unrolled: 9-line block ×6, first 2 shown]
	v_xor_b32_e32 v5, vcc_hi, v4
	v_xor_b32_e32 v4, vcc_lo, v4
	ds_read_b32 v45, v46 offset:16
	v_and_b32_e32 v4, v48, v4
	v_and_b32_e32 v5, v0, v5
	v_mbcnt_lo_u32_b32 v0, v4, 0
	v_mbcnt_hi_u32_b32 v47, v5, v0
	v_cmp_eq_u32_e32 vcc, 0, v47
	v_cmp_ne_u64_e64 s[0:1], 0, v[4:5]
	s_and_b64 s[4:5], s[0:1], vcc
	; wave barrier
	s_and_saveexec_b64 s[0:1], s[4:5]
	s_cbranch_execz .LBB86_171
; %bb.170:
	v_bcnt_u32_b32 v0, v4, 0
	v_bcnt_u32_b32 v0, v5, v0
	s_waitcnt lgkmcnt(0)
	v_add_u32_e32 v0, v45, v0
	ds_write_b32 v46, v0 offset:16
.LBB86_171:
	s_or_b64 exec, exec, s[0:1]
	s_waitcnt vmcnt(2)
	v_xor_b32_e32 v30, 0x7fffffff, v30
	v_lshrrev_b32_e32 v0, s64, v30
	v_and_b32_e32 v50, s11, v0
	v_mul_lo_u32 v0, v50, 20
	v_lshl_add_u32 v49, v20, 2, v0
	v_and_b32_e32 v0, 1, v50
	v_lshl_add_u64 v[4:5], v[0:1], 0, -1
	v_cmp_ne_u32_e32 vcc, 0, v0
	; wave barrier
	s_nop 1
	v_xor_b32_e32 v4, vcc_lo, v4
	v_xor_b32_e32 v0, vcc_hi, v5
	v_and_b32_e32 v51, exec_lo, v4
	v_lshlrev_b32_e32 v5, 30, v50
	v_mov_b32_e32 v4, v1
	v_cmp_gt_i64_e32 vcc, 0, v[4:5]
	v_not_b32_e32 v4, v5
	v_ashrrev_i32_e32 v4, 31, v4
	v_and_b32_e32 v0, exec_hi, v0
	v_xor_b32_e32 v5, vcc_hi, v4
	v_xor_b32_e32 v4, vcc_lo, v4
	v_and_b32_e32 v0, v0, v5
	v_and_b32_e32 v51, v51, v4
	v_lshlrev_b32_e32 v5, 29, v50
	v_mov_b32_e32 v4, v1
	v_cmp_gt_i64_e32 vcc, 0, v[4:5]
	v_not_b32_e32 v4, v5
	v_ashrrev_i32_e32 v4, 31, v4
	v_xor_b32_e32 v5, vcc_hi, v4
	v_xor_b32_e32 v4, vcc_lo, v4
	v_and_b32_e32 v0, v0, v5
	v_and_b32_e32 v51, v51, v4
	v_lshlrev_b32_e32 v5, 28, v50
	v_mov_b32_e32 v4, v1
	v_cmp_gt_i64_e32 vcc, 0, v[4:5]
	v_not_b32_e32 v4, v5
	v_ashrrev_i32_e32 v4, 31, v4
	;; [unrolled: 9-line block ×5, first 2 shown]
	v_xor_b32_e32 v5, vcc_hi, v4
	v_xor_b32_e32 v4, vcc_lo, v4
	v_and_b32_e32 v0, v0, v5
	v_lshlrev_b32_e32 v5, 24, v50
	v_and_b32_e32 v51, v51, v4
	v_mov_b32_e32 v4, v1
	v_not_b32_e32 v1, v5
	v_cmp_gt_i64_e32 vcc, 0, v[4:5]
	v_ashrrev_i32_e32 v1, 31, v1
	ds_read_b32 v48, v49 offset:16
	v_xor_b32_e32 v4, vcc_hi, v1
	v_xor_b32_e32 v5, vcc_lo, v1
	v_and_b32_e32 v1, v0, v4
	v_and_b32_e32 v0, v51, v5
	v_mbcnt_lo_u32_b32 v4, v0, 0
	v_mbcnt_hi_u32_b32 v51, v1, v4
	v_cmp_eq_u32_e32 vcc, 0, v51
	v_cmp_ne_u64_e64 s[0:1], 0, v[0:1]
	s_and_b64 s[4:5], s[0:1], vcc
	; wave barrier
	s_and_saveexec_b64 s[0:1], s[4:5]
	s_cbranch_execz .LBB86_173
; %bb.172:
	v_bcnt_u32_b32 v0, v0, 0
	v_bcnt_u32_b32 v0, v1, v0
	s_waitcnt lgkmcnt(0)
	v_add_u32_e32 v0, v48, v0
	ds_write_b32 v49, v0 offset:16
.LBB86_173:
	s_or_b64 exec, exec, s[0:1]
	s_waitcnt vmcnt(1)
	v_xor_b32_e32 v50, 0x7fffffff, v25
	v_lshrrev_b32_e32 v0, s64, v50
	v_and_b32_e32 v53, s11, v0
	v_mul_lo_u32 v0, v53, 20
	v_lshl_add_u32 v25, v20, 2, v0
	v_and_b32_e32 v0, 1, v53
	v_mov_b32_e32 v1, 0
	v_lshl_add_u64 v[4:5], v[0:1], 0, -1
	v_cmp_ne_u32_e32 vcc, 0, v0
	; wave barrier
	s_nop 1
	v_xor_b32_e32 v4, vcc_lo, v4
	v_xor_b32_e32 v0, vcc_hi, v5
	v_and_b32_e32 v54, exec_lo, v4
	v_lshlrev_b32_e32 v5, 30, v53
	v_mov_b32_e32 v4, v1
	v_cmp_gt_i64_e32 vcc, 0, v[4:5]
	v_not_b32_e32 v4, v5
	v_ashrrev_i32_e32 v4, 31, v4
	v_and_b32_e32 v0, exec_hi, v0
	v_xor_b32_e32 v5, vcc_hi, v4
	v_xor_b32_e32 v4, vcc_lo, v4
	v_and_b32_e32 v0, v0, v5
	v_and_b32_e32 v54, v54, v4
	v_lshlrev_b32_e32 v5, 29, v53
	v_mov_b32_e32 v4, v1
	v_cmp_gt_i64_e32 vcc, 0, v[4:5]
	v_not_b32_e32 v4, v5
	v_ashrrev_i32_e32 v4, 31, v4
	v_xor_b32_e32 v5, vcc_hi, v4
	v_xor_b32_e32 v4, vcc_lo, v4
	v_and_b32_e32 v0, v0, v5
	v_and_b32_e32 v54, v54, v4
	v_lshlrev_b32_e32 v5, 28, v53
	v_mov_b32_e32 v4, v1
	v_cmp_gt_i64_e32 vcc, 0, v[4:5]
	v_not_b32_e32 v4, v5
	v_ashrrev_i32_e32 v4, 31, v4
	;; [unrolled: 9-line block ×6, first 2 shown]
	v_xor_b32_e32 v5, vcc_hi, v4
	v_xor_b32_e32 v4, vcc_lo, v4
	ds_read_b32 v52, v25 offset:16
	v_and_b32_e32 v4, v54, v4
	v_and_b32_e32 v5, v0, v5
	v_mbcnt_lo_u32_b32 v0, v4, 0
	v_mbcnt_hi_u32_b32 v54, v5, v0
	v_cmp_eq_u32_e32 vcc, 0, v54
	v_cmp_ne_u64_e64 s[0:1], 0, v[4:5]
	s_and_b64 s[4:5], s[0:1], vcc
	; wave barrier
	s_and_saveexec_b64 s[0:1], s[4:5]
	s_cbranch_execz .LBB86_175
; %bb.174:
	v_bcnt_u32_b32 v0, v4, 0
	v_bcnt_u32_b32 v0, v5, v0
	s_waitcnt lgkmcnt(0)
	v_add_u32_e32 v0, v52, v0
	ds_write_b32 v25, v0 offset:16
.LBB86_175:
	s_or_b64 exec, exec, s[0:1]
	s_waitcnt vmcnt(0)
	v_xor_b32_e32 v53, 0x7fffffff, v19
	v_lshrrev_b32_e32 v0, s64, v53
	v_and_b32_e32 v56, s11, v0
	v_mul_lo_u32 v0, v56, 20
	v_lshl_add_u32 v19, v20, 2, v0
	v_and_b32_e32 v0, 1, v56
	v_lshl_add_u64 v[4:5], v[0:1], 0, -1
	v_cmp_ne_u32_e32 vcc, 0, v0
	; wave barrier
	s_nop 1
	v_xor_b32_e32 v4, vcc_lo, v4
	v_xor_b32_e32 v0, vcc_hi, v5
	v_and_b32_e32 v20, exec_lo, v4
	v_lshlrev_b32_e32 v5, 30, v56
	v_mov_b32_e32 v4, v1
	v_cmp_gt_i64_e32 vcc, 0, v[4:5]
	v_not_b32_e32 v4, v5
	v_ashrrev_i32_e32 v4, 31, v4
	v_and_b32_e32 v0, exec_hi, v0
	v_xor_b32_e32 v5, vcc_hi, v4
	v_xor_b32_e32 v4, vcc_lo, v4
	v_and_b32_e32 v0, v0, v5
	v_and_b32_e32 v20, v20, v4
	v_lshlrev_b32_e32 v5, 29, v56
	v_mov_b32_e32 v4, v1
	v_cmp_gt_i64_e32 vcc, 0, v[4:5]
	v_not_b32_e32 v4, v5
	v_ashrrev_i32_e32 v4, 31, v4
	v_xor_b32_e32 v5, vcc_hi, v4
	v_xor_b32_e32 v4, vcc_lo, v4
	v_and_b32_e32 v0, v0, v5
	v_and_b32_e32 v20, v20, v4
	v_lshlrev_b32_e32 v5, 28, v56
	v_mov_b32_e32 v4, v1
	v_cmp_gt_i64_e32 vcc, 0, v[4:5]
	v_not_b32_e32 v4, v5
	v_ashrrev_i32_e32 v4, 31, v4
	;; [unrolled: 9-line block ×5, first 2 shown]
	v_xor_b32_e32 v5, vcc_hi, v4
	v_xor_b32_e32 v4, vcc_lo, v4
	v_and_b32_e32 v0, v0, v5
	v_lshlrev_b32_e32 v5, 24, v56
	v_and_b32_e32 v20, v20, v4
	v_mov_b32_e32 v4, v1
	v_not_b32_e32 v1, v5
	v_cmp_gt_i64_e32 vcc, 0, v[4:5]
	v_ashrrev_i32_e32 v1, 31, v1
	ds_read_b32 v55, v19 offset:16
	v_xor_b32_e32 v4, vcc_hi, v1
	v_xor_b32_e32 v5, vcc_lo, v1
	v_and_b32_e32 v1, v0, v4
	v_and_b32_e32 v0, v20, v5
	v_mbcnt_lo_u32_b32 v4, v0, 0
	v_mbcnt_hi_u32_b32 v56, v1, v4
	v_cmp_eq_u32_e32 vcc, 0, v56
	v_cmp_ne_u64_e64 s[0:1], 0, v[0:1]
	s_and_b64 s[4:5], s[0:1], vcc
	; wave barrier
	s_and_saveexec_b64 s[0:1], s[4:5]
	s_cbranch_execz .LBB86_177
; %bb.176:
	v_bcnt_u32_b32 v0, v0, 0
	v_bcnt_u32_b32 v0, v1, v0
	s_waitcnt lgkmcnt(0)
	v_add_u32_e32 v0, v55, v0
	ds_write_b32 v19, v0 offset:16
.LBB86_177:
	s_or_b64 exec, exec, s[0:1]
	; wave barrier
	s_waitcnt lgkmcnt(0)
	s_barrier
	ds_read2_b32 v[4:5], v6 offset0:4 offset1:5
	ds_read2_b32 v[0:1], v6 offset0:6 offset1:7
	ds_read_b32 v20, v6 offset:32
	v_min_u32_e32 v8, 0xc0, v8
	v_or_b32_e32 v8, 63, v8
	s_waitcnt lgkmcnt(1)
	v_add3_u32 v57, v5, v4, v0
	s_waitcnt lgkmcnt(0)
	v_add3_u32 v20, v57, v1, v20
	v_and_b32_e32 v57, 15, v9
	v_cmp_ne_u32_e32 vcc, 0, v57
	v_mov_b32_dpp v58, v20 row_shr:1 row_mask:0xf bank_mask:0xf
	s_nop 0
	v_cndmask_b32_e32 v58, 0, v58, vcc
	v_add_u32_e32 v20, v58, v20
	v_cmp_lt_u32_e32 vcc, 1, v57
	s_nop 0
	v_mov_b32_dpp v58, v20 row_shr:2 row_mask:0xf bank_mask:0xf
	v_cndmask_b32_e32 v58, 0, v58, vcc
	v_add_u32_e32 v20, v20, v58
	v_cmp_lt_u32_e32 vcc, 3, v57
	s_nop 0
	v_mov_b32_dpp v58, v20 row_shr:4 row_mask:0xf bank_mask:0xf
	;; [unrolled: 5-line block ×3, first 2 shown]
	v_cndmask_b32_e32 v57, 0, v58, vcc
	v_add_u32_e32 v20, v20, v57
	v_bfe_i32 v58, v9, 4, 1
	v_cmp_lt_u32_e32 vcc, 31, v9
	v_mov_b32_dpp v57, v20 row_bcast:15 row_mask:0xf bank_mask:0xf
	v_and_b32_e32 v57, v58, v57
	v_add_u32_e32 v20, v20, v57
	s_nop 1
	v_mov_b32_dpp v57, v20 row_bcast:31 row_mask:0xf bank_mask:0xf
	v_cndmask_b32_e32 v57, 0, v57, vcc
	v_add_u32_e32 v20, v20, v57
	v_lshrrev_b32_e32 v57, 6, v2
	v_cmp_eq_u32_e32 vcc, v2, v8
	s_and_saveexec_b64 s[0:1], vcc
; %bb.178:
	v_lshlrev_b32_e32 v8, 2, v57
	ds_write_b32 v8, v20
; %bb.179:
	s_or_b64 exec, exec, s[0:1]
	v_cmp_gt_u32_e32 vcc, 4, v2
	v_lshlrev_b32_e32 v8, 2, v2
	s_waitcnt lgkmcnt(0)
	s_barrier
	s_and_saveexec_b64 s[0:1], vcc
	s_cbranch_execz .LBB86_181
; %bb.180:
	ds_read_b32 v58, v8
	v_and_b32_e32 v59, 3, v9
	v_cmp_ne_u32_e32 vcc, 0, v59
	s_waitcnt lgkmcnt(0)
	v_mov_b32_dpp v60, v58 row_shr:1 row_mask:0xf bank_mask:0xf
	v_cndmask_b32_e32 v60, 0, v60, vcc
	v_add_u32_e32 v58, v60, v58
	v_cmp_lt_u32_e32 vcc, 1, v59
	s_nop 0
	v_mov_b32_dpp v60, v58 row_shr:2 row_mask:0xf bank_mask:0xf
	v_cndmask_b32_e32 v59, 0, v60, vcc
	v_add_u32_e32 v58, v58, v59
	ds_write_b32 v8, v58
.LBB86_181:
	s_or_b64 exec, exec, s[0:1]
	v_cmp_lt_u32_e32 vcc, 63, v2
	v_mov_b32_e32 v58, 0
	s_waitcnt lgkmcnt(0)
	s_barrier
	s_and_saveexec_b64 s[0:1], vcc
; %bb.182:
	v_lshl_add_u32 v57, v57, 2, -4
	ds_read_b32 v58, v57
; %bb.183:
	s_or_b64 exec, exec, s[0:1]
	v_add_u32_e32 v57, -1, v9
	v_and_b32_e32 v59, 64, v9
	v_cmp_lt_i32_e32 vcc, v57, v59
	s_waitcnt lgkmcnt(0)
	v_add_u32_e32 v20, v58, v20
	s_movk_i32 s0, 0x100
	v_cndmask_b32_e32 v57, v57, v9, vcc
	v_lshlrev_b32_e32 v57, 2, v57
	ds_bpermute_b32 v20, v57, v20
	v_cmp_eq_u32_e32 vcc, 0, v9
	s_waitcnt lgkmcnt(0)
	s_nop 0
	v_cndmask_b32_e32 v20, v20, v58, vcc
	v_cmp_ne_u32_e32 vcc, 0, v2
	s_nop 1
	v_cndmask_b32_e32 v20, 0, v20, vcc
	v_add_u32_e32 v4, v20, v4
	v_add_u32_e32 v5, v4, v5
	;; [unrolled: 1-line block ×4, first 2 shown]
	ds_write2_b32 v6, v20, v4 offset0:4 offset1:5
	ds_write2_b32 v6, v5, v0 offset0:6 offset1:7
	ds_write_b32 v6, v1 offset:32
	s_waitcnt lgkmcnt(0)
	s_barrier
	ds_read_b32 v4, v43 offset:16
	ds_read_b32 v5, v46 offset:16
	;; [unrolled: 1-line block ×13, first 2 shown]
	v_add_u32_e32 v6, 1, v2
	v_cmp_ne_u32_e32 vcc, s0, v6
	v_mov_b32_e32 v1, 0xc00
	s_and_saveexec_b64 s[0:1], vcc
; %bb.184:
	v_mul_u32_u24_e32 v1, 20, v6
	ds_read_b32 v1, v1 offset:16
; %bb.185:
	s_or_b64 exec, exec, s[0:1]
	s_waitcnt lgkmcnt(7)
	v_add_u32_e32 v29, v10, v12
	s_waitcnt lgkmcnt(6)
	v_add3_u32 v25, v16, v13, v14
	s_waitcnt lgkmcnt(5)
	v_add3_u32 v24, v22, v17, v18
	v_add3_u32 v18, v44, v42, v4
	v_lshlrev_b32_e32 v4, 2, v29
	s_waitcnt lgkmcnt(0)
	s_barrier
	ds_write_b32 v4, v7 offset:2048
	v_lshlrev_b32_e32 v4, 2, v25
	v_add3_u32 v23, v27, v23, v19
	ds_write_b32 v4, v11 offset:2048
	v_lshlrev_b32_e32 v4, 2, v24
	v_add3_u32 v22, v32, v28, v20
	;; [unrolled: 3-line block ×4, first 2 shown]
	ds_write_b32 v4, v26 offset:2048
	v_lshlrev_b32_e32 v4, 2, v20
	ds_write_b32 v4, v31 offset:2048
	v_lshlrev_b32_e32 v4, 2, v19
	v_add3_u32 v17, v47, v45, v5
	ds_write_b32 v4, v36 offset:2048
	v_lshlrev_b32_e32 v4, 2, v18
	v_add3_u32 v16, v51, v48, v43
	;; [unrolled: 3-line block ×4, first 2 shown]
	ds_write_b32 v4, v30 offset:2048
	v_lshlrev_b32_e32 v4, 2, v14
	ds_write_b32 v4, v50 offset:2048
	v_lshlrev_b32_e32 v4, 2, v5
	ds_write_b32 v4, v53 offset:2048
	v_sub_u32_e32 v4, v1, v0
	v_lshl_add_u32 v6, s2, 8, v2
	v_mov_b32_e32 v7, 0
	v_lshl_add_u64 v[10:11], v[6:7], 2, s[70:71]
	v_or_b32_e32 v1, 2.0, v4
	s_mov_b64 s[0:1], 0
	s_brev_b32 s8, -4
	v_mov_b32_e32 v15, 0
	s_waitcnt lgkmcnt(0)
	s_barrier
	global_store_dword v[10:11], v1, off sc1
                                        ; implicit-def: $sgpr4_sgpr5
	s_branch .LBB86_188
.LBB86_186:                             ;   in Loop: Header=BB86_188 Depth=1
	s_or_b64 exec, exec, s[6:7]
.LBB86_187:                             ;   in Loop: Header=BB86_188 Depth=1
	s_or_b64 exec, exec, s[4:5]
	v_and_b32_e32 v6, 0x3fffffff, v1
	v_add_u32_e32 v15, v6, v15
	v_cmp_gt_i32_e64 s[4:5], -2.0, v1
	s_and_b64 s[6:7], exec, s[4:5]
	s_or_b64 s[0:1], s[6:7], s[0:1]
	s_andn2_b64 exec, exec, s[0:1]
	s_cbranch_execz .LBB86_193
.LBB86_188:                             ; =>This Loop Header: Depth=1
                                        ;     Child Loop BB86_191 Depth 2
	s_or_b64 s[4:5], s[4:5], exec
	s_cmp_eq_u32 s3, 0
	s_cbranch_scc1 .LBB86_192
; %bb.189:                              ;   in Loop: Header=BB86_188 Depth=1
	s_add_i32 s3, s3, -1
	v_lshl_add_u32 v6, s3, 8, v2
	v_lshl_add_u64 v[12:13], v[6:7], 2, s[70:71]
	global_load_dword v1, v[12:13], off sc1
	s_waitcnt vmcnt(0)
	v_cmp_gt_u32_e32 vcc, 2.0, v1
	s_and_saveexec_b64 s[4:5], vcc
	s_cbranch_execz .LBB86_187
; %bb.190:                              ;   in Loop: Header=BB86_188 Depth=1
	s_mov_b64 s[6:7], 0
.LBB86_191:                             ;   Parent Loop BB86_188 Depth=1
                                        ; =>  This Inner Loop Header: Depth=2
	global_load_dword v1, v[12:13], off sc1
	s_waitcnt vmcnt(0)
	v_cmp_lt_u32_e32 vcc, s8, v1
	s_or_b64 s[6:7], vcc, s[6:7]
	s_andn2_b64 exec, exec, s[6:7]
	s_cbranch_execnz .LBB86_191
	s_branch .LBB86_186
.LBB86_192:                             ;   in Loop: Header=BB86_188 Depth=1
                                        ; implicit-def: $sgpr3
	s_and_b64 s[6:7], exec, s[4:5]
	s_or_b64 s[0:1], s[6:7], s[0:1]
	s_andn2_b64 exec, exec, s[0:1]
	s_cbranch_execnz .LBB86_188
.LBB86_193:
	s_or_b64 exec, exec, s[0:1]
	v_add_u32_e32 v1, v15, v4
	v_or_b32_e32 v1, 0x80000000, v1
	v_lshlrev_b32_e32 v6, 3, v2
	global_store_dword v[10:11], v1, off sc1
	global_load_dwordx2 v[10:11], v6, s[60:61]
	v_sub_co_u32_e32 v12, vcc, v15, v0
	v_mov_b32_e32 v1, 0
	s_nop 0
	v_subb_co_u32_e64 v13, s[0:1], 0, 0, vcc
	s_lshl_b64 s[0:1], s[68:69], 3
	s_add_u32 s0, s56, s0
	v_lshlrev_b32_e32 v26, 3, v9
	v_mov_b32_e32 v27, v1
	s_addc_u32 s1, s57, s1
	v_lshlrev_b32_e32 v30, 3, v3
	v_sub_u32_e32 v3, v6, v8
	v_mov_b32_e32 v31, v1
	v_lshl_add_u64 v[26:27], s[0:1], 0, v[26:27]
	v_lshl_add_u64 v[26:27], v[26:27], 0, v[30:31]
	v_or_b32_e32 v21, 0x400, v2
	v_add_u32_e32 v28, 0x500, v2
	v_mov_b32_e32 v9, v1
	v_lshlrev_b32_e32 v32, 2, v21
	v_mov_b32_e32 v33, v1
	v_lshlrev_b32_e32 v34, 2, v28
	v_mov_b32_e32 v35, v1
	s_movk_i32 s0, 0x1000
	v_add_u32_e32 v60, 0x600, v2
	v_lshlrev_b32_e32 v36, 2, v60
	v_or_b32_e32 v69, 0x800, v2
	v_mov_b32_e32 v7, v1
	s_add_i32 s10, s10, -1
	s_cmp_lg_u32 s2, s10
	s_waitcnt vmcnt(0)
	v_lshl_add_u64 v[10:11], v[12:13], 0, v[10:11]
	ds_write_b64 v6, v[10:11]
	s_waitcnt lgkmcnt(0)
	s_barrier
	ds_read2st64_b32 v[10:11], v3 offset0:8 offset1:12
	ds_read2st64_b32 v[12:13], v3 offset0:16 offset1:20
	;; [unrolled: 1-line block ×4, first 2 shown]
	global_load_dwordx2 v[40:41], v[26:27], off
	global_load_dwordx2 v[42:43], v[26:27], off offset:512
	global_load_dwordx2 v[44:45], v[26:27], off offset:1024
	s_waitcnt lgkmcnt(3)
	v_lshrrev_b32_e32 v15, s64, v10
	v_xor_b32_e32 v37, 0x7fffffff, v10
	v_lshrrev_b32_e32 v10, s64, v11
	v_xor_b32_e32 v56, 0x7fffffff, v11
	s_waitcnt lgkmcnt(2)
	v_lshrrev_b32_e32 v11, s64, v12
	v_xor_b32_e32 v57, 0x7fffffff, v12
	v_lshrrev_b32_e32 v12, s64, v13
	v_xor_b32_e32 v58, 0x7fffffff, v13
	;; [unrolled: 5-line block ×3, first 2 shown]
	s_waitcnt lgkmcnt(0)
	v_lshrrev_b32_e32 v31, s64, v38
	v_lshrrev_b32_e32 v46, s64, v39
	v_and_b32_e32 v15, s11, v15
	v_and_b32_e32 v10, s11, v10
	;; [unrolled: 1-line block ×8, first 2 shown]
	v_lshlrev_b32_e32 v15, 3, v15
	v_lshlrev_b32_e32 v62, 3, v10
	;; [unrolled: 1-line block ×8, first 2 shown]
	ds_read_b64 v[10:11], v15
	ds_read_b64 v[12:13], v62
	;; [unrolled: 1-line block ×8, first 2 shown]
	s_waitcnt lgkmcnt(7)
	v_lshl_add_u64 v[10:11], v[10:11], 2, s[54:55]
	s_waitcnt lgkmcnt(6)
	v_lshl_add_u64 v[12:13], v[12:13], 2, s[54:55]
	;; [unrolled: 2-line block ×6, first 2 shown]
	v_lshl_add_u64 v[10:11], v[10:11], 0, v[8:9]
	v_lshl_add_u64 v[12:13], v[12:13], 0, v[8:9]
	;; [unrolled: 1-line block ×6, first 2 shown]
	global_store_dword v[10:11], v37, off
	global_store_dword v[12:13], v56, off offset:1024
	global_store_dword v[30:31], v57, off offset:2048
	;; [unrolled: 1-line block ×3, first 2 shown]
	global_store_dword v[32:33], v59, off
	global_store_dword v[34:35], v61, off
	global_load_dwordx2 v[8:9], v[26:27], off offset:1536
	s_nop 0
	global_load_dwordx2 v[10:11], v[26:27], off offset:2048
	global_load_dwordx2 v[12:13], v[26:27], off offset:2560
	;; [unrolled: 1-line block ×4, first 2 shown]
	v_add_co_u32_e32 v26, vcc, s0, v26
	ds_read2st64_b32 v[50:51], v3 offset0:40 offset1:44
	s_nop 0
	v_addc_co_u32_e32 v27, vcc, 0, v27, vcc
	global_load_dwordx2 v[34:35], v[26:27], off
	global_load_dwordx2 v[46:47], v[26:27], off offset:512
	global_load_dwordx2 v[48:49], v[26:27], off offset:1024
	s_waitcnt lgkmcnt(2)
	v_lshl_add_u64 v[52:53], v[52:53], 2, s[54:55]
	global_load_dwordx2 v[26:27], v[26:27], off offset:1536
	v_mov_b32_e32 v37, v1
	v_xor_b32_e32 v38, 0x7fffffff, v38
	v_lshl_add_u64 v[36:37], v[52:53], 0, v[36:37]
	v_add_u32_e32 v61, 0x700, v2
	global_store_dword v[36:37], v38, off
	v_xor_b32_e32 v52, 0x7fffffff, v39
	s_waitcnt lgkmcnt(1)
	v_lshl_add_u64 v[36:37], v[54:55], 2, s[54:55]
	v_lshlrev_b32_e32 v38, 2, v61
	v_mov_b32_e32 v39, v1
	v_lshl_add_u64 v[36:37], v[36:37], 0, v[38:39]
	global_store_dword v[36:37], v52, off
	s_waitcnt lgkmcnt(0)
	v_lshrrev_b32_e32 v36, s64, v50
	v_and_b32_e32 v36, s11, v36
	v_lshlrev_b32_e32 v70, 3, v36
	ds_read2st64_b32 v[36:37], v3 offset0:48 offset1:52
	ds_read_b64 v[38:39], v70
	v_lshrrev_b32_e32 v3, s64, v51
	v_and_b32_e32 v3, s11, v3
	v_lshlrev_b32_e32 v71, 3, v3
	s_waitcnt lgkmcnt(1)
	v_lshrrev_b32_e32 v3, s64, v36
	v_and_b32_e32 v3, s11, v3
	v_lshlrev_b32_e32 v72, 3, v3
	v_lshrrev_b32_e32 v3, s64, v37
	v_and_b32_e32 v3, s11, v3
	v_lshlrev_b32_e32 v73, 3, v3
	ds_read_b64 v[52:53], v71
	ds_read_b64 v[54:55], v72
	;; [unrolled: 1-line block ×3, first 2 shown]
	s_waitcnt lgkmcnt(3)
	v_lshl_add_u64 v[38:39], v[38:39], 2, s[54:55]
	v_lshlrev_b32_e32 v58, 2, v69
	v_mov_b32_e32 v59, v1
	v_xor_b32_e32 v50, 0x7fffffff, v50
	v_lshl_add_u64 v[38:39], v[38:39], 0, v[58:59]
	v_add_u32_e32 v58, 0x900, v2
	global_store_dword v[38:39], v50, off
	v_xor_b32_e32 v3, 0x7fffffff, v51
	s_waitcnt lgkmcnt(2)
	v_lshl_add_u64 v[38:39], v[52:53], 2, s[54:55]
	v_lshlrev_b32_e32 v50, 2, v58
	v_mov_b32_e32 v51, v1
	v_lshl_add_u64 v[38:39], v[38:39], 0, v[50:51]
	v_add_u32_e32 v52, 0xa00, v2
	global_store_dword v[38:39], v3, off
	s_waitcnt lgkmcnt(1)
	v_lshl_add_u64 v[38:39], v[54:55], 2, s[54:55]
	v_lshlrev_b32_e32 v50, 2, v52
	v_xor_b32_e32 v3, 0x7fffffff, v36
	v_lshl_add_u64 v[38:39], v[38:39], 0, v[50:51]
	global_store_dword v[38:39], v3, off
	v_add_u32_e32 v38, 0xb00, v2
	v_xor_b32_e32 v39, 0x7fffffff, v37
	s_waitcnt lgkmcnt(0)
	v_lshl_add_u64 v[2:3], v[56:57], 2, s[54:55]
	v_lshlrev_b32_e32 v36, 2, v38
	v_mov_b32_e32 v37, v1
	v_lshl_add_u64 v[2:3], v[2:3], 0, v[36:37]
	global_store_dword v[2:3], v39, off
	v_lshlrev_b32_e32 v2, 3, v29
	s_barrier
	s_waitcnt vmcnt(23)
	ds_write_b64 v2, v[40:41] offset:2048
	v_lshlrev_b32_e32 v2, 3, v25
	s_waitcnt vmcnt(22)
	ds_write_b64 v2, v[42:43] offset:2048
	v_lshlrev_b32_e32 v2, 3, v24
	s_waitcnt vmcnt(21)
	ds_write_b64 v2, v[44:45] offset:2048
	v_lshlrev_b32_e32 v2, 3, v23
	s_waitcnt vmcnt(14)
	ds_write_b64 v2, v[8:9] offset:2048
	v_lshlrev_b32_e32 v2, 3, v22
	s_waitcnt vmcnt(13)
	ds_write_b64 v2, v[10:11] offset:2048
	v_lshlrev_b32_e32 v2, 3, v20
	s_waitcnt vmcnt(12)
	ds_write_b64 v2, v[12:13] offset:2048
	v_lshlrev_b32_e32 v2, 3, v19
	s_waitcnt vmcnt(11)
	ds_write_b64 v2, v[30:31] offset:2048
	v_lshlrev_b32_e32 v2, 3, v18
	s_waitcnt vmcnt(10)
	ds_write_b64 v2, v[32:33] offset:2048
	v_lshlrev_b32_e32 v2, 3, v17
	s_waitcnt vmcnt(9)
	ds_write_b64 v2, v[34:35] offset:2048
	v_lshlrev_b32_e32 v2, 3, v16
	s_waitcnt vmcnt(8)
	ds_write_b64 v2, v[46:47] offset:2048
	v_lshlrev_b32_e32 v2, 3, v14
	s_waitcnt vmcnt(7)
	ds_write_b64 v2, v[48:49] offset:2048
	v_lshlrev_b32_e32 v2, 3, v5
	s_waitcnt vmcnt(6)
	ds_write_b64 v2, v[26:27] offset:2048
	s_waitcnt lgkmcnt(0)
	s_barrier
	ds_read_b64 v[2:3], v15
	ds_read2st64_b64 v[8:11], v6 offset0:4 offset1:8
	ds_read_b64 v[12:13], v62
	ds_read_b64 v[14:15], v63
	;; [unrolled: 1-line block ×3, first 2 shown]
	s_waitcnt lgkmcnt(4)
	v_lshl_add_u64 v[2:3], v[2:3], 3, s[58:59]
	v_lshl_add_u64 v[2:3], v[2:3], 0, v[6:7]
	s_waitcnt lgkmcnt(3)
	global_store_dwordx2 v[2:3], v[8:9], off
	s_waitcnt lgkmcnt(2)
	v_lshl_add_u64 v[2:3], v[12:13], 3, s[58:59]
	v_lshl_add_u64 v[2:3], v[2:3], 0, v[6:7]
	global_store_dwordx2 v[2:3], v[10:11], off offset:2048
	ds_read2st64_b64 v[8:11], v6 offset0:12 offset1:16
	s_waitcnt lgkmcnt(2)
	v_lshl_add_u64 v[2:3], v[14:15], 3, s[58:59]
	v_add_u32_e32 v12, 0x1000, v6
	v_mov_b32_e32 v13, v1
	v_lshl_add_u64 v[2:3], v[2:3], 0, v[12:13]
	s_waitcnt lgkmcnt(0)
	global_store_dwordx2 v[2:3], v[8:9], off
	v_lshl_add_u64 v[2:3], v[16:17], 3, s[58:59]
	v_add_u32_e32 v8, 0x1800, v6
	v_mov_b32_e32 v9, v1
	v_lshl_add_u64 v[2:3], v[2:3], 0, v[8:9]
	global_store_dwordx2 v[2:3], v[10:11], off
	ds_read_b64 v[2:3], v65
	ds_read2st64_b64 v[8:11], v6 offset0:20 offset1:24
	ds_read_b64 v[12:13], v66
	ds_read_b64 v[14:15], v67
	;; [unrolled: 1-line block ×3, first 2 shown]
	s_waitcnt lgkmcnt(4)
	v_lshl_add_u64 v[2:3], v[2:3], 3, s[58:59]
	v_lshlrev_b32_e32 v18, 3, v21
	v_mov_b32_e32 v19, v1
	v_lshl_add_u64 v[2:3], v[2:3], 0, v[18:19]
	s_waitcnt lgkmcnt(3)
	global_store_dwordx2 v[2:3], v[8:9], off
	s_waitcnt lgkmcnt(2)
	v_lshl_add_u64 v[2:3], v[12:13], 3, s[58:59]
	v_lshlrev_b32_e32 v8, 3, v28
	v_mov_b32_e32 v9, v1
	v_lshl_add_u64 v[2:3], v[2:3], 0, v[8:9]
	global_store_dwordx2 v[2:3], v[10:11], off
	ds_read2st64_b64 v[8:11], v6 offset0:28 offset1:32
	s_waitcnt lgkmcnt(2)
	v_lshl_add_u64 v[2:3], v[14:15], 3, s[58:59]
	v_lshlrev_b32_e32 v12, 3, v60
	v_mov_b32_e32 v13, v1
	v_lshl_add_u64 v[2:3], v[2:3], 0, v[12:13]
	s_waitcnt lgkmcnt(0)
	global_store_dwordx2 v[2:3], v[8:9], off
	v_lshl_add_u64 v[2:3], v[16:17], 3, s[58:59]
	v_lshlrev_b32_e32 v8, 3, v61
	v_mov_b32_e32 v9, v1
	v_lshl_add_u64 v[2:3], v[2:3], 0, v[8:9]
	global_store_dwordx2 v[2:3], v[10:11], off
	ds_read_b64 v[2:3], v70
	ds_read2st64_b64 v[8:11], v6 offset0:36 offset1:40
	ds_read_b64 v[12:13], v71
	ds_read_b64 v[14:15], v72
	;; [unrolled: 1-line block ×3, first 2 shown]
	s_waitcnt lgkmcnt(4)
	v_lshl_add_u64 v[2:3], v[2:3], 3, s[58:59]
	v_lshlrev_b32_e32 v18, 3, v69
	v_lshl_add_u64 v[2:3], v[2:3], 0, v[18:19]
	s_waitcnt lgkmcnt(3)
	global_store_dwordx2 v[2:3], v[8:9], off
	s_waitcnt lgkmcnt(2)
	v_lshl_add_u64 v[2:3], v[12:13], 3, s[58:59]
	v_lshlrev_b32_e32 v8, 3, v58
	v_mov_b32_e32 v9, v1
	v_lshl_add_u64 v[2:3], v[2:3], 0, v[8:9]
	global_store_dwordx2 v[2:3], v[10:11], off
	ds_read2st64_b64 v[8:11], v6 offset0:44 offset1:48
	s_waitcnt lgkmcnt(2)
	v_lshl_add_u64 v[2:3], v[14:15], 3, s[58:59]
	v_lshlrev_b32_e32 v12, 3, v52
	v_mov_b32_e32 v13, v1
	v_lshl_add_u64 v[2:3], v[2:3], 0, v[12:13]
	s_waitcnt lgkmcnt(0)
	global_store_dwordx2 v[2:3], v[8:9], off
	v_lshl_add_u64 v[2:3], v[16:17], 3, s[58:59]
	v_lshlrev_b32_e32 v8, 3, v38
	v_mov_b32_e32 v9, v1
	v_lshl_add_u64 v[2:3], v[2:3], 0, v[8:9]
	global_store_dwordx2 v[2:3], v[10:11], off
	s_cbranch_scc1 .LBB86_195
; %bb.194:
	ds_read_b64 v[2:3], v6
	v_mov_b32_e32 v5, v1
	v_lshl_add_u64 v[0:1], v[4:5], 0, v[0:1]
	s_waitcnt lgkmcnt(0)
	v_lshl_add_u64 v[0:1], v[0:1], 0, v[2:3]
	global_store_dwordx2 v6, v[0:1], s[62:63]
.LBB86_195:
	s_endpgm
.LBB86_196:
	s_or_b64 exec, exec, s[4:5]
	s_and_saveexec_b64 s[4:5], s[26:27]
	s_cbranch_execz .LBB86_139
.LBB86_197:
	v_lshlrev_b32_e32 v2, 3, v38
	ds_read_b64 v[22:23], v2
	ds_read_b64 v[24:25], v8 offset:4096
	v_mov_b32_e32 v9, 0
	s_waitcnt lgkmcnt(1)
	v_lshl_add_u64 v[22:23], v[22:23], 3, s[58:59]
	v_lshl_add_u64 v[22:23], v[22:23], 0, v[8:9]
	s_waitcnt lgkmcnt(0)
	global_store_dwordx2 v[22:23], v[24:25], off offset:2048
	s_or_b64 exec, exec, s[4:5]
	s_and_saveexec_b64 s[4:5], s[28:29]
	s_cbranch_execnz .LBB86_140
.LBB86_198:
	s_or_b64 exec, exec, s[4:5]
	s_and_saveexec_b64 s[4:5], s[30:31]
	s_cbranch_execz .LBB86_141
.LBB86_199:
	v_lshlrev_b32_e32 v2, 3, v36
	ds_read_b64 v[22:23], v2
	ds_read_b64 v[24:25], v8 offset:8192
	v_lshlrev_b32_e32 v12, 3, v13
	v_mov_b32_e32 v13, 0
	s_waitcnt lgkmcnt(1)
	v_lshl_add_u64 v[22:23], v[22:23], 3, s[58:59]
	v_lshl_add_u64 v[12:13], v[22:23], 0, v[12:13]
	s_waitcnt lgkmcnt(0)
	global_store_dwordx2 v[12:13], v[24:25], off
	s_or_b64 exec, exec, s[4:5]
	s_and_saveexec_b64 s[4:5], s[34:35]
	s_cbranch_execnz .LBB86_142
.LBB86_200:
	s_or_b64 exec, exec, s[4:5]
	s_and_saveexec_b64 s[4:5], s[36:37]
	s_cbranch_execz .LBB86_143
.LBB86_201:
	v_lshlrev_b32_e32 v2, 3, v34
	ds_read_b64 v[12:13], v2
	ds_read_b64 v[22:23], v8 offset:12288
	v_lshlrev_b32_e32 v24, 3, v16
	v_mov_b32_e32 v25, 0
	s_waitcnt lgkmcnt(1)
	v_lshl_add_u64 v[12:13], v[12:13], 3, s[58:59]
	v_lshl_add_u64 v[12:13], v[12:13], 0, v[24:25]
	s_waitcnt lgkmcnt(0)
	global_store_dwordx2 v[12:13], v[22:23], off
	s_or_b64 exec, exec, s[4:5]
	s_and_saveexec_b64 s[4:5], s[38:39]
	s_cbranch_execnz .LBB86_144
.LBB86_202:
	s_or_b64 exec, exec, s[4:5]
	s_and_saveexec_b64 s[4:5], s[40:41]
	s_cbranch_execz .LBB86_145
.LBB86_203:
	v_lshlrev_b32_e32 v2, 3, v11
	ds_read_b64 v[12:13], v2
	ds_read_b64 v[16:17], v8 offset:16384
	v_lshlrev_b32_e32 v18, 3, v18
	v_mov_b32_e32 v19, 0
	s_waitcnt lgkmcnt(1)
	v_lshl_add_u64 v[12:13], v[12:13], 3, s[58:59]
	v_lshl_add_u64 v[12:13], v[12:13], 0, v[18:19]
	s_waitcnt lgkmcnt(0)
	global_store_dwordx2 v[12:13], v[16:17], off
	s_or_b64 exec, exec, s[4:5]
	s_and_saveexec_b64 s[4:5], s[42:43]
	s_cbranch_execnz .LBB86_146
.LBB86_204:
	s_or_b64 exec, exec, s[4:5]
	s_and_saveexec_b64 s[4:5], s[44:45]
	s_cbranch_execz .LBB86_147
.LBB86_205:
	v_lshlrev_b32_e32 v2, 3, v10
	ds_read_b64 v[10:11], v2
	ds_read_b64 v[12:13], v8 offset:20480
	v_lshlrev_b32_e32 v16, 3, v21
	v_mov_b32_e32 v17, 0
	s_waitcnt lgkmcnt(1)
	v_lshl_add_u64 v[10:11], v[10:11], 3, s[58:59]
	v_lshl_add_u64 v[10:11], v[10:11], 0, v[16:17]
	s_waitcnt lgkmcnt(0)
	global_store_dwordx2 v[10:11], v[12:13], off
	s_or_b64 exec, exec, s[4:5]
	s_and_saveexec_b64 s[4:5], s[46:47]
	s_cbranch_execnz .LBB86_148
.LBB86_206:
	s_or_b64 exec, exec, s[4:5]
	s_and_saveexec_b64 s[4:5], s[48:49]
	s_cbranch_execz .LBB86_149
.LBB86_207:
	v_lshlrev_b32_e32 v2, 3, v3
	ds_read_b64 v[2:3], v2
	ds_read_b64 v[10:11], v8 offset:24576
	v_lshlrev_b32_e32 v12, 3, v31
	v_mov_b32_e32 v13, 0
	s_waitcnt lgkmcnt(1)
	v_lshl_add_u64 v[2:3], v[2:3], 3, s[58:59]
	v_lshl_add_u64 v[2:3], v[2:3], 0, v[12:13]
	s_waitcnt lgkmcnt(0)
	global_store_dwordx2 v[2:3], v[10:11], off
	s_or_b64 exec, exec, s[4:5]
	s_add_i32 s33, s33, -1
	s_cmp_eq_u32 s2, s33
	s_cbranch_scc1 .LBB86_150
	s_branch .LBB86_151
	.section	.rodata,"a",@progbits
	.p2align	6, 0x0
	.amdhsa_kernel _ZN7rocprim17ROCPRIM_304000_NS6detail25onesweep_iteration_kernelINS1_34wrapped_radix_sort_onesweep_configINS0_14default_configEiN2at4cuda3cub6detail10OpaqueTypeILi8EEEEELb1EPKiPiPKSA_PSA_mNS0_19identity_decomposerEEEvT1_T2_T3_T4_jPT5_SO_PNS1_23onesweep_lookback_stateET6_jjj
		.amdhsa_group_segment_fixed_size 26624
		.amdhsa_private_segment_fixed_size 0
		.amdhsa_kernarg_size 336
		.amdhsa_user_sgpr_count 2
		.amdhsa_user_sgpr_dispatch_ptr 0
		.amdhsa_user_sgpr_queue_ptr 0
		.amdhsa_user_sgpr_kernarg_segment_ptr 1
		.amdhsa_user_sgpr_dispatch_id 0
		.amdhsa_user_sgpr_kernarg_preload_length 0
		.amdhsa_user_sgpr_kernarg_preload_offset 0
		.amdhsa_user_sgpr_private_segment_size 0
		.amdhsa_uses_dynamic_stack 0
		.amdhsa_enable_private_segment 0
		.amdhsa_system_sgpr_workgroup_id_x 1
		.amdhsa_system_sgpr_workgroup_id_y 0
		.amdhsa_system_sgpr_workgroup_id_z 0
		.amdhsa_system_sgpr_workgroup_info 0
		.amdhsa_system_vgpr_workitem_id 2
		.amdhsa_next_free_vgpr 74
		.amdhsa_next_free_sgpr 91
		.amdhsa_accum_offset 76
		.amdhsa_reserve_vcc 1
		.amdhsa_float_round_mode_32 0
		.amdhsa_float_round_mode_16_64 0
		.amdhsa_float_denorm_mode_32 3
		.amdhsa_float_denorm_mode_16_64 3
		.amdhsa_dx10_clamp 1
		.amdhsa_ieee_mode 1
		.amdhsa_fp16_overflow 0
		.amdhsa_tg_split 0
		.amdhsa_exception_fp_ieee_invalid_op 0
		.amdhsa_exception_fp_denorm_src 0
		.amdhsa_exception_fp_ieee_div_zero 0
		.amdhsa_exception_fp_ieee_overflow 0
		.amdhsa_exception_fp_ieee_underflow 0
		.amdhsa_exception_fp_ieee_inexact 0
		.amdhsa_exception_int_div_zero 0
	.end_amdhsa_kernel
	.section	.text._ZN7rocprim17ROCPRIM_304000_NS6detail25onesweep_iteration_kernelINS1_34wrapped_radix_sort_onesweep_configINS0_14default_configEiN2at4cuda3cub6detail10OpaqueTypeILi8EEEEELb1EPKiPiPKSA_PSA_mNS0_19identity_decomposerEEEvT1_T2_T3_T4_jPT5_SO_PNS1_23onesweep_lookback_stateET6_jjj,"axG",@progbits,_ZN7rocprim17ROCPRIM_304000_NS6detail25onesweep_iteration_kernelINS1_34wrapped_radix_sort_onesweep_configINS0_14default_configEiN2at4cuda3cub6detail10OpaqueTypeILi8EEEEELb1EPKiPiPKSA_PSA_mNS0_19identity_decomposerEEEvT1_T2_T3_T4_jPT5_SO_PNS1_23onesweep_lookback_stateET6_jjj,comdat
.Lfunc_end86:
	.size	_ZN7rocprim17ROCPRIM_304000_NS6detail25onesweep_iteration_kernelINS1_34wrapped_radix_sort_onesweep_configINS0_14default_configEiN2at4cuda3cub6detail10OpaqueTypeILi8EEEEELb1EPKiPiPKSA_PSA_mNS0_19identity_decomposerEEEvT1_T2_T3_T4_jPT5_SO_PNS1_23onesweep_lookback_stateET6_jjj, .Lfunc_end86-_ZN7rocprim17ROCPRIM_304000_NS6detail25onesweep_iteration_kernelINS1_34wrapped_radix_sort_onesweep_configINS0_14default_configEiN2at4cuda3cub6detail10OpaqueTypeILi8EEEEELb1EPKiPiPKSA_PSA_mNS0_19identity_decomposerEEEvT1_T2_T3_T4_jPT5_SO_PNS1_23onesweep_lookback_stateET6_jjj
                                        ; -- End function
	.set _ZN7rocprim17ROCPRIM_304000_NS6detail25onesweep_iteration_kernelINS1_34wrapped_radix_sort_onesweep_configINS0_14default_configEiN2at4cuda3cub6detail10OpaqueTypeILi8EEEEELb1EPKiPiPKSA_PSA_mNS0_19identity_decomposerEEEvT1_T2_T3_T4_jPT5_SO_PNS1_23onesweep_lookback_stateET6_jjj.num_vgpr, 74
	.set _ZN7rocprim17ROCPRIM_304000_NS6detail25onesweep_iteration_kernelINS1_34wrapped_radix_sort_onesweep_configINS0_14default_configEiN2at4cuda3cub6detail10OpaqueTypeILi8EEEEELb1EPKiPiPKSA_PSA_mNS0_19identity_decomposerEEEvT1_T2_T3_T4_jPT5_SO_PNS1_23onesweep_lookback_stateET6_jjj.num_agpr, 0
	.set _ZN7rocprim17ROCPRIM_304000_NS6detail25onesweep_iteration_kernelINS1_34wrapped_radix_sort_onesweep_configINS0_14default_configEiN2at4cuda3cub6detail10OpaqueTypeILi8EEEEELb1EPKiPiPKSA_PSA_mNS0_19identity_decomposerEEEvT1_T2_T3_T4_jPT5_SO_PNS1_23onesweep_lookback_stateET6_jjj.numbered_sgpr, 73
	.set _ZN7rocprim17ROCPRIM_304000_NS6detail25onesweep_iteration_kernelINS1_34wrapped_radix_sort_onesweep_configINS0_14default_configEiN2at4cuda3cub6detail10OpaqueTypeILi8EEEEELb1EPKiPiPKSA_PSA_mNS0_19identity_decomposerEEEvT1_T2_T3_T4_jPT5_SO_PNS1_23onesweep_lookback_stateET6_jjj.num_named_barrier, 0
	.set _ZN7rocprim17ROCPRIM_304000_NS6detail25onesweep_iteration_kernelINS1_34wrapped_radix_sort_onesweep_configINS0_14default_configEiN2at4cuda3cub6detail10OpaqueTypeILi8EEEEELb1EPKiPiPKSA_PSA_mNS0_19identity_decomposerEEEvT1_T2_T3_T4_jPT5_SO_PNS1_23onesweep_lookback_stateET6_jjj.private_seg_size, 0
	.set _ZN7rocprim17ROCPRIM_304000_NS6detail25onesweep_iteration_kernelINS1_34wrapped_radix_sort_onesweep_configINS0_14default_configEiN2at4cuda3cub6detail10OpaqueTypeILi8EEEEELb1EPKiPiPKSA_PSA_mNS0_19identity_decomposerEEEvT1_T2_T3_T4_jPT5_SO_PNS1_23onesweep_lookback_stateET6_jjj.uses_vcc, 1
	.set _ZN7rocprim17ROCPRIM_304000_NS6detail25onesweep_iteration_kernelINS1_34wrapped_radix_sort_onesweep_configINS0_14default_configEiN2at4cuda3cub6detail10OpaqueTypeILi8EEEEELb1EPKiPiPKSA_PSA_mNS0_19identity_decomposerEEEvT1_T2_T3_T4_jPT5_SO_PNS1_23onesweep_lookback_stateET6_jjj.uses_flat_scratch, 0
	.set _ZN7rocprim17ROCPRIM_304000_NS6detail25onesweep_iteration_kernelINS1_34wrapped_radix_sort_onesweep_configINS0_14default_configEiN2at4cuda3cub6detail10OpaqueTypeILi8EEEEELb1EPKiPiPKSA_PSA_mNS0_19identity_decomposerEEEvT1_T2_T3_T4_jPT5_SO_PNS1_23onesweep_lookback_stateET6_jjj.has_dyn_sized_stack, 0
	.set _ZN7rocprim17ROCPRIM_304000_NS6detail25onesweep_iteration_kernelINS1_34wrapped_radix_sort_onesweep_configINS0_14default_configEiN2at4cuda3cub6detail10OpaqueTypeILi8EEEEELb1EPKiPiPKSA_PSA_mNS0_19identity_decomposerEEEvT1_T2_T3_T4_jPT5_SO_PNS1_23onesweep_lookback_stateET6_jjj.has_recursion, 0
	.set _ZN7rocprim17ROCPRIM_304000_NS6detail25onesweep_iteration_kernelINS1_34wrapped_radix_sort_onesweep_configINS0_14default_configEiN2at4cuda3cub6detail10OpaqueTypeILi8EEEEELb1EPKiPiPKSA_PSA_mNS0_19identity_decomposerEEEvT1_T2_T3_T4_jPT5_SO_PNS1_23onesweep_lookback_stateET6_jjj.has_indirect_call, 0
	.section	.AMDGPU.csdata,"",@progbits
; Kernel info:
; codeLenInByte = 19188
; TotalNumSgprs: 79
; NumVgprs: 74
; NumAgprs: 0
; TotalNumVgprs: 74
; ScratchSize: 0
; MemoryBound: 0
; FloatMode: 240
; IeeeMode: 1
; LDSByteSize: 26624 bytes/workgroup (compile time only)
; SGPRBlocks: 12
; VGPRBlocks: 9
; NumSGPRsForWavesPerEU: 97
; NumVGPRsForWavesPerEU: 74
; AccumOffset: 76
; Occupancy: 6
; WaveLimiterHint : 1
; COMPUTE_PGM_RSRC2:SCRATCH_EN: 0
; COMPUTE_PGM_RSRC2:USER_SGPR: 2
; COMPUTE_PGM_RSRC2:TRAP_HANDLER: 0
; COMPUTE_PGM_RSRC2:TGID_X_EN: 1
; COMPUTE_PGM_RSRC2:TGID_Y_EN: 0
; COMPUTE_PGM_RSRC2:TGID_Z_EN: 0
; COMPUTE_PGM_RSRC2:TIDIG_COMP_CNT: 2
; COMPUTE_PGM_RSRC3_GFX90A:ACCUM_OFFSET: 18
; COMPUTE_PGM_RSRC3_GFX90A:TG_SPLIT: 0
	.section	.text._ZN7rocprim17ROCPRIM_304000_NS6detail25onesweep_iteration_kernelINS1_34wrapped_radix_sort_onesweep_configINS0_14default_configEiN2at4cuda3cub6detail10OpaqueTypeILi8EEEEELb1EPiSC_PSA_SD_mNS0_19identity_decomposerEEEvT1_T2_T3_T4_jPT5_SK_PNS1_23onesweep_lookback_stateET6_jjj,"axG",@progbits,_ZN7rocprim17ROCPRIM_304000_NS6detail25onesweep_iteration_kernelINS1_34wrapped_radix_sort_onesweep_configINS0_14default_configEiN2at4cuda3cub6detail10OpaqueTypeILi8EEEEELb1EPiSC_PSA_SD_mNS0_19identity_decomposerEEEvT1_T2_T3_T4_jPT5_SK_PNS1_23onesweep_lookback_stateET6_jjj,comdat
	.protected	_ZN7rocprim17ROCPRIM_304000_NS6detail25onesweep_iteration_kernelINS1_34wrapped_radix_sort_onesweep_configINS0_14default_configEiN2at4cuda3cub6detail10OpaqueTypeILi8EEEEELb1EPiSC_PSA_SD_mNS0_19identity_decomposerEEEvT1_T2_T3_T4_jPT5_SK_PNS1_23onesweep_lookback_stateET6_jjj ; -- Begin function _ZN7rocprim17ROCPRIM_304000_NS6detail25onesweep_iteration_kernelINS1_34wrapped_radix_sort_onesweep_configINS0_14default_configEiN2at4cuda3cub6detail10OpaqueTypeILi8EEEEELb1EPiSC_PSA_SD_mNS0_19identity_decomposerEEEvT1_T2_T3_T4_jPT5_SK_PNS1_23onesweep_lookback_stateET6_jjj
	.globl	_ZN7rocprim17ROCPRIM_304000_NS6detail25onesweep_iteration_kernelINS1_34wrapped_radix_sort_onesweep_configINS0_14default_configEiN2at4cuda3cub6detail10OpaqueTypeILi8EEEEELb1EPiSC_PSA_SD_mNS0_19identity_decomposerEEEvT1_T2_T3_T4_jPT5_SK_PNS1_23onesweep_lookback_stateET6_jjj
	.p2align	8
	.type	_ZN7rocprim17ROCPRIM_304000_NS6detail25onesweep_iteration_kernelINS1_34wrapped_radix_sort_onesweep_configINS0_14default_configEiN2at4cuda3cub6detail10OpaqueTypeILi8EEEEELb1EPiSC_PSA_SD_mNS0_19identity_decomposerEEEvT1_T2_T3_T4_jPT5_SK_PNS1_23onesweep_lookback_stateET6_jjj,@function
_ZN7rocprim17ROCPRIM_304000_NS6detail25onesweep_iteration_kernelINS1_34wrapped_radix_sort_onesweep_configINS0_14default_configEiN2at4cuda3cub6detail10OpaqueTypeILi8EEEEELb1EPiSC_PSA_SD_mNS0_19identity_decomposerEEEvT1_T2_T3_T4_jPT5_SK_PNS1_23onesweep_lookback_stateET6_jjj: ; @_ZN7rocprim17ROCPRIM_304000_NS6detail25onesweep_iteration_kernelINS1_34wrapped_radix_sort_onesweep_configINS0_14default_configEiN2at4cuda3cub6detail10OpaqueTypeILi8EEEEELb1EPiSC_PSA_SD_mNS0_19identity_decomposerEEEvT1_T2_T3_T4_jPT5_SK_PNS1_23onesweep_lookback_stateET6_jjj
; %bb.0:
	s_load_dwordx8 s[52:59], s[0:1], 0x0
	s_load_dwordx4 s[64:67], s[0:1], 0x44
	s_load_dwordx4 s[60:63], s[0:1], 0x28
	s_load_dwordx2 s[70:71], s[0:1], 0x38
	s_mov_b32 s3, s2
	s_mov_b64 s[4:5], -1
	s_waitcnt lgkmcnt(0)
	s_cmp_ge_u32 s2, s66
	s_mul_i32 s68, s2, 0xc00
	v_mbcnt_lo_u32_b32 v1, -1, 0
	s_cbranch_scc0 .LBB87_152
; %bb.1:
	s_load_dword s6, s[0:1], 0x20
	s_mulk_i32 s66, 0xf400
	s_mov_b32 s69, 0
	s_lshl_b64 s[4:5], s[68:69], 2
	v_mbcnt_hi_u32_b32 v14, -1, v1
	s_waitcnt lgkmcnt(0)
	s_add_i32 s66, s66, s6
	s_add_u32 s4, s52, s4
	v_and_b32_e32 v19, 0xc0, v0
	s_addc_u32 s5, s53, s5
	v_mul_u32_u24_e32 v3, 12, v19
	v_mov_b32_e32 v5, 0
	v_lshlrev_b32_e32 v4, 2, v14
	v_lshl_add_u64 v[6:7], s[4:5], 0, v[4:5]
	v_lshlrev_b32_e32 v4, 2, v3
	v_lshl_add_u64 v[4:5], v[6:7], 0, v[4:5]
	v_or_b32_e32 v6, v14, v3
	v_mov_b32_e32 v8, -1
	v_cmp_gt_u32_e32 vcc, s66, v6
	v_mov_b32_e32 v9, -1
	s_and_saveexec_b64 s[4:5], vcc
	s_cbranch_execz .LBB87_3
; %bb.2:
	global_load_dword v2, v[4:5], off
	s_waitcnt vmcnt(0)
	v_xor_b32_e32 v9, 0x7fffffff, v2
.LBB87_3:
	s_or_b64 exec, exec, s[4:5]
	v_add_u32_e32 v2, 64, v6
	v_cmp_gt_u32_e64 s[50:51], s66, v2
	s_and_saveexec_b64 s[4:5], s[50:51]
	s_cbranch_execz .LBB87_5
; %bb.4:
	global_load_dword v2, v[4:5], off offset:256
	s_waitcnt vmcnt(0)
	v_xor_b32_e32 v8, 0x7fffffff, v2
.LBB87_5:
	s_or_b64 exec, exec, s[4:5]
	v_add_u32_e32 v2, 0x80, v6
	v_cmp_gt_u32_e64 s[4:5], s66, v2
	v_mov_b32_e32 v10, -1
	v_mov_b32_e32 v11, -1
	s_and_saveexec_b64 s[6:7], s[4:5]
	s_cbranch_execz .LBB87_7
; %bb.6:
	global_load_dword v2, v[4:5], off offset:512
	s_waitcnt vmcnt(0)
	v_xor_b32_e32 v11, 0x7fffffff, v2
.LBB87_7:
	s_or_b64 exec, exec, s[6:7]
	v_add_u32_e32 v2, 0xc0, v6
	v_cmp_gt_u32_e64 s[6:7], s66, v2
	s_and_saveexec_b64 s[8:9], s[6:7]
	s_cbranch_execz .LBB87_9
; %bb.8:
	global_load_dword v2, v[4:5], off offset:768
	s_waitcnt vmcnt(0)
	v_xor_b32_e32 v10, 0x7fffffff, v2
.LBB87_9:
	s_or_b64 exec, exec, s[8:9]
	v_add_u32_e32 v2, 0x100, v6
	v_cmp_gt_u32_e64 s[8:9], s66, v2
	v_mov_b32_e32 v12, -1
	v_mov_b32_e32 v13, -1
	s_and_saveexec_b64 s[10:11], s[8:9]
	s_cbranch_execz .LBB87_11
; %bb.10:
	global_load_dword v2, v[4:5], off offset:1024
	s_waitcnt vmcnt(0)
	v_xor_b32_e32 v13, 0x7fffffff, v2
.LBB87_11:
	;; [unrolled: 22-line block ×5, first 2 shown]
	s_or_b64 exec, exec, s[14:15]
	v_add_u32_e32 v6, 0x2c0, v6
	v_and_b32_e32 v2, 0x3ff, v0
	v_cmp_gt_u32_e64 s[14:15], s66, v6
	s_and_saveexec_b64 s[24:25], s[14:15]
	s_cbranch_execz .LBB87_25
; %bb.24:
	global_load_dword v4, v[4:5], off offset:2816
	s_waitcnt vmcnt(0)
	v_xor_b32_e32 v20, 0x7fffffff, v4
.LBB87_25:
	s_or_b64 exec, exec, s[24:25]
	s_load_dword s24, s[0:1], 0x5c
	s_load_dword s33, s[0:1], 0x50
	s_add_u32 s25, s0, 0x50
	s_addc_u32 s26, s1, 0
	v_mov_b32_e32 v5, 0
	s_waitcnt lgkmcnt(0)
	s_lshr_b32 s27, s24, 16
	s_cmp_lt_u32 s2, s33
	s_cselect_b32 s24, 12, 18
	s_add_u32 s24, s25, s24
	s_addc_u32 s25, s26, 0
	global_load_ushort v23, v5, s[24:25]
	v_lshrrev_b32_e32 v25, s64, v9
	s_lshl_b32 s24, -1, s65
	v_bfe_u32 v4, v0, 10, 10
	v_bfe_u32 v7, v0, 20, 10
	v_bitop3_b32 v35, v25, s24, v25 bitop3:0x30
	v_mad_u32_u24 v38, v7, s27, v4
	v_and_b32_e32 v4, 1, v35
	v_lshlrev_b32_e32 v7, 30, v35
	v_mov_b32_e32 v6, v5
	v_mov_b32_e32 v26, v5
	s_not_b32 s72, s24
	v_lshlrev_b32_e32 v25, 29, v35
	v_lshlrev_b32_e32 v27, 28, v35
	v_lshl_add_u64 v[36:37], v[4:5], 0, -1
	v_cmp_ne_u32_e64 s[24:25], 0, v4
	v_not_b32_e32 v4, v7
	v_mov_b32_e32 v24, v5
	v_mov_b32_e32 v28, v5
	v_lshlrev_b32_e32 v29, 27, v35
	v_cmp_gt_i64_e64 s[26:27], 0, v[6:7]
	v_not_b32_e32 v6, v25
	v_cmp_gt_i64_e64 s[30:31], 0, v[26:27]
	v_not_b32_e32 v7, v27
	v_xor_b32_e32 v27, s25, v37
	v_ashrrev_i32_e32 v4, 31, v4
	v_mov_b32_e32 v30, v5
	v_lshlrev_b32_e32 v31, 26, v35
	v_cmp_gt_i64_e64 s[28:29], 0, v[24:25]
	v_cmp_gt_i64_e64 s[34:35], 0, v[28:29]
	v_not_b32_e32 v24, v29
	v_xor_b32_e32 v28, s24, v36
	v_ashrrev_i32_e32 v6, 31, v6
	v_and_b32_e32 v27, exec_hi, v27
	v_xor_b32_e32 v29, s27, v4
	v_cmp_gt_i64_e64 s[36:37], 0, v[30:31]
	v_ashrrev_i32_e32 v7, 31, v7
	v_and_b32_e32 v28, exec_lo, v28
	v_xor_b32_e32 v4, s26, v4
	v_xor_b32_e32 v30, s29, v6
	v_and_b32_e32 v27, v27, v29
	v_mov_b32_e32 v32, v5
	v_lshlrev_b32_e32 v33, 25, v35
	v_not_b32_e32 v25, v31
	v_ashrrev_i32_e32 v24, 31, v24
	v_xor_b32_e32 v6, s28, v6
	v_xor_b32_e32 v31, s31, v7
	v_and_b32_e32 v4, v28, v4
	v_and_b32_e32 v27, v27, v30
	v_cmp_gt_i64_e64 s[38:39], 0, v[32:33]
	v_not_b32_e32 v26, v33
	v_ashrrev_i32_e32 v25, 31, v25
	v_xor_b32_e32 v7, s30, v7
	v_xor_b32_e32 v32, s35, v24
	v_and_b32_e32 v4, v4, v6
	v_and_b32_e32 v6, v27, v31
	v_ashrrev_i32_e32 v26, 31, v26
	v_xor_b32_e32 v24, s34, v24
	v_xor_b32_e32 v33, s37, v25
	v_and_b32_e32 v4, v4, v7
	v_and_b32_e32 v6, v6, v32
	v_xor_b32_e32 v25, s36, v25
	v_xor_b32_e32 v36, s39, v26
	v_and_b32_e32 v4, v4, v24
	v_and_b32_e32 v6, v6, v33
	v_mul_lo_u32 v39, v35, 20
	v_lshlrev_b32_e32 v35, 24, v35
	v_and_b32_e32 v4, v4, v25
	v_and_b32_e32 v25, v6, v36
	v_mov_b32_e32 v34, v5
	v_xor_b32_e32 v26, s38, v26
	v_and_b32_e32 v4, v4, v26
	v_mul_u32_u24_e32 v22, 20, v2
	ds_write2_b32 v22, v5, v5 offset0:4 offset1:5
	ds_write2_b32 v22, v5, v5 offset0:6 offset1:7
	ds_write_b32 v22, v5 offset:32
	s_waitcnt lgkmcnt(0)
	s_barrier
	s_waitcnt vmcnt(0)
	; wave barrier
	v_mad_u64_u32 v[6:7], s[24:25], v38, v23, v[2:3]
	v_lshrrev_b32_e32 v32, 6, v6
	v_not_b32_e32 v6, v35
	v_cmp_gt_i64_e64 s[24:25], 0, v[34:35]
	v_ashrrev_i32_e32 v6, 31, v6
	v_lshl_add_u32 v24, v32, 2, v39
	v_xor_b32_e32 v7, s25, v6
	v_xor_b32_e32 v6, s24, v6
	v_and_b32_e32 v6, v4, v6
	v_and_b32_e32 v7, v25, v7
	v_mbcnt_lo_u32_b32 v4, v6, 0
	v_mbcnt_hi_u32_b32 v23, v7, v4
	v_cmp_eq_u32_e64 s[24:25], 0, v23
	v_cmp_ne_u64_e64 s[26:27], 0, v[6:7]
	s_and_b64 s[26:27], s[26:27], s[24:25]
	s_and_saveexec_b64 s[24:25], s[26:27]
; %bb.26:
	v_bcnt_u32_b32 v4, v6, 0
	v_bcnt_u32_b32 v4, v7, v4
	ds_write_b32 v24, v4 offset:16
; %bb.27:
	s_or_b64 exec, exec, s[24:25]
	v_lshrrev_b32_e32 v4, s64, v8
	v_and_b32_e32 v27, s72, v4
	v_mul_lo_u32 v4, v27, 20
	v_lshl_add_u32 v26, v32, 2, v4
	v_and_b32_e32 v4, 1, v27
	v_lshl_add_u64 v[6:7], v[4:5], 0, -1
	v_cmp_ne_u32_e64 s[24:25], 0, v4
	; wave barrier
	s_nop 1
	v_xor_b32_e32 v6, s24, v6
	v_xor_b32_e32 v4, s25, v7
	v_and_b32_e32 v28, exec_lo, v6
	v_lshlrev_b32_e32 v7, 30, v27
	v_mov_b32_e32 v6, v5
	v_cmp_gt_i64_e64 s[24:25], 0, v[6:7]
	v_not_b32_e32 v6, v7
	v_ashrrev_i32_e32 v6, 31, v6
	v_and_b32_e32 v4, exec_hi, v4
	v_xor_b32_e32 v7, s25, v6
	v_xor_b32_e32 v6, s24, v6
	v_and_b32_e32 v4, v4, v7
	v_and_b32_e32 v28, v28, v6
	v_lshlrev_b32_e32 v7, 29, v27
	v_mov_b32_e32 v6, v5
	v_cmp_gt_i64_e64 s[24:25], 0, v[6:7]
	v_not_b32_e32 v6, v7
	v_ashrrev_i32_e32 v6, 31, v6
	v_xor_b32_e32 v7, s25, v6
	v_xor_b32_e32 v6, s24, v6
	v_and_b32_e32 v4, v4, v7
	v_and_b32_e32 v28, v28, v6
	v_lshlrev_b32_e32 v7, 28, v27
	v_mov_b32_e32 v6, v5
	v_cmp_gt_i64_e64 s[24:25], 0, v[6:7]
	v_not_b32_e32 v6, v7
	v_ashrrev_i32_e32 v6, 31, v6
	;; [unrolled: 9-line block ×5, first 2 shown]
	v_xor_b32_e32 v7, s25, v6
	v_xor_b32_e32 v6, s24, v6
	v_and_b32_e32 v4, v4, v7
	v_lshlrev_b32_e32 v7, 24, v27
	v_and_b32_e32 v28, v28, v6
	v_mov_b32_e32 v6, v5
	v_not_b32_e32 v5, v7
	v_cmp_gt_i64_e64 s[24:25], 0, v[6:7]
	v_ashrrev_i32_e32 v5, 31, v5
	ds_read_b32 v25, v26 offset:16
	v_xor_b32_e32 v6, s25, v5
	v_xor_b32_e32 v7, s24, v5
	v_and_b32_e32 v5, v4, v6
	v_and_b32_e32 v4, v28, v7
	v_mbcnt_lo_u32_b32 v6, v4, 0
	v_mbcnt_hi_u32_b32 v27, v5, v6
	v_cmp_eq_u32_e64 s[24:25], 0, v27
	v_cmp_ne_u64_e64 s[26:27], 0, v[4:5]
	s_and_b64 s[26:27], s[26:27], s[24:25]
	; wave barrier
	s_and_saveexec_b64 s[24:25], s[26:27]
	s_cbranch_execz .LBB87_29
; %bb.28:
	v_bcnt_u32_b32 v4, v4, 0
	v_bcnt_u32_b32 v4, v5, v4
	s_waitcnt lgkmcnt(0)
	v_add_u32_e32 v4, v25, v4
	ds_write_b32 v26, v4 offset:16
.LBB87_29:
	s_or_b64 exec, exec, s[24:25]
	v_lshrrev_b32_e32 v4, s64, v11
	v_and_b32_e32 v30, s72, v4
	v_mul_lo_u32 v4, v30, 20
	v_lshl_add_u32 v29, v32, 2, v4
	v_and_b32_e32 v4, 1, v30
	v_mov_b32_e32 v5, 0
	v_lshl_add_u64 v[6:7], v[4:5], 0, -1
	v_cmp_ne_u32_e64 s[24:25], 0, v4
	; wave barrier
	s_nop 1
	v_xor_b32_e32 v6, s24, v6
	v_xor_b32_e32 v4, s25, v7
	v_and_b32_e32 v31, exec_lo, v6
	v_lshlrev_b32_e32 v7, 30, v30
	v_mov_b32_e32 v6, v5
	v_cmp_gt_i64_e64 s[24:25], 0, v[6:7]
	v_not_b32_e32 v6, v7
	v_ashrrev_i32_e32 v6, 31, v6
	v_and_b32_e32 v4, exec_hi, v4
	v_xor_b32_e32 v7, s25, v6
	v_xor_b32_e32 v6, s24, v6
	v_and_b32_e32 v4, v4, v7
	v_and_b32_e32 v31, v31, v6
	v_lshlrev_b32_e32 v7, 29, v30
	v_mov_b32_e32 v6, v5
	v_cmp_gt_i64_e64 s[24:25], 0, v[6:7]
	v_not_b32_e32 v6, v7
	v_ashrrev_i32_e32 v6, 31, v6
	v_xor_b32_e32 v7, s25, v6
	v_xor_b32_e32 v6, s24, v6
	v_and_b32_e32 v4, v4, v7
	v_and_b32_e32 v31, v31, v6
	v_lshlrev_b32_e32 v7, 28, v30
	v_mov_b32_e32 v6, v5
	v_cmp_gt_i64_e64 s[24:25], 0, v[6:7]
	v_not_b32_e32 v6, v7
	v_ashrrev_i32_e32 v6, 31, v6
	;; [unrolled: 9-line block ×6, first 2 shown]
	v_xor_b32_e32 v7, s25, v6
	v_xor_b32_e32 v6, s24, v6
	ds_read_b32 v28, v29 offset:16
	v_and_b32_e32 v6, v31, v6
	v_and_b32_e32 v7, v4, v7
	v_mbcnt_lo_u32_b32 v4, v6, 0
	v_mbcnt_hi_u32_b32 v30, v7, v4
	v_cmp_eq_u32_e64 s[24:25], 0, v30
	v_cmp_ne_u64_e64 s[26:27], 0, v[6:7]
	s_and_b64 s[26:27], s[26:27], s[24:25]
	; wave barrier
	s_and_saveexec_b64 s[24:25], s[26:27]
	s_cbranch_execz .LBB87_31
; %bb.30:
	v_bcnt_u32_b32 v4, v6, 0
	v_bcnt_u32_b32 v4, v7, v4
	s_waitcnt lgkmcnt(0)
	v_add_u32_e32 v4, v28, v4
	ds_write_b32 v29, v4 offset:16
.LBB87_31:
	s_or_b64 exec, exec, s[24:25]
	v_lshrrev_b32_e32 v4, s64, v10
	v_and_b32_e32 v34, s72, v4
	v_mul_lo_u32 v4, v34, 20
	v_lshl_add_u32 v33, v32, 2, v4
	v_and_b32_e32 v4, 1, v34
	v_lshl_add_u64 v[6:7], v[4:5], 0, -1
	v_cmp_ne_u32_e64 s[24:25], 0, v4
	; wave barrier
	s_nop 1
	v_xor_b32_e32 v6, s24, v6
	v_xor_b32_e32 v4, s25, v7
	v_and_b32_e32 v35, exec_lo, v6
	v_lshlrev_b32_e32 v7, 30, v34
	v_mov_b32_e32 v6, v5
	v_cmp_gt_i64_e64 s[24:25], 0, v[6:7]
	v_not_b32_e32 v6, v7
	v_ashrrev_i32_e32 v6, 31, v6
	v_and_b32_e32 v4, exec_hi, v4
	v_xor_b32_e32 v7, s25, v6
	v_xor_b32_e32 v6, s24, v6
	v_and_b32_e32 v4, v4, v7
	v_and_b32_e32 v35, v35, v6
	v_lshlrev_b32_e32 v7, 29, v34
	v_mov_b32_e32 v6, v5
	v_cmp_gt_i64_e64 s[24:25], 0, v[6:7]
	v_not_b32_e32 v6, v7
	v_ashrrev_i32_e32 v6, 31, v6
	v_xor_b32_e32 v7, s25, v6
	v_xor_b32_e32 v6, s24, v6
	v_and_b32_e32 v4, v4, v7
	v_and_b32_e32 v35, v35, v6
	v_lshlrev_b32_e32 v7, 28, v34
	v_mov_b32_e32 v6, v5
	v_cmp_gt_i64_e64 s[24:25], 0, v[6:7]
	v_not_b32_e32 v6, v7
	v_ashrrev_i32_e32 v6, 31, v6
	;; [unrolled: 9-line block ×5, first 2 shown]
	v_xor_b32_e32 v7, s25, v6
	v_xor_b32_e32 v6, s24, v6
	v_and_b32_e32 v4, v4, v7
	v_lshlrev_b32_e32 v7, 24, v34
	v_and_b32_e32 v35, v35, v6
	v_mov_b32_e32 v6, v5
	v_not_b32_e32 v5, v7
	v_cmp_gt_i64_e64 s[24:25], 0, v[6:7]
	v_ashrrev_i32_e32 v5, 31, v5
	ds_read_b32 v31, v33 offset:16
	v_xor_b32_e32 v6, s25, v5
	v_xor_b32_e32 v7, s24, v5
	v_and_b32_e32 v5, v4, v6
	v_and_b32_e32 v4, v35, v7
	v_mbcnt_lo_u32_b32 v6, v4, 0
	v_mbcnt_hi_u32_b32 v34, v5, v6
	v_cmp_eq_u32_e64 s[24:25], 0, v34
	v_cmp_ne_u64_e64 s[26:27], 0, v[4:5]
	s_and_b64 s[26:27], s[26:27], s[24:25]
	; wave barrier
	s_and_saveexec_b64 s[24:25], s[26:27]
	s_cbranch_execz .LBB87_33
; %bb.32:
	v_bcnt_u32_b32 v4, v4, 0
	v_bcnt_u32_b32 v4, v5, v4
	s_waitcnt lgkmcnt(0)
	v_add_u32_e32 v4, v31, v4
	ds_write_b32 v33, v4 offset:16
.LBB87_33:
	s_or_b64 exec, exec, s[24:25]
	v_lshrrev_b32_e32 v4, s64, v13
	v_and_b32_e32 v37, s72, v4
	v_mul_lo_u32 v4, v37, 20
	v_lshl_add_u32 v36, v32, 2, v4
	v_and_b32_e32 v4, 1, v37
	v_mov_b32_e32 v5, 0
	v_lshl_add_u64 v[6:7], v[4:5], 0, -1
	v_cmp_ne_u32_e64 s[24:25], 0, v4
	; wave barrier
	s_nop 1
	v_xor_b32_e32 v6, s24, v6
	v_xor_b32_e32 v4, s25, v7
	v_and_b32_e32 v38, exec_lo, v6
	v_lshlrev_b32_e32 v7, 30, v37
	v_mov_b32_e32 v6, v5
	v_cmp_gt_i64_e64 s[24:25], 0, v[6:7]
	v_not_b32_e32 v6, v7
	v_ashrrev_i32_e32 v6, 31, v6
	v_and_b32_e32 v4, exec_hi, v4
	v_xor_b32_e32 v7, s25, v6
	v_xor_b32_e32 v6, s24, v6
	v_and_b32_e32 v4, v4, v7
	v_and_b32_e32 v38, v38, v6
	v_lshlrev_b32_e32 v7, 29, v37
	v_mov_b32_e32 v6, v5
	v_cmp_gt_i64_e64 s[24:25], 0, v[6:7]
	v_not_b32_e32 v6, v7
	v_ashrrev_i32_e32 v6, 31, v6
	v_xor_b32_e32 v7, s25, v6
	v_xor_b32_e32 v6, s24, v6
	v_and_b32_e32 v4, v4, v7
	v_and_b32_e32 v38, v38, v6
	v_lshlrev_b32_e32 v7, 28, v37
	v_mov_b32_e32 v6, v5
	v_cmp_gt_i64_e64 s[24:25], 0, v[6:7]
	v_not_b32_e32 v6, v7
	v_ashrrev_i32_e32 v6, 31, v6
	;; [unrolled: 9-line block ×6, first 2 shown]
	v_xor_b32_e32 v7, s25, v6
	v_xor_b32_e32 v6, s24, v6
	ds_read_b32 v35, v36 offset:16
	v_and_b32_e32 v6, v38, v6
	v_and_b32_e32 v7, v4, v7
	v_mbcnt_lo_u32_b32 v4, v6, 0
	v_mbcnt_hi_u32_b32 v37, v7, v4
	v_cmp_eq_u32_e64 s[24:25], 0, v37
	v_cmp_ne_u64_e64 s[26:27], 0, v[6:7]
	s_and_b64 s[26:27], s[26:27], s[24:25]
	; wave barrier
	s_and_saveexec_b64 s[24:25], s[26:27]
	s_cbranch_execz .LBB87_35
; %bb.34:
	v_bcnt_u32_b32 v4, v6, 0
	v_bcnt_u32_b32 v4, v7, v4
	s_waitcnt lgkmcnt(0)
	v_add_u32_e32 v4, v35, v4
	ds_write_b32 v36, v4 offset:16
.LBB87_35:
	s_or_b64 exec, exec, s[24:25]
	v_lshrrev_b32_e32 v4, s64, v12
	v_and_b32_e32 v40, s72, v4
	v_mul_lo_u32 v4, v40, 20
	v_lshl_add_u32 v39, v32, 2, v4
	v_and_b32_e32 v4, 1, v40
	v_lshl_add_u64 v[6:7], v[4:5], 0, -1
	v_cmp_ne_u32_e64 s[24:25], 0, v4
	; wave barrier
	s_nop 1
	v_xor_b32_e32 v6, s24, v6
	v_xor_b32_e32 v4, s25, v7
	v_and_b32_e32 v41, exec_lo, v6
	v_lshlrev_b32_e32 v7, 30, v40
	v_mov_b32_e32 v6, v5
	v_cmp_gt_i64_e64 s[24:25], 0, v[6:7]
	v_not_b32_e32 v6, v7
	v_ashrrev_i32_e32 v6, 31, v6
	v_and_b32_e32 v4, exec_hi, v4
	v_xor_b32_e32 v7, s25, v6
	v_xor_b32_e32 v6, s24, v6
	v_and_b32_e32 v4, v4, v7
	v_and_b32_e32 v41, v41, v6
	v_lshlrev_b32_e32 v7, 29, v40
	v_mov_b32_e32 v6, v5
	v_cmp_gt_i64_e64 s[24:25], 0, v[6:7]
	v_not_b32_e32 v6, v7
	v_ashrrev_i32_e32 v6, 31, v6
	v_xor_b32_e32 v7, s25, v6
	v_xor_b32_e32 v6, s24, v6
	v_and_b32_e32 v4, v4, v7
	v_and_b32_e32 v41, v41, v6
	v_lshlrev_b32_e32 v7, 28, v40
	v_mov_b32_e32 v6, v5
	v_cmp_gt_i64_e64 s[24:25], 0, v[6:7]
	v_not_b32_e32 v6, v7
	v_ashrrev_i32_e32 v6, 31, v6
	;; [unrolled: 9-line block ×5, first 2 shown]
	v_xor_b32_e32 v7, s25, v6
	v_xor_b32_e32 v6, s24, v6
	v_and_b32_e32 v4, v4, v7
	v_lshlrev_b32_e32 v7, 24, v40
	v_and_b32_e32 v41, v41, v6
	v_mov_b32_e32 v6, v5
	v_not_b32_e32 v5, v7
	v_cmp_gt_i64_e64 s[24:25], 0, v[6:7]
	v_ashrrev_i32_e32 v5, 31, v5
	ds_read_b32 v38, v39 offset:16
	v_xor_b32_e32 v6, s25, v5
	v_xor_b32_e32 v7, s24, v5
	v_and_b32_e32 v5, v4, v6
	v_and_b32_e32 v4, v41, v7
	v_mbcnt_lo_u32_b32 v6, v4, 0
	v_mbcnt_hi_u32_b32 v40, v5, v6
	v_cmp_eq_u32_e64 s[24:25], 0, v40
	v_cmp_ne_u64_e64 s[26:27], 0, v[4:5]
	s_and_b64 s[26:27], s[26:27], s[24:25]
	; wave barrier
	s_and_saveexec_b64 s[24:25], s[26:27]
	s_cbranch_execz .LBB87_37
; %bb.36:
	v_bcnt_u32_b32 v4, v4, 0
	v_bcnt_u32_b32 v4, v5, v4
	s_waitcnt lgkmcnt(0)
	v_add_u32_e32 v4, v38, v4
	ds_write_b32 v39, v4 offset:16
.LBB87_37:
	s_or_b64 exec, exec, s[24:25]
	v_lshrrev_b32_e32 v4, s64, v16
	v_and_b32_e32 v43, s72, v4
	v_mul_lo_u32 v4, v43, 20
	v_lshl_add_u32 v42, v32, 2, v4
	v_and_b32_e32 v4, 1, v43
	v_mov_b32_e32 v5, 0
	v_lshl_add_u64 v[6:7], v[4:5], 0, -1
	v_cmp_ne_u32_e64 s[24:25], 0, v4
	; wave barrier
	s_nop 1
	v_xor_b32_e32 v6, s24, v6
	v_xor_b32_e32 v4, s25, v7
	v_and_b32_e32 v44, exec_lo, v6
	v_lshlrev_b32_e32 v7, 30, v43
	v_mov_b32_e32 v6, v5
	v_cmp_gt_i64_e64 s[24:25], 0, v[6:7]
	v_not_b32_e32 v6, v7
	v_ashrrev_i32_e32 v6, 31, v6
	v_and_b32_e32 v4, exec_hi, v4
	v_xor_b32_e32 v7, s25, v6
	v_xor_b32_e32 v6, s24, v6
	v_and_b32_e32 v4, v4, v7
	v_and_b32_e32 v44, v44, v6
	v_lshlrev_b32_e32 v7, 29, v43
	v_mov_b32_e32 v6, v5
	v_cmp_gt_i64_e64 s[24:25], 0, v[6:7]
	v_not_b32_e32 v6, v7
	v_ashrrev_i32_e32 v6, 31, v6
	v_xor_b32_e32 v7, s25, v6
	v_xor_b32_e32 v6, s24, v6
	v_and_b32_e32 v4, v4, v7
	v_and_b32_e32 v44, v44, v6
	v_lshlrev_b32_e32 v7, 28, v43
	v_mov_b32_e32 v6, v5
	v_cmp_gt_i64_e64 s[24:25], 0, v[6:7]
	v_not_b32_e32 v6, v7
	v_ashrrev_i32_e32 v6, 31, v6
	;; [unrolled: 9-line block ×6, first 2 shown]
	v_xor_b32_e32 v7, s25, v6
	v_xor_b32_e32 v6, s24, v6
	ds_read_b32 v41, v42 offset:16
	v_and_b32_e32 v6, v44, v6
	v_and_b32_e32 v7, v4, v7
	v_mbcnt_lo_u32_b32 v4, v6, 0
	v_mbcnt_hi_u32_b32 v43, v7, v4
	v_cmp_eq_u32_e64 s[24:25], 0, v43
	v_cmp_ne_u64_e64 s[26:27], 0, v[6:7]
	s_and_b64 s[26:27], s[26:27], s[24:25]
	; wave barrier
	s_and_saveexec_b64 s[24:25], s[26:27]
	s_cbranch_execz .LBB87_39
; %bb.38:
	v_bcnt_u32_b32 v4, v6, 0
	v_bcnt_u32_b32 v4, v7, v4
	s_waitcnt lgkmcnt(0)
	v_add_u32_e32 v4, v41, v4
	ds_write_b32 v42, v4 offset:16
.LBB87_39:
	s_or_b64 exec, exec, s[24:25]
	v_lshrrev_b32_e32 v4, s64, v15
	v_and_b32_e32 v46, s72, v4
	v_mul_lo_u32 v4, v46, 20
	v_lshl_add_u32 v45, v32, 2, v4
	v_and_b32_e32 v4, 1, v46
	v_lshl_add_u64 v[6:7], v[4:5], 0, -1
	v_cmp_ne_u32_e64 s[24:25], 0, v4
	; wave barrier
	s_nop 1
	v_xor_b32_e32 v6, s24, v6
	v_xor_b32_e32 v4, s25, v7
	v_and_b32_e32 v47, exec_lo, v6
	v_lshlrev_b32_e32 v7, 30, v46
	v_mov_b32_e32 v6, v5
	v_cmp_gt_i64_e64 s[24:25], 0, v[6:7]
	v_not_b32_e32 v6, v7
	v_ashrrev_i32_e32 v6, 31, v6
	v_and_b32_e32 v4, exec_hi, v4
	v_xor_b32_e32 v7, s25, v6
	v_xor_b32_e32 v6, s24, v6
	v_and_b32_e32 v4, v4, v7
	v_and_b32_e32 v47, v47, v6
	v_lshlrev_b32_e32 v7, 29, v46
	v_mov_b32_e32 v6, v5
	v_cmp_gt_i64_e64 s[24:25], 0, v[6:7]
	v_not_b32_e32 v6, v7
	v_ashrrev_i32_e32 v6, 31, v6
	v_xor_b32_e32 v7, s25, v6
	v_xor_b32_e32 v6, s24, v6
	v_and_b32_e32 v4, v4, v7
	v_and_b32_e32 v47, v47, v6
	v_lshlrev_b32_e32 v7, 28, v46
	v_mov_b32_e32 v6, v5
	v_cmp_gt_i64_e64 s[24:25], 0, v[6:7]
	v_not_b32_e32 v6, v7
	v_ashrrev_i32_e32 v6, 31, v6
	;; [unrolled: 9-line block ×5, first 2 shown]
	v_xor_b32_e32 v7, s25, v6
	v_xor_b32_e32 v6, s24, v6
	v_and_b32_e32 v4, v4, v7
	v_lshlrev_b32_e32 v7, 24, v46
	v_and_b32_e32 v47, v47, v6
	v_mov_b32_e32 v6, v5
	v_not_b32_e32 v5, v7
	v_cmp_gt_i64_e64 s[24:25], 0, v[6:7]
	v_ashrrev_i32_e32 v5, 31, v5
	ds_read_b32 v44, v45 offset:16
	v_xor_b32_e32 v6, s25, v5
	v_xor_b32_e32 v7, s24, v5
	v_and_b32_e32 v5, v4, v6
	v_and_b32_e32 v4, v47, v7
	v_mbcnt_lo_u32_b32 v6, v4, 0
	v_mbcnt_hi_u32_b32 v46, v5, v6
	v_cmp_eq_u32_e64 s[24:25], 0, v46
	v_cmp_ne_u64_e64 s[26:27], 0, v[4:5]
	s_and_b64 s[26:27], s[26:27], s[24:25]
	; wave barrier
	s_and_saveexec_b64 s[24:25], s[26:27]
	s_cbranch_execz .LBB87_41
; %bb.40:
	v_bcnt_u32_b32 v4, v4, 0
	v_bcnt_u32_b32 v4, v5, v4
	s_waitcnt lgkmcnt(0)
	v_add_u32_e32 v4, v44, v4
	ds_write_b32 v45, v4 offset:16
.LBB87_41:
	s_or_b64 exec, exec, s[24:25]
	v_lshrrev_b32_e32 v4, s64, v18
	v_and_b32_e32 v49, s72, v4
	v_mul_lo_u32 v4, v49, 20
	v_lshl_add_u32 v48, v32, 2, v4
	v_and_b32_e32 v4, 1, v49
	v_mov_b32_e32 v5, 0
	v_lshl_add_u64 v[6:7], v[4:5], 0, -1
	v_cmp_ne_u32_e64 s[24:25], 0, v4
	; wave barrier
	s_nop 1
	v_xor_b32_e32 v6, s24, v6
	v_xor_b32_e32 v4, s25, v7
	v_and_b32_e32 v50, exec_lo, v6
	v_lshlrev_b32_e32 v7, 30, v49
	v_mov_b32_e32 v6, v5
	v_cmp_gt_i64_e64 s[24:25], 0, v[6:7]
	v_not_b32_e32 v6, v7
	v_ashrrev_i32_e32 v6, 31, v6
	v_and_b32_e32 v4, exec_hi, v4
	v_xor_b32_e32 v7, s25, v6
	v_xor_b32_e32 v6, s24, v6
	v_and_b32_e32 v4, v4, v7
	v_and_b32_e32 v50, v50, v6
	v_lshlrev_b32_e32 v7, 29, v49
	v_mov_b32_e32 v6, v5
	v_cmp_gt_i64_e64 s[24:25], 0, v[6:7]
	v_not_b32_e32 v6, v7
	v_ashrrev_i32_e32 v6, 31, v6
	v_xor_b32_e32 v7, s25, v6
	v_xor_b32_e32 v6, s24, v6
	v_and_b32_e32 v4, v4, v7
	v_and_b32_e32 v50, v50, v6
	v_lshlrev_b32_e32 v7, 28, v49
	v_mov_b32_e32 v6, v5
	v_cmp_gt_i64_e64 s[24:25], 0, v[6:7]
	v_not_b32_e32 v6, v7
	v_ashrrev_i32_e32 v6, 31, v6
	;; [unrolled: 9-line block ×6, first 2 shown]
	v_xor_b32_e32 v7, s25, v6
	v_xor_b32_e32 v6, s24, v6
	ds_read_b32 v47, v48 offset:16
	v_and_b32_e32 v6, v50, v6
	v_and_b32_e32 v7, v4, v7
	v_mbcnt_lo_u32_b32 v4, v6, 0
	v_mbcnt_hi_u32_b32 v49, v7, v4
	v_cmp_eq_u32_e64 s[24:25], 0, v49
	v_cmp_ne_u64_e64 s[26:27], 0, v[6:7]
	s_and_b64 s[26:27], s[26:27], s[24:25]
	; wave barrier
	s_and_saveexec_b64 s[24:25], s[26:27]
	s_cbranch_execz .LBB87_43
; %bb.42:
	v_bcnt_u32_b32 v4, v6, 0
	v_bcnt_u32_b32 v4, v7, v4
	s_waitcnt lgkmcnt(0)
	v_add_u32_e32 v4, v47, v4
	ds_write_b32 v48, v4 offset:16
.LBB87_43:
	s_or_b64 exec, exec, s[24:25]
	v_lshrrev_b32_e32 v4, s64, v17
	v_and_b32_e32 v52, s72, v4
	v_mul_lo_u32 v4, v52, 20
	v_lshl_add_u32 v51, v32, 2, v4
	v_and_b32_e32 v4, 1, v52
	v_lshl_add_u64 v[6:7], v[4:5], 0, -1
	v_cmp_ne_u32_e64 s[24:25], 0, v4
	; wave barrier
	s_nop 1
	v_xor_b32_e32 v6, s24, v6
	v_xor_b32_e32 v4, s25, v7
	v_and_b32_e32 v53, exec_lo, v6
	v_lshlrev_b32_e32 v7, 30, v52
	v_mov_b32_e32 v6, v5
	v_cmp_gt_i64_e64 s[24:25], 0, v[6:7]
	v_not_b32_e32 v6, v7
	v_ashrrev_i32_e32 v6, 31, v6
	v_and_b32_e32 v4, exec_hi, v4
	v_xor_b32_e32 v7, s25, v6
	v_xor_b32_e32 v6, s24, v6
	v_and_b32_e32 v4, v4, v7
	v_and_b32_e32 v53, v53, v6
	v_lshlrev_b32_e32 v7, 29, v52
	v_mov_b32_e32 v6, v5
	v_cmp_gt_i64_e64 s[24:25], 0, v[6:7]
	v_not_b32_e32 v6, v7
	v_ashrrev_i32_e32 v6, 31, v6
	v_xor_b32_e32 v7, s25, v6
	v_xor_b32_e32 v6, s24, v6
	v_and_b32_e32 v4, v4, v7
	v_and_b32_e32 v53, v53, v6
	v_lshlrev_b32_e32 v7, 28, v52
	v_mov_b32_e32 v6, v5
	v_cmp_gt_i64_e64 s[24:25], 0, v[6:7]
	v_not_b32_e32 v6, v7
	v_ashrrev_i32_e32 v6, 31, v6
	;; [unrolled: 9-line block ×5, first 2 shown]
	v_xor_b32_e32 v7, s25, v6
	v_xor_b32_e32 v6, s24, v6
	v_and_b32_e32 v4, v4, v7
	v_lshlrev_b32_e32 v7, 24, v52
	v_and_b32_e32 v53, v53, v6
	v_mov_b32_e32 v6, v5
	v_not_b32_e32 v5, v7
	v_cmp_gt_i64_e64 s[24:25], 0, v[6:7]
	v_ashrrev_i32_e32 v5, 31, v5
	ds_read_b32 v50, v51 offset:16
	v_xor_b32_e32 v6, s25, v5
	v_xor_b32_e32 v7, s24, v5
	v_and_b32_e32 v5, v4, v6
	v_and_b32_e32 v4, v53, v7
	v_mbcnt_lo_u32_b32 v6, v4, 0
	v_mbcnt_hi_u32_b32 v52, v5, v6
	v_cmp_eq_u32_e64 s[24:25], 0, v52
	v_cmp_ne_u64_e64 s[26:27], 0, v[4:5]
	s_and_b64 s[26:27], s[26:27], s[24:25]
	; wave barrier
	s_and_saveexec_b64 s[24:25], s[26:27]
	s_cbranch_execz .LBB87_45
; %bb.44:
	v_bcnt_u32_b32 v4, v4, 0
	v_bcnt_u32_b32 v4, v5, v4
	s_waitcnt lgkmcnt(0)
	v_add_u32_e32 v4, v50, v4
	ds_write_b32 v51, v4 offset:16
.LBB87_45:
	s_or_b64 exec, exec, s[24:25]
	v_lshrrev_b32_e32 v4, s64, v21
	v_and_b32_e32 v55, s72, v4
	v_mul_lo_u32 v4, v55, 20
	v_lshl_add_u32 v54, v32, 2, v4
	v_and_b32_e32 v4, 1, v55
	v_mov_b32_e32 v5, 0
	v_lshl_add_u64 v[6:7], v[4:5], 0, -1
	v_cmp_ne_u32_e64 s[24:25], 0, v4
	; wave barrier
	s_nop 1
	v_xor_b32_e32 v6, s24, v6
	v_xor_b32_e32 v4, s25, v7
	v_and_b32_e32 v56, exec_lo, v6
	v_lshlrev_b32_e32 v7, 30, v55
	v_mov_b32_e32 v6, v5
	v_cmp_gt_i64_e64 s[24:25], 0, v[6:7]
	v_not_b32_e32 v6, v7
	v_ashrrev_i32_e32 v6, 31, v6
	v_and_b32_e32 v4, exec_hi, v4
	v_xor_b32_e32 v7, s25, v6
	v_xor_b32_e32 v6, s24, v6
	v_and_b32_e32 v4, v4, v7
	v_and_b32_e32 v56, v56, v6
	v_lshlrev_b32_e32 v7, 29, v55
	v_mov_b32_e32 v6, v5
	v_cmp_gt_i64_e64 s[24:25], 0, v[6:7]
	v_not_b32_e32 v6, v7
	v_ashrrev_i32_e32 v6, 31, v6
	v_xor_b32_e32 v7, s25, v6
	v_xor_b32_e32 v6, s24, v6
	v_and_b32_e32 v4, v4, v7
	v_and_b32_e32 v56, v56, v6
	v_lshlrev_b32_e32 v7, 28, v55
	v_mov_b32_e32 v6, v5
	v_cmp_gt_i64_e64 s[24:25], 0, v[6:7]
	v_not_b32_e32 v6, v7
	v_ashrrev_i32_e32 v6, 31, v6
	;; [unrolled: 9-line block ×6, first 2 shown]
	v_xor_b32_e32 v7, s25, v6
	v_xor_b32_e32 v6, s24, v6
	ds_read_b32 v53, v54 offset:16
	v_and_b32_e32 v6, v56, v6
	v_and_b32_e32 v7, v4, v7
	v_mbcnt_lo_u32_b32 v4, v6, 0
	v_mbcnt_hi_u32_b32 v55, v7, v4
	v_cmp_eq_u32_e64 s[24:25], 0, v55
	v_cmp_ne_u64_e64 s[26:27], 0, v[6:7]
	s_and_b64 s[26:27], s[26:27], s[24:25]
	; wave barrier
	s_and_saveexec_b64 s[24:25], s[26:27]
	s_cbranch_execz .LBB87_47
; %bb.46:
	v_bcnt_u32_b32 v4, v6, 0
	v_bcnt_u32_b32 v4, v7, v4
	s_waitcnt lgkmcnt(0)
	v_add_u32_e32 v4, v53, v4
	ds_write_b32 v54, v4 offset:16
.LBB87_47:
	s_or_b64 exec, exec, s[24:25]
	v_lshrrev_b32_e32 v4, s64, v20
	v_and_b32_e32 v57, s72, v4
	v_mul_lo_u32 v4, v57, 20
	v_lshl_add_u32 v32, v32, 2, v4
	v_and_b32_e32 v4, 1, v57
	v_lshl_add_u64 v[6:7], v[4:5], 0, -1
	v_cmp_ne_u32_e64 s[24:25], 0, v4
	; wave barrier
	s_nop 1
	v_xor_b32_e32 v6, s24, v6
	v_xor_b32_e32 v4, s25, v7
	v_and_b32_e32 v58, exec_lo, v6
	v_lshlrev_b32_e32 v7, 30, v57
	v_mov_b32_e32 v6, v5
	v_cmp_gt_i64_e64 s[24:25], 0, v[6:7]
	v_not_b32_e32 v6, v7
	v_ashrrev_i32_e32 v6, 31, v6
	v_and_b32_e32 v4, exec_hi, v4
	v_xor_b32_e32 v7, s25, v6
	v_xor_b32_e32 v6, s24, v6
	v_and_b32_e32 v4, v4, v7
	v_and_b32_e32 v58, v58, v6
	v_lshlrev_b32_e32 v7, 29, v57
	v_mov_b32_e32 v6, v5
	v_cmp_gt_i64_e64 s[24:25], 0, v[6:7]
	v_not_b32_e32 v6, v7
	v_ashrrev_i32_e32 v6, 31, v6
	v_xor_b32_e32 v7, s25, v6
	v_xor_b32_e32 v6, s24, v6
	v_and_b32_e32 v4, v4, v7
	v_and_b32_e32 v58, v58, v6
	v_lshlrev_b32_e32 v7, 28, v57
	v_mov_b32_e32 v6, v5
	v_cmp_gt_i64_e64 s[24:25], 0, v[6:7]
	v_not_b32_e32 v6, v7
	v_ashrrev_i32_e32 v6, 31, v6
	;; [unrolled: 9-line block ×5, first 2 shown]
	v_xor_b32_e32 v7, s25, v6
	v_xor_b32_e32 v6, s24, v6
	v_and_b32_e32 v4, v4, v7
	v_lshlrev_b32_e32 v7, 24, v57
	v_and_b32_e32 v58, v58, v6
	v_mov_b32_e32 v6, v5
	v_not_b32_e32 v5, v7
	v_cmp_gt_i64_e64 s[24:25], 0, v[6:7]
	v_ashrrev_i32_e32 v5, 31, v5
	ds_read_b32 v56, v32 offset:16
	v_xor_b32_e32 v6, s25, v5
	v_xor_b32_e32 v7, s24, v5
	v_and_b32_e32 v5, v4, v6
	v_and_b32_e32 v4, v58, v7
	v_mbcnt_lo_u32_b32 v6, v4, 0
	v_mbcnt_hi_u32_b32 v57, v5, v6
	v_cmp_eq_u32_e64 s[24:25], 0, v57
	v_cmp_ne_u64_e64 s[26:27], 0, v[4:5]
	s_and_b64 s[26:27], s[26:27], s[24:25]
	; wave barrier
	s_and_saveexec_b64 s[24:25], s[26:27]
	s_cbranch_execz .LBB87_49
; %bb.48:
	v_bcnt_u32_b32 v4, v4, 0
	v_bcnt_u32_b32 v4, v5, v4
	s_waitcnt lgkmcnt(0)
	v_add_u32_e32 v4, v56, v4
	ds_write_b32 v32, v4 offset:16
.LBB87_49:
	s_or_b64 exec, exec, s[24:25]
	; wave barrier
	s_waitcnt lgkmcnt(0)
	s_barrier
	ds_read2_b32 v[6:7], v22 offset0:4 offset1:5
	ds_read2_b32 v[4:5], v22 offset0:6 offset1:7
	ds_read_b32 v58, v22 offset:32
	v_min_u32_e32 v19, 0xc0, v19
	v_or_b32_e32 v19, 63, v19
	s_waitcnt lgkmcnt(1)
	v_add3_u32 v59, v7, v6, v4
	s_waitcnt lgkmcnt(0)
	v_add3_u32 v58, v59, v5, v58
	v_and_b32_e32 v59, 15, v14
	v_cmp_ne_u32_e64 s[24:25], 0, v59
	v_mov_b32_dpp v60, v58 row_shr:1 row_mask:0xf bank_mask:0xf
	s_nop 0
	v_cndmask_b32_e64 v60, 0, v60, s[24:25]
	v_add_u32_e32 v58, v60, v58
	v_cmp_lt_u32_e64 s[24:25], 1, v59
	s_nop 0
	v_mov_b32_dpp v60, v58 row_shr:2 row_mask:0xf bank_mask:0xf
	v_cndmask_b32_e64 v60, 0, v60, s[24:25]
	v_add_u32_e32 v58, v58, v60
	v_cmp_lt_u32_e64 s[24:25], 3, v59
	s_nop 0
	v_mov_b32_dpp v60, v58 row_shr:4 row_mask:0xf bank_mask:0xf
	;; [unrolled: 5-line block ×3, first 2 shown]
	v_cndmask_b32_e64 v59, 0, v60, s[24:25]
	v_add_u32_e32 v58, v58, v59
	v_bfe_i32 v60, v14, 4, 1
	v_cmp_lt_u32_e64 s[24:25], 31, v14
	v_mov_b32_dpp v59, v58 row_bcast:15 row_mask:0xf bank_mask:0xf
	v_and_b32_e32 v59, v60, v59
	v_add_u32_e32 v58, v58, v59
	s_nop 1
	v_mov_b32_dpp v59, v58 row_bcast:31 row_mask:0xf bank_mask:0xf
	v_cndmask_b32_e64 v59, 0, v59, s[24:25]
	v_add_u32_e32 v58, v58, v59
	v_lshrrev_b32_e32 v59, 6, v2
	v_cmp_eq_u32_e64 s[24:25], v2, v19
	s_and_saveexec_b64 s[26:27], s[24:25]
; %bb.50:
	v_lshlrev_b32_e32 v19, 2, v59
	ds_write_b32 v19, v58
; %bb.51:
	s_or_b64 exec, exec, s[26:27]
	v_cmp_gt_u32_e64 s[24:25], 4, v2
	s_waitcnt lgkmcnt(0)
	s_barrier
	s_and_saveexec_b64 s[26:27], s[24:25]
	s_cbranch_execz .LBB87_53
; %bb.52:
	v_lshlrev_b32_e32 v19, 2, v2
	ds_read_b32 v60, v19
	v_and_b32_e32 v61, 3, v14
	v_cmp_ne_u32_e64 s[24:25], 0, v61
	s_waitcnt lgkmcnt(0)
	v_mov_b32_dpp v62, v60 row_shr:1 row_mask:0xf bank_mask:0xf
	v_cndmask_b32_e64 v62, 0, v62, s[24:25]
	v_add_u32_e32 v60, v62, v60
	v_cmp_lt_u32_e64 s[24:25], 1, v61
	s_nop 0
	v_mov_b32_dpp v62, v60 row_shr:2 row_mask:0xf bank_mask:0xf
	v_cndmask_b32_e64 v61, 0, v62, s[24:25]
	v_add_u32_e32 v60, v60, v61
	ds_write_b32 v19, v60
.LBB87_53:
	s_or_b64 exec, exec, s[26:27]
	v_cmp_lt_u32_e64 s[24:25], 63, v2
	v_mov_b32_e32 v19, 0
	s_waitcnt lgkmcnt(0)
	s_barrier
	s_and_saveexec_b64 s[26:27], s[24:25]
; %bb.54:
	v_lshl_add_u32 v19, v59, 2, -4
	ds_read_b32 v19, v19
; %bb.55:
	s_or_b64 exec, exec, s[26:27]
	v_add_u32_e32 v59, -1, v14
	v_and_b32_e32 v60, 64, v14
	v_cmp_lt_i32_e64 s[24:25], v59, v60
	s_waitcnt lgkmcnt(0)
	v_add_u32_e32 v58, v19, v58
	v_cndmask_b32_e64 v59, v59, v14, s[24:25]
	v_lshlrev_b32_e32 v59, 2, v59
	ds_bpermute_b32 v58, v59, v58
	v_cmp_eq_u32_e64 s[24:25], 0, v14
	s_waitcnt lgkmcnt(0)
	s_nop 0
	v_cndmask_b32_e64 v19, v58, v19, s[24:25]
	v_cmp_ne_u32_e64 s[24:25], 0, v2
	s_nop 1
	v_cndmask_b32_e64 v19, 0, v19, s[24:25]
	v_add_u32_e32 v6, v19, v6
	v_add_u32_e32 v7, v6, v7
	;; [unrolled: 1-line block ×4, first 2 shown]
	ds_write2_b32 v22, v19, v6 offset0:4 offset1:5
	ds_write2_b32 v22, v7, v4 offset0:6 offset1:7
	ds_write_b32 v22, v5 offset:32
	s_waitcnt lgkmcnt(0)
	s_barrier
	ds_read_b32 v6, v45 offset:16
	ds_read_b32 v7, v48 offset:16
	;; [unrolled: 1-line block ×13, first 2 shown]
	v_add_u32_e32 v22, 1, v2
	s_movk_i32 s24, 0x100
	v_cmp_ne_u32_e64 s[24:25], s24, v22
	v_mov_b32_e32 v5, 0xc00
	s_and_saveexec_b64 s[26:27], s[24:25]
; %bb.56:
	v_mul_u32_u24_e32 v5, 20, v22
	ds_read_b32 v5, v5 offset:16
; %bb.57:
	s_or_b64 exec, exec, s[26:27]
	s_waitcnt lgkmcnt(7)
	v_add_u32_e32 v33, v24, v23
	s_waitcnt lgkmcnt(6)
	v_add3_u32 v32, v27, v25, v26
	v_add3_u32 v24, v46, v44, v6
	v_lshlrev_b32_e32 v6, 2, v33
	s_waitcnt lgkmcnt(5)
	v_add3_u32 v29, v30, v28, v29
	s_waitcnt lgkmcnt(0)
	s_barrier
	ds_write_b32 v6, v9 offset:2048
	v_lshlrev_b32_e32 v6, 2, v32
	v_add3_u32 v28, v34, v31, v51
	ds_write_b32 v6, v8 offset:2048
	v_lshlrev_b32_e32 v6, 2, v29
	v_add3_u32 v27, v37, v35, v36
	;; [unrolled: 3-line block ×4, first 2 shown]
	ds_write_b32 v6, v13 offset:2048
	v_lshlrev_b32_e32 v6, 2, v26
	ds_write_b32 v6, v12 offset:2048
	v_lshlrev_b32_e32 v6, 2, v25
	v_add3_u32 v23, v49, v47, v7
	ds_write_b32 v6, v16 offset:2048
	v_lshlrev_b32_e32 v6, 2, v24
	v_add3_u32 v22, v52, v50, v19
	;; [unrolled: 3-line block ×4, first 2 shown]
	ds_write_b32 v6, v17 offset:2048
	v_lshlrev_b32_e32 v6, 2, v19
	ds_write_b32 v6, v21 offset:2048
	v_lshlrev_b32_e32 v6, 2, v7
	ds_write_b32 v6, v20 offset:2048
	v_sub_u32_e32 v6, v5, v4
	v_lshl_add_u32 v8, s2, 8, v2
	v_mov_b32_e32 v9, 0
	v_lshl_add_u64 v[10:11], v[8:9], 2, s[70:71]
	v_or_b32_e32 v5, 2.0, v6
	s_mov_b64 s[26:27], 0
	s_brev_b32 s34, -4
	s_mov_b32 s35, s3
	v_mov_b32_e32 v15, 0
	s_waitcnt lgkmcnt(0)
	s_barrier
	global_store_dword v[10:11], v5, off sc1
                                        ; implicit-def: $sgpr24_sgpr25
	s_branch .LBB87_60
.LBB87_58:                              ;   in Loop: Header=BB87_60 Depth=1
	s_or_b64 exec, exec, s[30:31]
.LBB87_59:                              ;   in Loop: Header=BB87_60 Depth=1
	s_or_b64 exec, exec, s[28:29]
	v_and_b32_e32 v8, 0x3fffffff, v5
	v_add_u32_e32 v15, v8, v15
	v_cmp_gt_i32_e64 s[24:25], -2.0, v5
	s_and_b64 s[28:29], exec, s[24:25]
	s_or_b64 s[26:27], s[28:29], s[26:27]
	s_andn2_b64 exec, exec, s[26:27]
	s_cbranch_execz .LBB87_65
.LBB87_60:                              ; =>This Loop Header: Depth=1
                                        ;     Child Loop BB87_63 Depth 2
	s_or_b64 s[24:25], s[24:25], exec
	s_cmp_eq_u32 s35, 0
	s_cbranch_scc1 .LBB87_64
; %bb.61:                               ;   in Loop: Header=BB87_60 Depth=1
	s_add_i32 s35, s35, -1
	v_lshl_add_u32 v8, s35, 8, v2
	v_lshl_add_u64 v[12:13], v[8:9], 2, s[70:71]
	global_load_dword v5, v[12:13], off sc1
	s_waitcnt vmcnt(0)
	v_cmp_gt_u32_e64 s[24:25], 2.0, v5
	s_and_saveexec_b64 s[28:29], s[24:25]
	s_cbranch_execz .LBB87_59
; %bb.62:                               ;   in Loop: Header=BB87_60 Depth=1
	s_mov_b64 s[30:31], 0
.LBB87_63:                              ;   Parent Loop BB87_60 Depth=1
                                        ; =>  This Inner Loop Header: Depth=2
	global_load_dword v5, v[12:13], off sc1
	s_waitcnt vmcnt(0)
	v_cmp_lt_u32_e64 s[24:25], s34, v5
	s_or_b64 s[30:31], s[24:25], s[30:31]
	s_andn2_b64 exec, exec, s[30:31]
	s_cbranch_execnz .LBB87_63
	s_branch .LBB87_58
.LBB87_64:                              ;   in Loop: Header=BB87_60 Depth=1
                                        ; implicit-def: $sgpr35
	s_and_b64 s[28:29], exec, s[24:25]
	s_or_b64 s[26:27], s[28:29], s[26:27]
	s_andn2_b64 exec, exec, s[26:27]
	s_cbranch_execnz .LBB87_60
.LBB87_65:
	s_or_b64 exec, exec, s[26:27]
	v_add_u32_e32 v5, v15, v6
	v_or_b32_e32 v5, 0x80000000, v5
	v_lshlrev_b32_e32 v8, 3, v2
	global_store_dword v[10:11], v5, off sc1
	global_load_dwordx2 v[10:11], v8, s[60:61]
	v_sub_co_u32_e64 v12, s[24:25], v15, v4
	v_mov_b32_e32 v5, 0
	s_nop 0
	v_subb_co_u32_e64 v13, s[24:25], 0, 0, s[24:25]
	v_cmp_gt_u32_e64 s[24:25], s66, v2
	s_waitcnt vmcnt(0)
	v_lshl_add_u64 v[10:11], v[12:13], 0, v[10:11]
	ds_write_b64 v8, v[10:11]
	s_waitcnt lgkmcnt(0)
	s_barrier
	s_and_saveexec_b64 s[26:27], s[24:25]
	s_cbranch_execz .LBB87_67
; %bb.66:
	v_lshlrev_b32_e32 v10, 2, v2
	v_sub_u32_e32 v9, v8, v10
	ds_read_b32 v9, v9 offset:2048
	s_waitcnt lgkmcnt(0)
	v_lshrrev_b32_e32 v11, s64, v9
	v_and_b32_e32 v11, s72, v11
	v_lshlrev_b32_e32 v11, 3, v11
	ds_read_b64 v[12:13], v11
	v_mov_b32_e32 v11, v5
	v_xor_b32_e32 v9, 0x7fffffff, v9
	s_waitcnt lgkmcnt(0)
	v_lshl_add_u64 v[12:13], v[12:13], 2, s[54:55]
	v_lshl_add_u64 v[10:11], v[12:13], 0, v[10:11]
	global_store_dword v[10:11], v9, off
.LBB87_67:
	s_or_b64 exec, exec, s[26:27]
	v_add_u32_e32 v9, 0x100, v2
	v_cmp_gt_u32_e64 s[26:27], s66, v9
	s_and_saveexec_b64 s[28:29], s[26:27]
	s_cbranch_execz .LBB87_69
; %bb.68:
	v_lshlrev_b32_e32 v10, 2, v2
	v_sub_u32_e32 v9, v8, v10
	ds_read_b32 v9, v9 offset:3072
	s_waitcnt lgkmcnt(0)
	v_lshrrev_b32_e32 v11, s64, v9
	v_and_b32_e32 v11, s72, v11
	v_lshlrev_b32_e32 v11, 3, v11
	ds_read_b64 v[12:13], v11
	v_mov_b32_e32 v11, 0
	v_xor_b32_e32 v9, 0x7fffffff, v9
	s_waitcnt lgkmcnt(0)
	v_lshl_add_u64 v[12:13], v[12:13], 2, s[54:55]
	v_lshl_add_u64 v[10:11], v[12:13], 0, v[10:11]
	global_store_dword v[10:11], v9, off offset:1024
.LBB87_69:
	s_or_b64 exec, exec, s[28:29]
	v_add_u32_e32 v12, 0x200, v2
	v_cmp_gt_u32_e64 s[28:29], s66, v12
	s_and_saveexec_b64 s[30:31], s[28:29]
	s_cbranch_execz .LBB87_71
; %bb.70:
	v_lshlrev_b32_e32 v10, 2, v2
	v_sub_u32_e32 v9, v8, v10
	ds_read_b32 v9, v9 offset:4096
	s_waitcnt lgkmcnt(0)
	v_lshrrev_b32_e32 v11, s64, v9
	v_and_b32_e32 v11, s72, v11
	v_lshlrev_b32_e32 v11, 3, v11
	ds_read_b64 v[16:17], v11
	v_mov_b32_e32 v11, 0
	v_xor_b32_e32 v9, 0x7fffffff, v9
	s_waitcnt lgkmcnt(0)
	v_lshl_add_u64 v[16:17], v[16:17], 2, s[54:55]
	v_lshl_add_u64 v[10:11], v[16:17], 0, v[10:11]
	global_store_dword v[10:11], v9, off offset:2048
.LBB87_71:
	;; [unrolled: 21-line block ×3, first 2 shown]
	s_or_b64 exec, exec, s[34:35]
	v_or_b32_e32 v15, 0x400, v2
	v_cmp_gt_u32_e64 s[34:35], s66, v15
	s_and_saveexec_b64 s[36:37], s[34:35]
	s_cbranch_execz .LBB87_75
; %bb.74:
	v_lshlrev_b32_e32 v9, 2, v2
	v_sub_u32_e32 v9, v8, v9
	ds_read_b32 v9, v9 offset:6144
	v_lshlrev_b32_e32 v16, 2, v15
	v_mov_b32_e32 v17, 0
	s_waitcnt lgkmcnt(0)
	v_lshrrev_b32_e32 v10, s64, v9
	v_and_b32_e32 v10, s72, v10
	v_lshlrev_b32_e32 v10, 3, v10
	ds_read_b64 v[10:11], v10
	v_xor_b32_e32 v9, 0x7fffffff, v9
	s_waitcnt lgkmcnt(0)
	v_lshl_add_u64 v[10:11], v[10:11], 2, s[54:55]
	v_lshl_add_u64 v[10:11], v[10:11], 0, v[16:17]
	global_store_dword v[10:11], v9, off
.LBB87_75:
	s_or_b64 exec, exec, s[36:37]
	v_add_u32_e32 v16, 0x500, v2
	v_cmp_gt_u32_e64 s[36:37], s66, v16
	s_and_saveexec_b64 s[38:39], s[36:37]
	s_cbranch_execz .LBB87_77
; %bb.76:
	v_lshlrev_b32_e32 v9, 2, v2
	v_sub_u32_e32 v9, v8, v9
	ds_read_b32 v9, v9 offset:7168
	v_lshlrev_b32_e32 v20, 2, v16
	v_mov_b32_e32 v21, 0
	s_waitcnt lgkmcnt(0)
	v_lshrrev_b32_e32 v10, s64, v9
	v_and_b32_e32 v10, s72, v10
	v_lshlrev_b32_e32 v10, 3, v10
	ds_read_b64 v[10:11], v10
	v_xor_b32_e32 v9, 0x7fffffff, v9
	s_waitcnt lgkmcnt(0)
	v_lshl_add_u64 v[10:11], v[10:11], 2, s[54:55]
	v_lshl_add_u64 v[10:11], v[10:11], 0, v[20:21]
	global_store_dword v[10:11], v9, off
.LBB87_77:
	s_or_b64 exec, exec, s[38:39]
	v_add_u32_e32 v17, 0x600, v2
	;; [unrolled: 22-line block ×3, first 2 shown]
	v_cmp_gt_u32_e64 s[40:41], s66, v18
	s_and_saveexec_b64 s[42:43], s[40:41]
	s_cbranch_execz .LBB87_81
; %bb.80:
	v_lshlrev_b32_e32 v9, 2, v2
	ds_read_b32 v9, v9 offset:9216
	v_lshlrev_b32_e32 v20, 2, v18
	v_mov_b32_e32 v21, 0
	s_waitcnt lgkmcnt(0)
	v_lshrrev_b32_e32 v10, s64, v9
	v_and_b32_e32 v10, s72, v10
	v_lshlrev_b32_e32 v10, 3, v10
	ds_read_b64 v[10:11], v10
	v_xor_b32_e32 v9, 0x7fffffff, v9
	s_waitcnt lgkmcnt(0)
	v_lshl_add_u64 v[10:11], v[10:11], 2, s[54:55]
	v_lshl_add_u64 v[10:11], v[10:11], 0, v[20:21]
	global_store_dword v[10:11], v9, off
.LBB87_81:
	s_or_b64 exec, exec, s[42:43]
	v_or_b32_e32 v20, 0x800, v2
	v_cmp_gt_u32_e64 s[42:43], s66, v20
	s_and_saveexec_b64 s[44:45], s[42:43]
	s_cbranch_execz .LBB87_83
; %bb.82:
	v_lshlrev_b32_e32 v9, 2, v2
	ds_read_b32 v9, v9 offset:10240
	v_lshlrev_b32_e32 v30, 2, v20
	v_mov_b32_e32 v31, 0
	s_waitcnt lgkmcnt(0)
	v_lshrrev_b32_e32 v10, s64, v9
	v_and_b32_e32 v10, s72, v10
	v_lshlrev_b32_e32 v10, 3, v10
	ds_read_b64 v[10:11], v10
	v_xor_b32_e32 v9, 0x7fffffff, v9
	s_waitcnt lgkmcnt(0)
	v_lshl_add_u64 v[10:11], v[10:11], 2, s[54:55]
	v_lshl_add_u64 v[10:11], v[10:11], 0, v[30:31]
	global_store_dword v[10:11], v9, off
.LBB87_83:
	s_or_b64 exec, exec, s[44:45]
	v_add_u32_e32 v21, 0x900, v2
	v_cmp_gt_u32_e64 s[44:45], s66, v21
	s_and_saveexec_b64 s[46:47], s[44:45]
	s_cbranch_execz .LBB87_85
; %bb.84:
	v_lshlrev_b32_e32 v9, 2, v2
	ds_read_b32 v9, v9 offset:11264
	v_lshlrev_b32_e32 v30, 2, v21
	v_mov_b32_e32 v31, 0
	s_waitcnt lgkmcnt(0)
	v_lshrrev_b32_e32 v10, s64, v9
	v_and_b32_e32 v10, s72, v10
	v_lshlrev_b32_e32 v10, 3, v10
	ds_read_b64 v[10:11], v10
	v_xor_b32_e32 v9, 0x7fffffff, v9
	s_waitcnt lgkmcnt(0)
	v_lshl_add_u64 v[10:11], v[10:11], 2, s[54:55]
	v_lshl_add_u64 v[10:11], v[10:11], 0, v[30:31]
	global_store_dword v[10:11], v9, off
.LBB87_85:
	s_or_b64 exec, exec, s[46:47]
	v_add_u32_e32 v30, 0xa00, v2
	;; [unrolled: 21-line block ×3, first 2 shown]
	v_cmp_gt_u32_e64 s[48:49], s66, v31
	s_and_saveexec_b64 s[66:67], s[48:49]
	s_cbranch_execz .LBB87_89
; %bb.88:
	v_lshlrev_b32_e32 v9, 2, v2
	ds_read_b32 v9, v9 offset:13312
	v_lshlrev_b32_e32 v34, 2, v31
	v_mov_b32_e32 v35, 0
	s_waitcnt lgkmcnt(0)
	v_lshrrev_b32_e32 v10, s64, v9
	v_and_b32_e32 v10, s72, v10
	v_lshlrev_b32_e32 v10, 3, v10
	ds_read_b64 v[10:11], v10
	v_xor_b32_e32 v9, 0x7fffffff, v9
	s_waitcnt lgkmcnt(0)
	v_lshl_add_u64 v[10:11], v[10:11], 2, s[54:55]
	v_lshl_add_u64 v[10:11], v[10:11], 0, v[34:35]
	global_store_dword v[10:11], v9, off
.LBB87_89:
	s_or_b64 exec, exec, s[66:67]
	s_lshl_b64 s[66:67], s[68:69], 3
	s_add_u32 s66, s56, s66
	s_addc_u32 s67, s57, s67
	v_lshlrev_b32_e32 v10, 3, v14
	v_mov_b32_e32 v11, 0
	v_lshl_add_u64 v[34:35], s[66:67], 0, v[10:11]
	v_lshlrev_b32_e32 v10, 3, v3
	v_lshl_add_u64 v[10:11], v[34:35], 0, v[10:11]
                                        ; implicit-def: $vgpr42_vgpr43
	s_and_saveexec_b64 s[66:67], vcc
	s_xor_b64 s[66:67], exec, s[66:67]
	s_cbranch_execz .LBB87_101
; %bb.90:
	global_load_dwordx2 v[42:43], v[10:11], off
	s_or_b64 exec, exec, s[66:67]
                                        ; implicit-def: $vgpr44_vgpr45
	s_and_saveexec_b64 s[66:67], s[50:51]
	s_cbranch_execnz .LBB87_102
.LBB87_91:
	s_or_b64 exec, exec, s[66:67]
                                        ; implicit-def: $vgpr46_vgpr47
	s_and_saveexec_b64 s[50:51], s[4:5]
	s_cbranch_execz .LBB87_103
.LBB87_92:
	global_load_dwordx2 v[46:47], v[10:11], off offset:1024
	s_or_b64 exec, exec, s[50:51]
                                        ; implicit-def: $vgpr48_vgpr49
	s_and_saveexec_b64 s[4:5], s[6:7]
	s_cbranch_execnz .LBB87_104
.LBB87_93:
	s_or_b64 exec, exec, s[4:5]
                                        ; implicit-def: $vgpr50_vgpr51
	s_and_saveexec_b64 s[4:5], s[8:9]
	s_cbranch_execz .LBB87_105
.LBB87_94:
	global_load_dwordx2 v[50:51], v[10:11], off offset:2048
	s_or_b64 exec, exec, s[4:5]
                                        ; implicit-def: $vgpr52_vgpr53
	s_and_saveexec_b64 s[4:5], s[10:11]
	s_cbranch_execnz .LBB87_106
.LBB87_95:
	s_or_b64 exec, exec, s[4:5]
                                        ; implicit-def: $vgpr54_vgpr55
	s_and_saveexec_b64 s[4:5], s[12:13]
	s_cbranch_execz .LBB87_107
.LBB87_96:
	global_load_dwordx2 v[54:55], v[10:11], off offset:3072
	s_or_b64 exec, exec, s[4:5]
                                        ; implicit-def: $vgpr56_vgpr57
	s_and_saveexec_b64 s[4:5], s[18:19]
	s_cbranch_execnz .LBB87_108
.LBB87_97:
	s_or_b64 exec, exec, s[4:5]
                                        ; implicit-def: $vgpr58_vgpr59
	s_and_saveexec_b64 s[4:5], s[22:23]
	s_cbranch_execz .LBB87_109
.LBB87_98:
	v_add_co_u32_e32 v34, vcc, 0x1000, v10
	s_nop 1
	v_addc_co_u32_e32 v35, vcc, 0, v11, vcc
	global_load_dwordx2 v[58:59], v[34:35], off
	s_or_b64 exec, exec, s[4:5]
                                        ; implicit-def: $vgpr60_vgpr61
	s_and_saveexec_b64 s[4:5], s[20:21]
	s_cbranch_execnz .LBB87_110
.LBB87_99:
	s_or_b64 exec, exec, s[4:5]
                                        ; implicit-def: $vgpr62_vgpr63
	s_and_saveexec_b64 s[4:5], s[16:17]
	s_cbranch_execz .LBB87_111
.LBB87_100:
	v_add_co_u32_e32 v34, vcc, 0x1000, v10
	s_nop 1
	v_addc_co_u32_e32 v35, vcc, 0, v11, vcc
	global_load_dwordx2 v[62:63], v[34:35], off offset:1024
	s_or_b64 exec, exec, s[4:5]
                                        ; implicit-def: $vgpr64_vgpr65
	s_and_saveexec_b64 s[4:5], s[14:15]
	s_cbranch_execnz .LBB87_112
	s_branch .LBB87_113
.LBB87_101:
	s_or_b64 exec, exec, s[66:67]
                                        ; implicit-def: $vgpr44_vgpr45
	s_and_saveexec_b64 s[66:67], s[50:51]
	s_cbranch_execz .LBB87_91
.LBB87_102:
	global_load_dwordx2 v[44:45], v[10:11], off offset:512
	s_or_b64 exec, exec, s[66:67]
                                        ; implicit-def: $vgpr46_vgpr47
	s_and_saveexec_b64 s[50:51], s[4:5]
	s_cbranch_execnz .LBB87_92
.LBB87_103:
	s_or_b64 exec, exec, s[50:51]
                                        ; implicit-def: $vgpr48_vgpr49
	s_and_saveexec_b64 s[4:5], s[6:7]
	s_cbranch_execz .LBB87_93
.LBB87_104:
	global_load_dwordx2 v[48:49], v[10:11], off offset:1536
	s_or_b64 exec, exec, s[4:5]
                                        ; implicit-def: $vgpr50_vgpr51
	s_and_saveexec_b64 s[4:5], s[8:9]
	s_cbranch_execnz .LBB87_94
.LBB87_105:
	s_or_b64 exec, exec, s[4:5]
                                        ; implicit-def: $vgpr52_vgpr53
	s_and_saveexec_b64 s[4:5], s[10:11]
	s_cbranch_execz .LBB87_95
.LBB87_106:
	global_load_dwordx2 v[52:53], v[10:11], off offset:2560
	s_or_b64 exec, exec, s[4:5]
                                        ; implicit-def: $vgpr54_vgpr55
	s_and_saveexec_b64 s[4:5], s[12:13]
	s_cbranch_execnz .LBB87_96
.LBB87_107:
	s_or_b64 exec, exec, s[4:5]
                                        ; implicit-def: $vgpr56_vgpr57
	s_and_saveexec_b64 s[4:5], s[18:19]
	s_cbranch_execz .LBB87_97
.LBB87_108:
	global_load_dwordx2 v[56:57], v[10:11], off offset:3584
	s_or_b64 exec, exec, s[4:5]
                                        ; implicit-def: $vgpr58_vgpr59
	s_and_saveexec_b64 s[4:5], s[22:23]
	s_cbranch_execnz .LBB87_98
.LBB87_109:
	s_or_b64 exec, exec, s[4:5]
                                        ; implicit-def: $vgpr60_vgpr61
	s_and_saveexec_b64 s[4:5], s[20:21]
	s_cbranch_execz .LBB87_99
.LBB87_110:
	v_add_co_u32_e32 v34, vcc, 0x1000, v10
	s_nop 1
	v_addc_co_u32_e32 v35, vcc, 0, v11, vcc
	global_load_dwordx2 v[60:61], v[34:35], off offset:512
	s_or_b64 exec, exec, s[4:5]
                                        ; implicit-def: $vgpr62_vgpr63
	s_and_saveexec_b64 s[4:5], s[16:17]
	s_cbranch_execnz .LBB87_100
.LBB87_111:
	s_or_b64 exec, exec, s[4:5]
                                        ; implicit-def: $vgpr64_vgpr65
	s_and_saveexec_b64 s[4:5], s[14:15]
	s_cbranch_execz .LBB87_113
.LBB87_112:
	v_add_co_u32_e32 v10, vcc, 0x1000, v10
	s_nop 1
	v_addc_co_u32_e32 v11, vcc, 0, v11, vcc
	global_load_dwordx2 v[64:65], v[10:11], off offset:1536
.LBB87_113:
	s_or_b64 exec, exec, s[4:5]
	v_mov_b32_e32 v38, 0
	v_mov_b32_e32 v9, 0
	s_and_saveexec_b64 s[4:5], s[24:25]
	s_cbranch_execz .LBB87_115
; %bb.114:
	v_lshlrev_b32_e32 v3, 2, v2
	ds_read_b32 v3, v3 offset:2048
	s_waitcnt lgkmcnt(0)
	v_lshrrev_b32_e32 v3, s64, v3
	v_and_b32_e32 v9, s72, v3
.LBB87_115:
	s_or_b64 exec, exec, s[4:5]
	s_and_saveexec_b64 s[4:5], s[26:27]
	s_cbranch_execz .LBB87_117
; %bb.116:
	v_lshlrev_b32_e32 v3, 2, v2
	ds_read_b32 v3, v3 offset:3072
	s_waitcnt lgkmcnt(0)
	v_lshrrev_b32_e32 v3, s64, v3
	v_and_b32_e32 v38, s72, v3
.LBB87_117:
	s_or_b64 exec, exec, s[4:5]
	v_mov_b32_e32 v36, 0
	v_mov_b32_e32 v40, 0
	s_and_saveexec_b64 s[4:5], s[28:29]
	s_cbranch_execz .LBB87_119
; %bb.118:
	v_lshlrev_b32_e32 v3, 2, v2
	ds_read_b32 v3, v3 offset:4096
	s_waitcnt lgkmcnt(0)
	v_lshrrev_b32_e32 v3, s64, v3
	v_and_b32_e32 v40, s72, v3
.LBB87_119:
	s_or_b64 exec, exec, s[4:5]
	s_and_saveexec_b64 s[4:5], s[30:31]
	s_cbranch_execz .LBB87_121
; %bb.120:
	v_lshlrev_b32_e32 v3, 2, v2
	ds_read_b32 v3, v3 offset:5120
	s_waitcnt lgkmcnt(0)
	v_lshrrev_b32_e32 v3, s64, v3
	v_and_b32_e32 v36, s72, v3
.LBB87_121:
	;; [unrolled: 22-line block ×6, first 2 shown]
	s_or_b64 exec, exec, s[4:5]
	v_lshlrev_b32_e32 v2, 3, v33
	s_barrier
	s_waitcnt vmcnt(0)
	ds_write_b64 v2, v[42:43] offset:2048
	v_lshlrev_b32_e32 v2, 3, v32
	ds_write_b64 v2, v[44:45] offset:2048
	v_lshlrev_b32_e32 v2, 3, v29
	ds_write_b64 v2, v[46:47] offset:2048
	v_lshlrev_b32_e32 v2, 3, v28
	ds_write_b64 v2, v[48:49] offset:2048
	v_lshlrev_b32_e32 v2, 3, v27
	ds_write_b64 v2, v[50:51] offset:2048
	v_lshlrev_b32_e32 v2, 3, v26
	ds_write_b64 v2, v[52:53] offset:2048
	v_lshlrev_b32_e32 v2, 3, v25
	ds_write_b64 v2, v[54:55] offset:2048
	v_lshlrev_b32_e32 v2, 3, v24
	ds_write_b64 v2, v[56:57] offset:2048
	v_lshlrev_b32_e32 v2, 3, v23
	ds_write_b64 v2, v[58:59] offset:2048
	v_lshlrev_b32_e32 v2, 3, v22
	ds_write_b64 v2, v[60:61] offset:2048
	v_lshlrev_b32_e32 v2, 3, v19
	ds_write_b64 v2, v[62:63] offset:2048
	v_lshlrev_b32_e32 v2, 3, v7
	ds_write_b64 v2, v[64:65] offset:2048
	s_waitcnt lgkmcnt(0)
	s_barrier
	s_and_saveexec_b64 s[4:5], s[24:25]
	s_cbranch_execz .LBB87_196
; %bb.138:
	v_lshlrev_b32_e32 v2, 3, v9
	ds_read_b64 v[22:23], v2
	ds_read_b64 v[24:25], v8 offset:2048
	v_mov_b32_e32 v9, 0
	s_waitcnt lgkmcnt(1)
	v_lshl_add_u64 v[22:23], v[22:23], 3, s[58:59]
	v_lshl_add_u64 v[22:23], v[22:23], 0, v[8:9]
	s_waitcnt lgkmcnt(0)
	global_store_dwordx2 v[22:23], v[24:25], off
	s_or_b64 exec, exec, s[4:5]
	s_and_saveexec_b64 s[4:5], s[26:27]
	s_cbranch_execnz .LBB87_197
.LBB87_139:
	s_or_b64 exec, exec, s[4:5]
	s_and_saveexec_b64 s[4:5], s[28:29]
	s_cbranch_execz .LBB87_198
.LBB87_140:
	v_lshlrev_b32_e32 v2, 3, v40
	ds_read_b64 v[22:23], v2
	ds_read_b64 v[24:25], v8 offset:6144
	v_lshlrev_b32_e32 v26, 3, v12
	v_mov_b32_e32 v27, 0
	s_waitcnt lgkmcnt(1)
	v_lshl_add_u64 v[22:23], v[22:23], 3, s[58:59]
	v_lshl_add_u64 v[22:23], v[22:23], 0, v[26:27]
	s_waitcnt lgkmcnt(0)
	global_store_dwordx2 v[22:23], v[24:25], off
	s_or_b64 exec, exec, s[4:5]
	s_and_saveexec_b64 s[4:5], s[30:31]
	s_cbranch_execnz .LBB87_199
.LBB87_141:
	s_or_b64 exec, exec, s[4:5]
	s_and_saveexec_b64 s[4:5], s[34:35]
	s_cbranch_execz .LBB87_200
.LBB87_142:
	v_lshlrev_b32_e32 v2, 3, v39
	ds_read_b64 v[12:13], v2
	ds_read_b64 v[22:23], v8 offset:10240
	v_lshlrev_b32_e32 v24, 3, v15
	v_mov_b32_e32 v25, 0
	s_waitcnt lgkmcnt(1)
	v_lshl_add_u64 v[12:13], v[12:13], 3, s[58:59]
	v_lshl_add_u64 v[12:13], v[12:13], 0, v[24:25]
	s_waitcnt lgkmcnt(0)
	global_store_dwordx2 v[12:13], v[22:23], off
	s_or_b64 exec, exec, s[4:5]
	s_and_saveexec_b64 s[4:5], s[36:37]
	s_cbranch_execnz .LBB87_201
.LBB87_143:
	s_or_b64 exec, exec, s[4:5]
	s_and_saveexec_b64 s[4:5], s[38:39]
	s_cbranch_execz .LBB87_202
.LBB87_144:
	v_lshlrev_b32_e32 v2, 3, v37
	ds_read_b64 v[12:13], v2
	ds_read_b64 v[22:23], v8 offset:14336
	v_lshlrev_b32_e32 v16, 3, v17
	v_mov_b32_e32 v17, 0
	s_waitcnt lgkmcnt(1)
	v_lshl_add_u64 v[12:13], v[12:13], 3, s[58:59]
	v_lshl_add_u64 v[12:13], v[12:13], 0, v[16:17]
	s_waitcnt lgkmcnt(0)
	global_store_dwordx2 v[12:13], v[22:23], off
	s_or_b64 exec, exec, s[4:5]
	s_and_saveexec_b64 s[4:5], s[40:41]
	s_cbranch_execnz .LBB87_203
.LBB87_145:
	s_or_b64 exec, exec, s[4:5]
	s_and_saveexec_b64 s[4:5], s[42:43]
	s_cbranch_execz .LBB87_204
.LBB87_146:
	v_lshlrev_b32_e32 v2, 3, v35
	ds_read_b64 v[12:13], v2
	ds_read_b64 v[16:17], v8 offset:18432
	v_lshlrev_b32_e32 v18, 3, v20
	v_mov_b32_e32 v19, 0
	s_waitcnt lgkmcnt(1)
	v_lshl_add_u64 v[12:13], v[12:13], 3, s[58:59]
	v_lshl_add_u64 v[12:13], v[12:13], 0, v[18:19]
	s_waitcnt lgkmcnt(0)
	global_store_dwordx2 v[12:13], v[16:17], off
	s_or_b64 exec, exec, s[4:5]
	s_and_saveexec_b64 s[4:5], s[44:45]
	s_cbranch_execnz .LBB87_205
.LBB87_147:
	s_or_b64 exec, exec, s[4:5]
	s_and_saveexec_b64 s[4:5], s[46:47]
	s_cbranch_execz .LBB87_206
.LBB87_148:
	v_lshlrev_b32_e32 v2, 3, v14
	ds_read_b64 v[10:11], v2
	ds_read_b64 v[12:13], v8 offset:22528
	v_lshlrev_b32_e32 v14, 3, v30
	v_mov_b32_e32 v15, 0
	s_waitcnt lgkmcnt(1)
	v_lshl_add_u64 v[10:11], v[10:11], 3, s[58:59]
	v_lshl_add_u64 v[10:11], v[10:11], 0, v[14:15]
	s_waitcnt lgkmcnt(0)
	global_store_dwordx2 v[10:11], v[12:13], off
	s_or_b64 exec, exec, s[4:5]
	s_and_saveexec_b64 s[4:5], s[48:49]
	s_cbranch_execnz .LBB87_207
.LBB87_149:
	s_or_b64 exec, exec, s[4:5]
	s_add_i32 s33, s33, -1
	s_cmp_eq_u32 s2, s33
	s_cbranch_scc0 .LBB87_151
.LBB87_150:
	ds_read_b64 v[2:3], v8
	v_mov_b32_e32 v7, 0
	v_lshl_add_u64 v[4:5], v[6:7], 0, v[4:5]
	s_waitcnt lgkmcnt(0)
	v_lshl_add_u64 v[2:3], v[4:5], 0, v[2:3]
	global_store_dwordx2 v8, v[2:3], s[62:63]
.LBB87_151:
	s_mov_b64 s[4:5], 0
.LBB87_152:
	s_and_b64 vcc, exec, s[4:5]
	s_cbranch_vccz .LBB87_195
; %bb.153:
	s_mov_b32 s69, 0
	s_lshl_b64 s[4:5], s[68:69], 2
	s_add_u32 s4, s52, s4
	v_mbcnt_hi_u32_b32 v9, -1, v1
	v_and_b32_e32 v8, 0xc0, v0
	s_addc_u32 s5, s53, s5
	v_mul_u32_u24_e32 v3, 12, v8
	v_mov_b32_e32 v5, 0
	v_lshlrev_b32_e32 v4, 2, v9
	v_lshl_add_u64 v[6:7], s[4:5], 0, v[4:5]
	v_lshlrev_b32_e32 v4, 2, v3
	v_lshl_add_u64 v[12:13], v[6:7], 0, v[4:5]
	global_load_dword v1, v[12:13], off
	s_load_dword s4, s[0:1], 0x5c
	s_load_dword s10, s[0:1], 0x50
	s_add_u32 s0, s0, 0x50
	s_addc_u32 s1, s1, 0
	v_and_b32_e32 v2, 0x3ff, v0
	s_waitcnt lgkmcnt(0)
	s_lshr_b32 s4, s4, 16
	s_cmp_lt_u32 s2, s10
	s_cselect_b32 s5, 12, 18
	s_add_u32 s0, s0, s5
	s_addc_u32 s1, s1, 0
	global_load_ushort v10, v5, s[0:1]
	v_mul_u32_u24_e32 v6, 20, v2
	ds_write2_b32 v6, v5, v5 offset0:4 offset1:5
	ds_write2_b32 v6, v5, v5 offset0:6 offset1:7
	ds_write_b32 v6, v5 offset:32
	global_load_dword v11, v[12:13], off offset:256
	global_load_dword v15, v[12:13], off offset:512
	;; [unrolled: 1-line block ×11, first 2 shown]
	v_bfe_u32 v4, v0, 10, 10
	v_bfe_u32 v7, v0, 20, 10
	v_mad_u32_u24 v12, v7, s4, v4
	s_lshl_b32 s0, -1, s65
	v_mov_b32_e32 v0, v5
	s_not_b32 s11, s0
	v_mov_b32_e32 v16, v5
	v_mov_b32_e32 v22, v5
	;; [unrolled: 1-line block ×3, first 2 shown]
	s_waitcnt lgkmcnt(0)
	s_barrier
	s_waitcnt vmcnt(12)
	; wave barrier
	v_xor_b32_e32 v7, 0x7fffffff, v1
	v_lshrrev_b32_e32 v1, s64, v7
	v_bitop3_b32 v14, v1, s0, v1 bitop3:0x30
	v_and_b32_e32 v4, 1, v14
	v_lshlrev_b32_e32 v1, 30, v14
	v_lshlrev_b32_e32 v17, 29, v14
	v_lshl_add_u64 v[32:33], v[4:5], 0, -1
	v_cmp_ne_u32_e32 vcc, 0, v4
	v_lshlrev_b32_e32 v23, 28, v14
	v_lshlrev_b32_e32 v29, 27, v14
	s_waitcnt vmcnt(11)
	v_mad_u64_u32 v[12:13], s[0:1], v12, v10, v[2:3]
	v_cmp_gt_i64_e64 s[0:1], 0, v[0:1]
	v_not_b32_e32 v0, v1
	v_not_b32_e32 v1, v17
	v_lshrrev_b32_e32 v20, 6, v12
	v_xor_b32_e32 v12, vcc_hi, v33
	v_xor_b32_e32 v13, vcc_lo, v32
	v_ashrrev_i32_e32 v0, 31, v0
	v_mul_lo_u32 v18, v14, 20
	v_cmp_gt_i64_e64 s[4:5], 0, v[16:17]
	v_not_b32_e32 v4, v23
	v_not_b32_e32 v10, v29
	v_ashrrev_i32_e32 v1, 31, v1
	v_and_b32_e32 v12, exec_hi, v12
	v_and_b32_e32 v13, exec_lo, v13
	v_xor_b32_e32 v17, s1, v0
	v_xor_b32_e32 v0, s0, v0
	v_cmp_gt_i64_e64 s[6:7], 0, v[22:23]
	v_ashrrev_i32_e32 v4, 31, v4
	v_ashrrev_i32_e32 v16, 31, v10
	v_lshl_add_u32 v10, v20, 2, v18
	v_xor_b32_e32 v18, s5, v1
	v_xor_b32_e32 v1, s4, v1
	v_and_b32_e32 v12, v12, v17
	v_and_b32_e32 v0, v13, v0
	v_cmp_gt_i64_e64 s[8:9], 0, v[28:29]
	v_xor_b32_e32 v22, s7, v4
	v_xor_b32_e32 v4, s6, v4
	v_and_b32_e32 v12, v12, v18
	v_and_b32_e32 v0, v0, v1
	v_xor_b32_e32 v23, s9, v16
	v_xor_b32_e32 v16, s8, v16
	v_and_b32_e32 v1, v12, v22
	v_and_b32_e32 v0, v0, v4
	;; [unrolled: 1-line block ×4, first 2 shown]
	v_lshlrev_b32_e32 v1, 26, v14
	v_mov_b32_e32 v0, v5
	v_cmp_gt_i64_e32 vcc, 0, v[0:1]
	v_not_b32_e32 v0, v1
	v_ashrrev_i32_e32 v0, 31, v0
	v_xor_b32_e32 v1, vcc_hi, v0
	v_xor_b32_e32 v0, vcc_lo, v0
	v_and_b32_e32 v4, v4, v1
	v_and_b32_e32 v12, v12, v0
	v_lshlrev_b32_e32 v1, 25, v14
	v_mov_b32_e32 v0, v5
	v_cmp_gt_i64_e32 vcc, 0, v[0:1]
	v_not_b32_e32 v0, v1
	v_ashrrev_i32_e32 v0, 31, v0
	v_xor_b32_e32 v1, vcc_hi, v0
	v_xor_b32_e32 v0, vcc_lo, v0
	v_and_b32_e32 v4, v4, v1
	v_and_b32_e32 v12, v12, v0
	;; [unrolled: 9-line block ×3, first 2 shown]
	v_mbcnt_lo_u32_b32 v4, v0, 0
	v_mbcnt_hi_u32_b32 v12, v1, v4
	v_cmp_eq_u32_e32 vcc, 0, v12
	v_cmp_ne_u64_e64 s[0:1], 0, v[0:1]
	s_and_b64 s[4:5], s[0:1], vcc
	s_and_saveexec_b64 s[0:1], s[4:5]
; %bb.154:
	v_bcnt_u32_b32 v0, v0, 0
	v_bcnt_u32_b32 v0, v1, v0
	ds_write_b32 v10, v0 offset:16
; %bb.155:
	s_or_b64 exec, exec, s[0:1]
	s_waitcnt vmcnt(10)
	v_xor_b32_e32 v11, 0x7fffffff, v11
	v_lshrrev_b32_e32 v0, s64, v11
	v_and_b32_e32 v16, s11, v0
	v_mul_lo_u32 v0, v16, 20
	v_and_b32_e32 v4, 1, v16
	v_lshl_add_u32 v14, v20, 2, v0
	v_lshl_add_u64 v[0:1], v[4:5], 0, -1
	v_cmp_ne_u32_e32 vcc, 0, v4
	; wave barrier
	s_nop 1
	v_xor_b32_e32 v1, vcc_hi, v1
	v_xor_b32_e32 v0, vcc_lo, v0
	v_and_b32_e32 v4, exec_hi, v1
	v_and_b32_e32 v17, exec_lo, v0
	v_lshlrev_b32_e32 v1, 30, v16
	v_mov_b32_e32 v0, v5
	v_cmp_gt_i64_e32 vcc, 0, v[0:1]
	v_not_b32_e32 v0, v1
	v_ashrrev_i32_e32 v0, 31, v0
	v_xor_b32_e32 v1, vcc_hi, v0
	v_xor_b32_e32 v0, vcc_lo, v0
	v_and_b32_e32 v4, v4, v1
	v_and_b32_e32 v17, v17, v0
	v_lshlrev_b32_e32 v1, 29, v16
	v_mov_b32_e32 v0, v5
	v_cmp_gt_i64_e32 vcc, 0, v[0:1]
	v_not_b32_e32 v0, v1
	v_ashrrev_i32_e32 v0, 31, v0
	v_xor_b32_e32 v1, vcc_hi, v0
	v_xor_b32_e32 v0, vcc_lo, v0
	v_and_b32_e32 v4, v4, v1
	v_and_b32_e32 v17, v17, v0
	;; [unrolled: 9-line block ×6, first 2 shown]
	v_lshlrev_b32_e32 v1, 24, v16
	v_mov_b32_e32 v0, v5
	v_cmp_gt_i64_e32 vcc, 0, v[0:1]
	v_not_b32_e32 v0, v1
	v_ashrrev_i32_e32 v0, 31, v0
	v_xor_b32_e32 v1, vcc_hi, v0
	v_xor_b32_e32 v0, vcc_lo, v0
	ds_read_b32 v13, v14 offset:16
	v_and_b32_e32 v0, v17, v0
	v_and_b32_e32 v1, v4, v1
	v_mbcnt_lo_u32_b32 v4, v0, 0
	v_mbcnt_hi_u32_b32 v16, v1, v4
	v_cmp_eq_u32_e32 vcc, 0, v16
	v_cmp_ne_u64_e64 s[0:1], 0, v[0:1]
	s_and_b64 s[4:5], s[0:1], vcc
	; wave barrier
	s_and_saveexec_b64 s[0:1], s[4:5]
	s_cbranch_execz .LBB87_157
; %bb.156:
	v_bcnt_u32_b32 v0, v0, 0
	v_bcnt_u32_b32 v0, v1, v0
	s_waitcnt lgkmcnt(0)
	v_add_u32_e32 v0, v13, v0
	ds_write_b32 v14, v0 offset:16
.LBB87_157:
	s_or_b64 exec, exec, s[0:1]
	s_waitcnt vmcnt(9)
	v_xor_b32_e32 v15, 0x7fffffff, v15
	v_lshrrev_b32_e32 v0, s64, v15
	v_and_b32_e32 v22, s11, v0
	v_mul_lo_u32 v0, v22, 20
	v_lshl_add_u32 v18, v20, 2, v0
	v_and_b32_e32 v0, 1, v22
	v_mov_b32_e32 v1, 0
	v_lshl_add_u64 v[4:5], v[0:1], 0, -1
	v_cmp_ne_u32_e32 vcc, 0, v0
	; wave barrier
	s_nop 1
	v_xor_b32_e32 v4, vcc_lo, v4
	v_xor_b32_e32 v0, vcc_hi, v5
	v_and_b32_e32 v23, exec_lo, v4
	v_lshlrev_b32_e32 v5, 30, v22
	v_mov_b32_e32 v4, v1
	v_cmp_gt_i64_e32 vcc, 0, v[4:5]
	v_not_b32_e32 v4, v5
	v_ashrrev_i32_e32 v4, 31, v4
	v_and_b32_e32 v0, exec_hi, v0
	v_xor_b32_e32 v5, vcc_hi, v4
	v_xor_b32_e32 v4, vcc_lo, v4
	v_and_b32_e32 v0, v0, v5
	v_and_b32_e32 v23, v23, v4
	v_lshlrev_b32_e32 v5, 29, v22
	v_mov_b32_e32 v4, v1
	v_cmp_gt_i64_e32 vcc, 0, v[4:5]
	v_not_b32_e32 v4, v5
	v_ashrrev_i32_e32 v4, 31, v4
	v_xor_b32_e32 v5, vcc_hi, v4
	v_xor_b32_e32 v4, vcc_lo, v4
	v_and_b32_e32 v0, v0, v5
	v_and_b32_e32 v23, v23, v4
	v_lshlrev_b32_e32 v5, 28, v22
	v_mov_b32_e32 v4, v1
	v_cmp_gt_i64_e32 vcc, 0, v[4:5]
	v_not_b32_e32 v4, v5
	v_ashrrev_i32_e32 v4, 31, v4
	;; [unrolled: 9-line block ×6, first 2 shown]
	v_xor_b32_e32 v5, vcc_hi, v4
	v_xor_b32_e32 v4, vcc_lo, v4
	ds_read_b32 v17, v18 offset:16
	v_and_b32_e32 v4, v23, v4
	v_and_b32_e32 v5, v0, v5
	v_mbcnt_lo_u32_b32 v0, v4, 0
	v_mbcnt_hi_u32_b32 v22, v5, v0
	v_cmp_eq_u32_e32 vcc, 0, v22
	v_cmp_ne_u64_e64 s[0:1], 0, v[4:5]
	s_and_b64 s[4:5], s[0:1], vcc
	; wave barrier
	s_and_saveexec_b64 s[0:1], s[4:5]
	s_cbranch_execz .LBB87_159
; %bb.158:
	v_bcnt_u32_b32 v0, v4, 0
	v_bcnt_u32_b32 v0, v5, v0
	s_waitcnt lgkmcnt(0)
	v_add_u32_e32 v0, v17, v0
	ds_write_b32 v18, v0 offset:16
.LBB87_159:
	s_or_b64 exec, exec, s[0:1]
	s_waitcnt vmcnt(8)
	v_xor_b32_e32 v21, 0x7fffffff, v21
	v_lshrrev_b32_e32 v0, s64, v21
	v_and_b32_e32 v27, s11, v0
	v_mul_lo_u32 v0, v27, 20
	v_lshl_add_u32 v24, v20, 2, v0
	v_and_b32_e32 v0, 1, v27
	v_lshl_add_u64 v[4:5], v[0:1], 0, -1
	v_cmp_ne_u32_e32 vcc, 0, v0
	; wave barrier
	s_nop 1
	v_xor_b32_e32 v4, vcc_lo, v4
	v_xor_b32_e32 v0, vcc_hi, v5
	v_and_b32_e32 v28, exec_lo, v4
	v_lshlrev_b32_e32 v5, 30, v27
	v_mov_b32_e32 v4, v1
	v_cmp_gt_i64_e32 vcc, 0, v[4:5]
	v_not_b32_e32 v4, v5
	v_ashrrev_i32_e32 v4, 31, v4
	v_and_b32_e32 v0, exec_hi, v0
	v_xor_b32_e32 v5, vcc_hi, v4
	v_xor_b32_e32 v4, vcc_lo, v4
	v_and_b32_e32 v0, v0, v5
	v_and_b32_e32 v28, v28, v4
	v_lshlrev_b32_e32 v5, 29, v27
	v_mov_b32_e32 v4, v1
	v_cmp_gt_i64_e32 vcc, 0, v[4:5]
	v_not_b32_e32 v4, v5
	v_ashrrev_i32_e32 v4, 31, v4
	v_xor_b32_e32 v5, vcc_hi, v4
	v_xor_b32_e32 v4, vcc_lo, v4
	v_and_b32_e32 v0, v0, v5
	v_and_b32_e32 v28, v28, v4
	v_lshlrev_b32_e32 v5, 28, v27
	v_mov_b32_e32 v4, v1
	v_cmp_gt_i64_e32 vcc, 0, v[4:5]
	v_not_b32_e32 v4, v5
	v_ashrrev_i32_e32 v4, 31, v4
	v_xor_b32_e32 v5, vcc_hi, v4
	v_xor_b32_e32 v4, vcc_lo, v4
	v_and_b32_e32 v0, v0, v5
	v_and_b32_e32 v28, v28, v4
	v_lshlrev_b32_e32 v5, 27, v27
	v_mov_b32_e32 v4, v1
	v_cmp_gt_i64_e32 vcc, 0, v[4:5]
	v_not_b32_e32 v4, v5
	v_ashrrev_i32_e32 v4, 31, v4
	v_xor_b32_e32 v5, vcc_hi, v4
	v_xor_b32_e32 v4, vcc_lo, v4
	v_and_b32_e32 v0, v0, v5
	v_and_b32_e32 v28, v28, v4
	v_lshlrev_b32_e32 v5, 26, v27
	v_mov_b32_e32 v4, v1
	v_cmp_gt_i64_e32 vcc, 0, v[4:5]
	v_not_b32_e32 v4, v5
	v_ashrrev_i32_e32 v4, 31, v4
	v_xor_b32_e32 v5, vcc_hi, v4
	v_xor_b32_e32 v4, vcc_lo, v4
	v_and_b32_e32 v0, v0, v5
	v_and_b32_e32 v28, v28, v4
	v_lshlrev_b32_e32 v5, 25, v27
	v_mov_b32_e32 v4, v1
	v_cmp_gt_i64_e32 vcc, 0, v[4:5]
	v_not_b32_e32 v4, v5
	v_ashrrev_i32_e32 v4, 31, v4
	v_xor_b32_e32 v5, vcc_hi, v4
	v_xor_b32_e32 v4, vcc_lo, v4
	v_and_b32_e32 v0, v0, v5
	v_lshlrev_b32_e32 v5, 24, v27
	v_and_b32_e32 v28, v28, v4
	v_mov_b32_e32 v4, v1
	v_not_b32_e32 v1, v5
	v_cmp_gt_i64_e32 vcc, 0, v[4:5]
	v_ashrrev_i32_e32 v1, 31, v1
	ds_read_b32 v23, v24 offset:16
	v_xor_b32_e32 v4, vcc_hi, v1
	v_xor_b32_e32 v5, vcc_lo, v1
	v_and_b32_e32 v1, v0, v4
	v_and_b32_e32 v0, v28, v5
	v_mbcnt_lo_u32_b32 v4, v0, 0
	v_mbcnt_hi_u32_b32 v27, v1, v4
	v_cmp_eq_u32_e32 vcc, 0, v27
	v_cmp_ne_u64_e64 s[0:1], 0, v[0:1]
	s_and_b64 s[4:5], s[0:1], vcc
	; wave barrier
	s_and_saveexec_b64 s[0:1], s[4:5]
	s_cbranch_execz .LBB87_161
; %bb.160:
	v_bcnt_u32_b32 v0, v0, 0
	v_bcnt_u32_b32 v0, v1, v0
	s_waitcnt lgkmcnt(0)
	v_add_u32_e32 v0, v23, v0
	ds_write_b32 v24, v0 offset:16
.LBB87_161:
	s_or_b64 exec, exec, s[0:1]
	s_waitcnt vmcnt(7)
	v_xor_b32_e32 v26, 0x7fffffff, v26
	v_lshrrev_b32_e32 v0, s64, v26
	v_and_b32_e32 v32, s11, v0
	v_mul_lo_u32 v0, v32, 20
	v_lshl_add_u32 v29, v20, 2, v0
	v_and_b32_e32 v0, 1, v32
	v_mov_b32_e32 v1, 0
	v_lshl_add_u64 v[4:5], v[0:1], 0, -1
	v_cmp_ne_u32_e32 vcc, 0, v0
	; wave barrier
	s_nop 1
	v_xor_b32_e32 v4, vcc_lo, v4
	v_xor_b32_e32 v0, vcc_hi, v5
	v_and_b32_e32 v33, exec_lo, v4
	v_lshlrev_b32_e32 v5, 30, v32
	v_mov_b32_e32 v4, v1
	v_cmp_gt_i64_e32 vcc, 0, v[4:5]
	v_not_b32_e32 v4, v5
	v_ashrrev_i32_e32 v4, 31, v4
	v_and_b32_e32 v0, exec_hi, v0
	v_xor_b32_e32 v5, vcc_hi, v4
	v_xor_b32_e32 v4, vcc_lo, v4
	v_and_b32_e32 v0, v0, v5
	v_and_b32_e32 v33, v33, v4
	v_lshlrev_b32_e32 v5, 29, v32
	v_mov_b32_e32 v4, v1
	v_cmp_gt_i64_e32 vcc, 0, v[4:5]
	v_not_b32_e32 v4, v5
	v_ashrrev_i32_e32 v4, 31, v4
	v_xor_b32_e32 v5, vcc_hi, v4
	v_xor_b32_e32 v4, vcc_lo, v4
	v_and_b32_e32 v0, v0, v5
	v_and_b32_e32 v33, v33, v4
	v_lshlrev_b32_e32 v5, 28, v32
	v_mov_b32_e32 v4, v1
	v_cmp_gt_i64_e32 vcc, 0, v[4:5]
	v_not_b32_e32 v4, v5
	v_ashrrev_i32_e32 v4, 31, v4
	;; [unrolled: 9-line block ×6, first 2 shown]
	v_xor_b32_e32 v5, vcc_hi, v4
	v_xor_b32_e32 v4, vcc_lo, v4
	ds_read_b32 v28, v29 offset:16
	v_and_b32_e32 v4, v33, v4
	v_and_b32_e32 v5, v0, v5
	v_mbcnt_lo_u32_b32 v0, v4, 0
	v_mbcnt_hi_u32_b32 v32, v5, v0
	v_cmp_eq_u32_e32 vcc, 0, v32
	v_cmp_ne_u64_e64 s[0:1], 0, v[4:5]
	s_and_b64 s[4:5], s[0:1], vcc
	; wave barrier
	s_and_saveexec_b64 s[0:1], s[4:5]
	s_cbranch_execz .LBB87_163
; %bb.162:
	v_bcnt_u32_b32 v0, v4, 0
	v_bcnt_u32_b32 v0, v5, v0
	s_waitcnt lgkmcnt(0)
	v_add_u32_e32 v0, v28, v0
	ds_write_b32 v29, v0 offset:16
.LBB87_163:
	s_or_b64 exec, exec, s[0:1]
	s_waitcnt vmcnt(6)
	v_xor_b32_e32 v31, 0x7fffffff, v31
	v_lshrrev_b32_e32 v0, s64, v31
	v_and_b32_e32 v37, s11, v0
	v_mul_lo_u32 v0, v37, 20
	v_lshl_add_u32 v34, v20, 2, v0
	v_and_b32_e32 v0, 1, v37
	v_lshl_add_u64 v[4:5], v[0:1], 0, -1
	v_cmp_ne_u32_e32 vcc, 0, v0
	; wave barrier
	s_nop 1
	v_xor_b32_e32 v4, vcc_lo, v4
	v_xor_b32_e32 v0, vcc_hi, v5
	v_and_b32_e32 v38, exec_lo, v4
	v_lshlrev_b32_e32 v5, 30, v37
	v_mov_b32_e32 v4, v1
	v_cmp_gt_i64_e32 vcc, 0, v[4:5]
	v_not_b32_e32 v4, v5
	v_ashrrev_i32_e32 v4, 31, v4
	v_and_b32_e32 v0, exec_hi, v0
	v_xor_b32_e32 v5, vcc_hi, v4
	v_xor_b32_e32 v4, vcc_lo, v4
	v_and_b32_e32 v0, v0, v5
	v_and_b32_e32 v38, v38, v4
	v_lshlrev_b32_e32 v5, 29, v37
	v_mov_b32_e32 v4, v1
	v_cmp_gt_i64_e32 vcc, 0, v[4:5]
	v_not_b32_e32 v4, v5
	v_ashrrev_i32_e32 v4, 31, v4
	v_xor_b32_e32 v5, vcc_hi, v4
	v_xor_b32_e32 v4, vcc_lo, v4
	v_and_b32_e32 v0, v0, v5
	v_and_b32_e32 v38, v38, v4
	v_lshlrev_b32_e32 v5, 28, v37
	v_mov_b32_e32 v4, v1
	v_cmp_gt_i64_e32 vcc, 0, v[4:5]
	v_not_b32_e32 v4, v5
	v_ashrrev_i32_e32 v4, 31, v4
	;; [unrolled: 9-line block ×5, first 2 shown]
	v_xor_b32_e32 v5, vcc_hi, v4
	v_xor_b32_e32 v4, vcc_lo, v4
	v_and_b32_e32 v0, v0, v5
	v_lshlrev_b32_e32 v5, 24, v37
	v_and_b32_e32 v38, v38, v4
	v_mov_b32_e32 v4, v1
	v_not_b32_e32 v1, v5
	v_cmp_gt_i64_e32 vcc, 0, v[4:5]
	v_ashrrev_i32_e32 v1, 31, v1
	ds_read_b32 v33, v34 offset:16
	v_xor_b32_e32 v4, vcc_hi, v1
	v_xor_b32_e32 v5, vcc_lo, v1
	v_and_b32_e32 v1, v0, v4
	v_and_b32_e32 v0, v38, v5
	v_mbcnt_lo_u32_b32 v4, v0, 0
	v_mbcnt_hi_u32_b32 v37, v1, v4
	v_cmp_eq_u32_e32 vcc, 0, v37
	v_cmp_ne_u64_e64 s[0:1], 0, v[0:1]
	s_and_b64 s[4:5], s[0:1], vcc
	; wave barrier
	s_and_saveexec_b64 s[0:1], s[4:5]
	s_cbranch_execz .LBB87_165
; %bb.164:
	v_bcnt_u32_b32 v0, v0, 0
	v_bcnt_u32_b32 v0, v1, v0
	s_waitcnt lgkmcnt(0)
	v_add_u32_e32 v0, v33, v0
	ds_write_b32 v34, v0 offset:16
.LBB87_165:
	s_or_b64 exec, exec, s[0:1]
	s_waitcnt vmcnt(5)
	v_xor_b32_e32 v36, 0x7fffffff, v36
	v_lshrrev_b32_e32 v0, s64, v36
	v_and_b32_e32 v41, s11, v0
	v_mul_lo_u32 v0, v41, 20
	v_lshl_add_u32 v39, v20, 2, v0
	v_and_b32_e32 v0, 1, v41
	v_mov_b32_e32 v1, 0
	v_lshl_add_u64 v[4:5], v[0:1], 0, -1
	v_cmp_ne_u32_e32 vcc, 0, v0
	; wave barrier
	s_nop 1
	v_xor_b32_e32 v4, vcc_lo, v4
	v_xor_b32_e32 v0, vcc_hi, v5
	v_and_b32_e32 v42, exec_lo, v4
	v_lshlrev_b32_e32 v5, 30, v41
	v_mov_b32_e32 v4, v1
	v_cmp_gt_i64_e32 vcc, 0, v[4:5]
	v_not_b32_e32 v4, v5
	v_ashrrev_i32_e32 v4, 31, v4
	v_and_b32_e32 v0, exec_hi, v0
	v_xor_b32_e32 v5, vcc_hi, v4
	v_xor_b32_e32 v4, vcc_lo, v4
	v_and_b32_e32 v0, v0, v5
	v_and_b32_e32 v42, v42, v4
	v_lshlrev_b32_e32 v5, 29, v41
	v_mov_b32_e32 v4, v1
	v_cmp_gt_i64_e32 vcc, 0, v[4:5]
	v_not_b32_e32 v4, v5
	v_ashrrev_i32_e32 v4, 31, v4
	v_xor_b32_e32 v5, vcc_hi, v4
	v_xor_b32_e32 v4, vcc_lo, v4
	v_and_b32_e32 v0, v0, v5
	v_and_b32_e32 v42, v42, v4
	v_lshlrev_b32_e32 v5, 28, v41
	v_mov_b32_e32 v4, v1
	v_cmp_gt_i64_e32 vcc, 0, v[4:5]
	v_not_b32_e32 v4, v5
	v_ashrrev_i32_e32 v4, 31, v4
	;; [unrolled: 9-line block ×6, first 2 shown]
	v_xor_b32_e32 v5, vcc_hi, v4
	v_xor_b32_e32 v4, vcc_lo, v4
	ds_read_b32 v38, v39 offset:16
	v_and_b32_e32 v4, v42, v4
	v_and_b32_e32 v5, v0, v5
	v_mbcnt_lo_u32_b32 v0, v4, 0
	v_mbcnt_hi_u32_b32 v41, v5, v0
	v_cmp_eq_u32_e32 vcc, 0, v41
	v_cmp_ne_u64_e64 s[0:1], 0, v[4:5]
	s_and_b64 s[4:5], s[0:1], vcc
	; wave barrier
	s_and_saveexec_b64 s[0:1], s[4:5]
	s_cbranch_execz .LBB87_167
; %bb.166:
	v_bcnt_u32_b32 v0, v4, 0
	v_bcnt_u32_b32 v0, v5, v0
	s_waitcnt lgkmcnt(0)
	v_add_u32_e32 v0, v38, v0
	ds_write_b32 v39, v0 offset:16
.LBB87_167:
	s_or_b64 exec, exec, s[0:1]
	s_waitcnt vmcnt(4)
	v_xor_b32_e32 v40, 0x7fffffff, v40
	v_lshrrev_b32_e32 v0, s64, v40
	v_and_b32_e32 v44, s11, v0
	v_mul_lo_u32 v0, v44, 20
	v_lshl_add_u32 v43, v20, 2, v0
	v_and_b32_e32 v0, 1, v44
	v_lshl_add_u64 v[4:5], v[0:1], 0, -1
	v_cmp_ne_u32_e32 vcc, 0, v0
	; wave barrier
	s_nop 1
	v_xor_b32_e32 v4, vcc_lo, v4
	v_xor_b32_e32 v0, vcc_hi, v5
	v_and_b32_e32 v45, exec_lo, v4
	v_lshlrev_b32_e32 v5, 30, v44
	v_mov_b32_e32 v4, v1
	v_cmp_gt_i64_e32 vcc, 0, v[4:5]
	v_not_b32_e32 v4, v5
	v_ashrrev_i32_e32 v4, 31, v4
	v_and_b32_e32 v0, exec_hi, v0
	v_xor_b32_e32 v5, vcc_hi, v4
	v_xor_b32_e32 v4, vcc_lo, v4
	v_and_b32_e32 v0, v0, v5
	v_and_b32_e32 v45, v45, v4
	v_lshlrev_b32_e32 v5, 29, v44
	v_mov_b32_e32 v4, v1
	v_cmp_gt_i64_e32 vcc, 0, v[4:5]
	v_not_b32_e32 v4, v5
	v_ashrrev_i32_e32 v4, 31, v4
	v_xor_b32_e32 v5, vcc_hi, v4
	v_xor_b32_e32 v4, vcc_lo, v4
	v_and_b32_e32 v0, v0, v5
	v_and_b32_e32 v45, v45, v4
	v_lshlrev_b32_e32 v5, 28, v44
	v_mov_b32_e32 v4, v1
	v_cmp_gt_i64_e32 vcc, 0, v[4:5]
	v_not_b32_e32 v4, v5
	v_ashrrev_i32_e32 v4, 31, v4
	v_xor_b32_e32 v5, vcc_hi, v4
	v_xor_b32_e32 v4, vcc_lo, v4
	v_and_b32_e32 v0, v0, v5
	v_and_b32_e32 v45, v45, v4
	v_lshlrev_b32_e32 v5, 27, v44
	v_mov_b32_e32 v4, v1
	v_cmp_gt_i64_e32 vcc, 0, v[4:5]
	v_not_b32_e32 v4, v5
	v_ashrrev_i32_e32 v4, 31, v4
	v_xor_b32_e32 v5, vcc_hi, v4
	v_xor_b32_e32 v4, vcc_lo, v4
	v_and_b32_e32 v0, v0, v5
	v_and_b32_e32 v45, v45, v4
	v_lshlrev_b32_e32 v5, 26, v44
	v_mov_b32_e32 v4, v1
	v_cmp_gt_i64_e32 vcc, 0, v[4:5]
	v_not_b32_e32 v4, v5
	v_ashrrev_i32_e32 v4, 31, v4
	v_xor_b32_e32 v5, vcc_hi, v4
	v_xor_b32_e32 v4, vcc_lo, v4
	v_and_b32_e32 v0, v0, v5
	v_and_b32_e32 v45, v45, v4
	v_lshlrev_b32_e32 v5, 25, v44
	v_mov_b32_e32 v4, v1
	v_cmp_gt_i64_e32 vcc, 0, v[4:5]
	v_not_b32_e32 v4, v5
	v_ashrrev_i32_e32 v4, 31, v4
	v_xor_b32_e32 v5, vcc_hi, v4
	v_xor_b32_e32 v4, vcc_lo, v4
	v_and_b32_e32 v0, v0, v5
	v_lshlrev_b32_e32 v5, 24, v44
	v_and_b32_e32 v45, v45, v4
	v_mov_b32_e32 v4, v1
	v_not_b32_e32 v1, v5
	v_cmp_gt_i64_e32 vcc, 0, v[4:5]
	v_ashrrev_i32_e32 v1, 31, v1
	ds_read_b32 v42, v43 offset:16
	v_xor_b32_e32 v4, vcc_hi, v1
	v_xor_b32_e32 v5, vcc_lo, v1
	v_and_b32_e32 v1, v0, v4
	v_and_b32_e32 v0, v45, v5
	v_mbcnt_lo_u32_b32 v4, v0, 0
	v_mbcnt_hi_u32_b32 v44, v1, v4
	v_cmp_eq_u32_e32 vcc, 0, v44
	v_cmp_ne_u64_e64 s[0:1], 0, v[0:1]
	s_and_b64 s[4:5], s[0:1], vcc
	; wave barrier
	s_and_saveexec_b64 s[0:1], s[4:5]
	s_cbranch_execz .LBB87_169
; %bb.168:
	v_bcnt_u32_b32 v0, v0, 0
	v_bcnt_u32_b32 v0, v1, v0
	s_waitcnt lgkmcnt(0)
	v_add_u32_e32 v0, v42, v0
	ds_write_b32 v43, v0 offset:16
.LBB87_169:
	s_or_b64 exec, exec, s[0:1]
	s_waitcnt vmcnt(3)
	v_xor_b32_e32 v35, 0x7fffffff, v35
	v_lshrrev_b32_e32 v0, s64, v35
	v_and_b32_e32 v47, s11, v0
	v_mul_lo_u32 v0, v47, 20
	v_lshl_add_u32 v46, v20, 2, v0
	v_and_b32_e32 v0, 1, v47
	v_mov_b32_e32 v1, 0
	v_lshl_add_u64 v[4:5], v[0:1], 0, -1
	v_cmp_ne_u32_e32 vcc, 0, v0
	; wave barrier
	s_nop 1
	v_xor_b32_e32 v4, vcc_lo, v4
	v_xor_b32_e32 v0, vcc_hi, v5
	v_and_b32_e32 v48, exec_lo, v4
	v_lshlrev_b32_e32 v5, 30, v47
	v_mov_b32_e32 v4, v1
	v_cmp_gt_i64_e32 vcc, 0, v[4:5]
	v_not_b32_e32 v4, v5
	v_ashrrev_i32_e32 v4, 31, v4
	v_and_b32_e32 v0, exec_hi, v0
	v_xor_b32_e32 v5, vcc_hi, v4
	v_xor_b32_e32 v4, vcc_lo, v4
	v_and_b32_e32 v0, v0, v5
	v_and_b32_e32 v48, v48, v4
	v_lshlrev_b32_e32 v5, 29, v47
	v_mov_b32_e32 v4, v1
	v_cmp_gt_i64_e32 vcc, 0, v[4:5]
	v_not_b32_e32 v4, v5
	v_ashrrev_i32_e32 v4, 31, v4
	v_xor_b32_e32 v5, vcc_hi, v4
	v_xor_b32_e32 v4, vcc_lo, v4
	v_and_b32_e32 v0, v0, v5
	v_and_b32_e32 v48, v48, v4
	v_lshlrev_b32_e32 v5, 28, v47
	v_mov_b32_e32 v4, v1
	v_cmp_gt_i64_e32 vcc, 0, v[4:5]
	v_not_b32_e32 v4, v5
	v_ashrrev_i32_e32 v4, 31, v4
	;; [unrolled: 9-line block ×6, first 2 shown]
	v_xor_b32_e32 v5, vcc_hi, v4
	v_xor_b32_e32 v4, vcc_lo, v4
	ds_read_b32 v45, v46 offset:16
	v_and_b32_e32 v4, v48, v4
	v_and_b32_e32 v5, v0, v5
	v_mbcnt_lo_u32_b32 v0, v4, 0
	v_mbcnt_hi_u32_b32 v47, v5, v0
	v_cmp_eq_u32_e32 vcc, 0, v47
	v_cmp_ne_u64_e64 s[0:1], 0, v[4:5]
	s_and_b64 s[4:5], s[0:1], vcc
	; wave barrier
	s_and_saveexec_b64 s[0:1], s[4:5]
	s_cbranch_execz .LBB87_171
; %bb.170:
	v_bcnt_u32_b32 v0, v4, 0
	v_bcnt_u32_b32 v0, v5, v0
	s_waitcnt lgkmcnt(0)
	v_add_u32_e32 v0, v45, v0
	ds_write_b32 v46, v0 offset:16
.LBB87_171:
	s_or_b64 exec, exec, s[0:1]
	s_waitcnt vmcnt(2)
	v_xor_b32_e32 v30, 0x7fffffff, v30
	v_lshrrev_b32_e32 v0, s64, v30
	v_and_b32_e32 v50, s11, v0
	v_mul_lo_u32 v0, v50, 20
	v_lshl_add_u32 v49, v20, 2, v0
	v_and_b32_e32 v0, 1, v50
	v_lshl_add_u64 v[4:5], v[0:1], 0, -1
	v_cmp_ne_u32_e32 vcc, 0, v0
	; wave barrier
	s_nop 1
	v_xor_b32_e32 v4, vcc_lo, v4
	v_xor_b32_e32 v0, vcc_hi, v5
	v_and_b32_e32 v51, exec_lo, v4
	v_lshlrev_b32_e32 v5, 30, v50
	v_mov_b32_e32 v4, v1
	v_cmp_gt_i64_e32 vcc, 0, v[4:5]
	v_not_b32_e32 v4, v5
	v_ashrrev_i32_e32 v4, 31, v4
	v_and_b32_e32 v0, exec_hi, v0
	v_xor_b32_e32 v5, vcc_hi, v4
	v_xor_b32_e32 v4, vcc_lo, v4
	v_and_b32_e32 v0, v0, v5
	v_and_b32_e32 v51, v51, v4
	v_lshlrev_b32_e32 v5, 29, v50
	v_mov_b32_e32 v4, v1
	v_cmp_gt_i64_e32 vcc, 0, v[4:5]
	v_not_b32_e32 v4, v5
	v_ashrrev_i32_e32 v4, 31, v4
	v_xor_b32_e32 v5, vcc_hi, v4
	v_xor_b32_e32 v4, vcc_lo, v4
	v_and_b32_e32 v0, v0, v5
	v_and_b32_e32 v51, v51, v4
	v_lshlrev_b32_e32 v5, 28, v50
	v_mov_b32_e32 v4, v1
	v_cmp_gt_i64_e32 vcc, 0, v[4:5]
	v_not_b32_e32 v4, v5
	v_ashrrev_i32_e32 v4, 31, v4
	;; [unrolled: 9-line block ×5, first 2 shown]
	v_xor_b32_e32 v5, vcc_hi, v4
	v_xor_b32_e32 v4, vcc_lo, v4
	v_and_b32_e32 v0, v0, v5
	v_lshlrev_b32_e32 v5, 24, v50
	v_and_b32_e32 v51, v51, v4
	v_mov_b32_e32 v4, v1
	v_not_b32_e32 v1, v5
	v_cmp_gt_i64_e32 vcc, 0, v[4:5]
	v_ashrrev_i32_e32 v1, 31, v1
	ds_read_b32 v48, v49 offset:16
	v_xor_b32_e32 v4, vcc_hi, v1
	v_xor_b32_e32 v5, vcc_lo, v1
	v_and_b32_e32 v1, v0, v4
	v_and_b32_e32 v0, v51, v5
	v_mbcnt_lo_u32_b32 v4, v0, 0
	v_mbcnt_hi_u32_b32 v51, v1, v4
	v_cmp_eq_u32_e32 vcc, 0, v51
	v_cmp_ne_u64_e64 s[0:1], 0, v[0:1]
	s_and_b64 s[4:5], s[0:1], vcc
	; wave barrier
	s_and_saveexec_b64 s[0:1], s[4:5]
	s_cbranch_execz .LBB87_173
; %bb.172:
	v_bcnt_u32_b32 v0, v0, 0
	v_bcnt_u32_b32 v0, v1, v0
	s_waitcnt lgkmcnt(0)
	v_add_u32_e32 v0, v48, v0
	ds_write_b32 v49, v0 offset:16
.LBB87_173:
	s_or_b64 exec, exec, s[0:1]
	s_waitcnt vmcnt(1)
	v_xor_b32_e32 v50, 0x7fffffff, v25
	v_lshrrev_b32_e32 v0, s64, v50
	v_and_b32_e32 v53, s11, v0
	v_mul_lo_u32 v0, v53, 20
	v_lshl_add_u32 v25, v20, 2, v0
	v_and_b32_e32 v0, 1, v53
	v_mov_b32_e32 v1, 0
	v_lshl_add_u64 v[4:5], v[0:1], 0, -1
	v_cmp_ne_u32_e32 vcc, 0, v0
	; wave barrier
	s_nop 1
	v_xor_b32_e32 v4, vcc_lo, v4
	v_xor_b32_e32 v0, vcc_hi, v5
	v_and_b32_e32 v54, exec_lo, v4
	v_lshlrev_b32_e32 v5, 30, v53
	v_mov_b32_e32 v4, v1
	v_cmp_gt_i64_e32 vcc, 0, v[4:5]
	v_not_b32_e32 v4, v5
	v_ashrrev_i32_e32 v4, 31, v4
	v_and_b32_e32 v0, exec_hi, v0
	v_xor_b32_e32 v5, vcc_hi, v4
	v_xor_b32_e32 v4, vcc_lo, v4
	v_and_b32_e32 v0, v0, v5
	v_and_b32_e32 v54, v54, v4
	v_lshlrev_b32_e32 v5, 29, v53
	v_mov_b32_e32 v4, v1
	v_cmp_gt_i64_e32 vcc, 0, v[4:5]
	v_not_b32_e32 v4, v5
	v_ashrrev_i32_e32 v4, 31, v4
	v_xor_b32_e32 v5, vcc_hi, v4
	v_xor_b32_e32 v4, vcc_lo, v4
	v_and_b32_e32 v0, v0, v5
	v_and_b32_e32 v54, v54, v4
	v_lshlrev_b32_e32 v5, 28, v53
	v_mov_b32_e32 v4, v1
	v_cmp_gt_i64_e32 vcc, 0, v[4:5]
	v_not_b32_e32 v4, v5
	v_ashrrev_i32_e32 v4, 31, v4
	;; [unrolled: 9-line block ×6, first 2 shown]
	v_xor_b32_e32 v5, vcc_hi, v4
	v_xor_b32_e32 v4, vcc_lo, v4
	ds_read_b32 v52, v25 offset:16
	v_and_b32_e32 v4, v54, v4
	v_and_b32_e32 v5, v0, v5
	v_mbcnt_lo_u32_b32 v0, v4, 0
	v_mbcnt_hi_u32_b32 v54, v5, v0
	v_cmp_eq_u32_e32 vcc, 0, v54
	v_cmp_ne_u64_e64 s[0:1], 0, v[4:5]
	s_and_b64 s[4:5], s[0:1], vcc
	; wave barrier
	s_and_saveexec_b64 s[0:1], s[4:5]
	s_cbranch_execz .LBB87_175
; %bb.174:
	v_bcnt_u32_b32 v0, v4, 0
	v_bcnt_u32_b32 v0, v5, v0
	s_waitcnt lgkmcnt(0)
	v_add_u32_e32 v0, v52, v0
	ds_write_b32 v25, v0 offset:16
.LBB87_175:
	s_or_b64 exec, exec, s[0:1]
	s_waitcnt vmcnt(0)
	v_xor_b32_e32 v53, 0x7fffffff, v19
	v_lshrrev_b32_e32 v0, s64, v53
	v_and_b32_e32 v56, s11, v0
	v_mul_lo_u32 v0, v56, 20
	v_lshl_add_u32 v19, v20, 2, v0
	v_and_b32_e32 v0, 1, v56
	v_lshl_add_u64 v[4:5], v[0:1], 0, -1
	v_cmp_ne_u32_e32 vcc, 0, v0
	; wave barrier
	s_nop 1
	v_xor_b32_e32 v4, vcc_lo, v4
	v_xor_b32_e32 v0, vcc_hi, v5
	v_and_b32_e32 v20, exec_lo, v4
	v_lshlrev_b32_e32 v5, 30, v56
	v_mov_b32_e32 v4, v1
	v_cmp_gt_i64_e32 vcc, 0, v[4:5]
	v_not_b32_e32 v4, v5
	v_ashrrev_i32_e32 v4, 31, v4
	v_and_b32_e32 v0, exec_hi, v0
	v_xor_b32_e32 v5, vcc_hi, v4
	v_xor_b32_e32 v4, vcc_lo, v4
	v_and_b32_e32 v0, v0, v5
	v_and_b32_e32 v20, v20, v4
	v_lshlrev_b32_e32 v5, 29, v56
	v_mov_b32_e32 v4, v1
	v_cmp_gt_i64_e32 vcc, 0, v[4:5]
	v_not_b32_e32 v4, v5
	v_ashrrev_i32_e32 v4, 31, v4
	v_xor_b32_e32 v5, vcc_hi, v4
	v_xor_b32_e32 v4, vcc_lo, v4
	v_and_b32_e32 v0, v0, v5
	v_and_b32_e32 v20, v20, v4
	v_lshlrev_b32_e32 v5, 28, v56
	v_mov_b32_e32 v4, v1
	v_cmp_gt_i64_e32 vcc, 0, v[4:5]
	v_not_b32_e32 v4, v5
	v_ashrrev_i32_e32 v4, 31, v4
	v_xor_b32_e32 v5, vcc_hi, v4
	v_xor_b32_e32 v4, vcc_lo, v4
	v_and_b32_e32 v0, v0, v5
	v_and_b32_e32 v20, v20, v4
	v_lshlrev_b32_e32 v5, 27, v56
	v_mov_b32_e32 v4, v1
	v_cmp_gt_i64_e32 vcc, 0, v[4:5]
	v_not_b32_e32 v4, v5
	v_ashrrev_i32_e32 v4, 31, v4
	v_xor_b32_e32 v5, vcc_hi, v4
	v_xor_b32_e32 v4, vcc_lo, v4
	v_and_b32_e32 v0, v0, v5
	v_and_b32_e32 v20, v20, v4
	v_lshlrev_b32_e32 v5, 26, v56
	v_mov_b32_e32 v4, v1
	v_cmp_gt_i64_e32 vcc, 0, v[4:5]
	v_not_b32_e32 v4, v5
	v_ashrrev_i32_e32 v4, 31, v4
	v_xor_b32_e32 v5, vcc_hi, v4
	v_xor_b32_e32 v4, vcc_lo, v4
	v_and_b32_e32 v0, v0, v5
	v_and_b32_e32 v20, v20, v4
	v_lshlrev_b32_e32 v5, 25, v56
	v_mov_b32_e32 v4, v1
	v_cmp_gt_i64_e32 vcc, 0, v[4:5]
	v_not_b32_e32 v4, v5
	v_ashrrev_i32_e32 v4, 31, v4
	v_xor_b32_e32 v5, vcc_hi, v4
	v_xor_b32_e32 v4, vcc_lo, v4
	v_and_b32_e32 v0, v0, v5
	v_lshlrev_b32_e32 v5, 24, v56
	v_and_b32_e32 v20, v20, v4
	v_mov_b32_e32 v4, v1
	v_not_b32_e32 v1, v5
	v_cmp_gt_i64_e32 vcc, 0, v[4:5]
	v_ashrrev_i32_e32 v1, 31, v1
	ds_read_b32 v55, v19 offset:16
	v_xor_b32_e32 v4, vcc_hi, v1
	v_xor_b32_e32 v5, vcc_lo, v1
	v_and_b32_e32 v1, v0, v4
	v_and_b32_e32 v0, v20, v5
	v_mbcnt_lo_u32_b32 v4, v0, 0
	v_mbcnt_hi_u32_b32 v56, v1, v4
	v_cmp_eq_u32_e32 vcc, 0, v56
	v_cmp_ne_u64_e64 s[0:1], 0, v[0:1]
	s_and_b64 s[4:5], s[0:1], vcc
	; wave barrier
	s_and_saveexec_b64 s[0:1], s[4:5]
	s_cbranch_execz .LBB87_177
; %bb.176:
	v_bcnt_u32_b32 v0, v0, 0
	v_bcnt_u32_b32 v0, v1, v0
	s_waitcnt lgkmcnt(0)
	v_add_u32_e32 v0, v55, v0
	ds_write_b32 v19, v0 offset:16
.LBB87_177:
	s_or_b64 exec, exec, s[0:1]
	; wave barrier
	s_waitcnt lgkmcnt(0)
	s_barrier
	ds_read2_b32 v[4:5], v6 offset0:4 offset1:5
	ds_read2_b32 v[0:1], v6 offset0:6 offset1:7
	ds_read_b32 v20, v6 offset:32
	v_min_u32_e32 v8, 0xc0, v8
	v_or_b32_e32 v8, 63, v8
	s_waitcnt lgkmcnt(1)
	v_add3_u32 v57, v5, v4, v0
	s_waitcnt lgkmcnt(0)
	v_add3_u32 v20, v57, v1, v20
	v_and_b32_e32 v57, 15, v9
	v_cmp_ne_u32_e32 vcc, 0, v57
	v_mov_b32_dpp v58, v20 row_shr:1 row_mask:0xf bank_mask:0xf
	s_nop 0
	v_cndmask_b32_e32 v58, 0, v58, vcc
	v_add_u32_e32 v20, v58, v20
	v_cmp_lt_u32_e32 vcc, 1, v57
	s_nop 0
	v_mov_b32_dpp v58, v20 row_shr:2 row_mask:0xf bank_mask:0xf
	v_cndmask_b32_e32 v58, 0, v58, vcc
	v_add_u32_e32 v20, v20, v58
	v_cmp_lt_u32_e32 vcc, 3, v57
	s_nop 0
	v_mov_b32_dpp v58, v20 row_shr:4 row_mask:0xf bank_mask:0xf
	;; [unrolled: 5-line block ×3, first 2 shown]
	v_cndmask_b32_e32 v57, 0, v58, vcc
	v_add_u32_e32 v20, v20, v57
	v_bfe_i32 v58, v9, 4, 1
	v_cmp_lt_u32_e32 vcc, 31, v9
	v_mov_b32_dpp v57, v20 row_bcast:15 row_mask:0xf bank_mask:0xf
	v_and_b32_e32 v57, v58, v57
	v_add_u32_e32 v20, v20, v57
	s_nop 1
	v_mov_b32_dpp v57, v20 row_bcast:31 row_mask:0xf bank_mask:0xf
	v_cndmask_b32_e32 v57, 0, v57, vcc
	v_add_u32_e32 v20, v20, v57
	v_lshrrev_b32_e32 v57, 6, v2
	v_cmp_eq_u32_e32 vcc, v2, v8
	s_and_saveexec_b64 s[0:1], vcc
; %bb.178:
	v_lshlrev_b32_e32 v8, 2, v57
	ds_write_b32 v8, v20
; %bb.179:
	s_or_b64 exec, exec, s[0:1]
	v_cmp_gt_u32_e32 vcc, 4, v2
	v_lshlrev_b32_e32 v8, 2, v2
	s_waitcnt lgkmcnt(0)
	s_barrier
	s_and_saveexec_b64 s[0:1], vcc
	s_cbranch_execz .LBB87_181
; %bb.180:
	ds_read_b32 v58, v8
	v_and_b32_e32 v59, 3, v9
	v_cmp_ne_u32_e32 vcc, 0, v59
	s_waitcnt lgkmcnt(0)
	v_mov_b32_dpp v60, v58 row_shr:1 row_mask:0xf bank_mask:0xf
	v_cndmask_b32_e32 v60, 0, v60, vcc
	v_add_u32_e32 v58, v60, v58
	v_cmp_lt_u32_e32 vcc, 1, v59
	s_nop 0
	v_mov_b32_dpp v60, v58 row_shr:2 row_mask:0xf bank_mask:0xf
	v_cndmask_b32_e32 v59, 0, v60, vcc
	v_add_u32_e32 v58, v58, v59
	ds_write_b32 v8, v58
.LBB87_181:
	s_or_b64 exec, exec, s[0:1]
	v_cmp_lt_u32_e32 vcc, 63, v2
	v_mov_b32_e32 v58, 0
	s_waitcnt lgkmcnt(0)
	s_barrier
	s_and_saveexec_b64 s[0:1], vcc
; %bb.182:
	v_lshl_add_u32 v57, v57, 2, -4
	ds_read_b32 v58, v57
; %bb.183:
	s_or_b64 exec, exec, s[0:1]
	v_add_u32_e32 v57, -1, v9
	v_and_b32_e32 v59, 64, v9
	v_cmp_lt_i32_e32 vcc, v57, v59
	s_waitcnt lgkmcnt(0)
	v_add_u32_e32 v20, v58, v20
	s_movk_i32 s0, 0x100
	v_cndmask_b32_e32 v57, v57, v9, vcc
	v_lshlrev_b32_e32 v57, 2, v57
	ds_bpermute_b32 v20, v57, v20
	v_cmp_eq_u32_e32 vcc, 0, v9
	s_waitcnt lgkmcnt(0)
	s_nop 0
	v_cndmask_b32_e32 v20, v20, v58, vcc
	v_cmp_ne_u32_e32 vcc, 0, v2
	s_nop 1
	v_cndmask_b32_e32 v20, 0, v20, vcc
	v_add_u32_e32 v4, v20, v4
	v_add_u32_e32 v5, v4, v5
	;; [unrolled: 1-line block ×4, first 2 shown]
	ds_write2_b32 v6, v20, v4 offset0:4 offset1:5
	ds_write2_b32 v6, v5, v0 offset0:6 offset1:7
	ds_write_b32 v6, v1 offset:32
	s_waitcnt lgkmcnt(0)
	s_barrier
	ds_read_b32 v4, v43 offset:16
	ds_read_b32 v5, v46 offset:16
	;; [unrolled: 1-line block ×13, first 2 shown]
	v_add_u32_e32 v6, 1, v2
	v_cmp_ne_u32_e32 vcc, s0, v6
	v_mov_b32_e32 v1, 0xc00
	s_and_saveexec_b64 s[0:1], vcc
; %bb.184:
	v_mul_u32_u24_e32 v1, 20, v6
	ds_read_b32 v1, v1 offset:16
; %bb.185:
	s_or_b64 exec, exec, s[0:1]
	s_waitcnt lgkmcnt(7)
	v_add_u32_e32 v29, v10, v12
	s_waitcnt lgkmcnt(6)
	v_add3_u32 v25, v16, v13, v14
	s_waitcnt lgkmcnt(5)
	v_add3_u32 v24, v22, v17, v18
	v_add3_u32 v18, v44, v42, v4
	v_lshlrev_b32_e32 v4, 2, v29
	s_waitcnt lgkmcnt(0)
	s_barrier
	ds_write_b32 v4, v7 offset:2048
	v_lshlrev_b32_e32 v4, 2, v25
	v_add3_u32 v23, v27, v23, v19
	ds_write_b32 v4, v11 offset:2048
	v_lshlrev_b32_e32 v4, 2, v24
	v_add3_u32 v22, v32, v28, v20
	;; [unrolled: 3-line block ×4, first 2 shown]
	ds_write_b32 v4, v26 offset:2048
	v_lshlrev_b32_e32 v4, 2, v20
	ds_write_b32 v4, v31 offset:2048
	v_lshlrev_b32_e32 v4, 2, v19
	v_add3_u32 v17, v47, v45, v5
	ds_write_b32 v4, v36 offset:2048
	v_lshlrev_b32_e32 v4, 2, v18
	v_add3_u32 v16, v51, v48, v43
	;; [unrolled: 3-line block ×4, first 2 shown]
	ds_write_b32 v4, v30 offset:2048
	v_lshlrev_b32_e32 v4, 2, v14
	ds_write_b32 v4, v50 offset:2048
	v_lshlrev_b32_e32 v4, 2, v5
	ds_write_b32 v4, v53 offset:2048
	v_sub_u32_e32 v4, v1, v0
	v_lshl_add_u32 v6, s2, 8, v2
	v_mov_b32_e32 v7, 0
	v_lshl_add_u64 v[10:11], v[6:7], 2, s[70:71]
	v_or_b32_e32 v1, 2.0, v4
	s_mov_b64 s[0:1], 0
	s_brev_b32 s8, -4
	v_mov_b32_e32 v15, 0
	s_waitcnt lgkmcnt(0)
	s_barrier
	global_store_dword v[10:11], v1, off sc1
                                        ; implicit-def: $sgpr4_sgpr5
	s_branch .LBB87_188
.LBB87_186:                             ;   in Loop: Header=BB87_188 Depth=1
	s_or_b64 exec, exec, s[6:7]
.LBB87_187:                             ;   in Loop: Header=BB87_188 Depth=1
	s_or_b64 exec, exec, s[4:5]
	v_and_b32_e32 v6, 0x3fffffff, v1
	v_add_u32_e32 v15, v6, v15
	v_cmp_gt_i32_e64 s[4:5], -2.0, v1
	s_and_b64 s[6:7], exec, s[4:5]
	s_or_b64 s[0:1], s[6:7], s[0:1]
	s_andn2_b64 exec, exec, s[0:1]
	s_cbranch_execz .LBB87_193
.LBB87_188:                             ; =>This Loop Header: Depth=1
                                        ;     Child Loop BB87_191 Depth 2
	s_or_b64 s[4:5], s[4:5], exec
	s_cmp_eq_u32 s3, 0
	s_cbranch_scc1 .LBB87_192
; %bb.189:                              ;   in Loop: Header=BB87_188 Depth=1
	s_add_i32 s3, s3, -1
	v_lshl_add_u32 v6, s3, 8, v2
	v_lshl_add_u64 v[12:13], v[6:7], 2, s[70:71]
	global_load_dword v1, v[12:13], off sc1
	s_waitcnt vmcnt(0)
	v_cmp_gt_u32_e32 vcc, 2.0, v1
	s_and_saveexec_b64 s[4:5], vcc
	s_cbranch_execz .LBB87_187
; %bb.190:                              ;   in Loop: Header=BB87_188 Depth=1
	s_mov_b64 s[6:7], 0
.LBB87_191:                             ;   Parent Loop BB87_188 Depth=1
                                        ; =>  This Inner Loop Header: Depth=2
	global_load_dword v1, v[12:13], off sc1
	s_waitcnt vmcnt(0)
	v_cmp_lt_u32_e32 vcc, s8, v1
	s_or_b64 s[6:7], vcc, s[6:7]
	s_andn2_b64 exec, exec, s[6:7]
	s_cbranch_execnz .LBB87_191
	s_branch .LBB87_186
.LBB87_192:                             ;   in Loop: Header=BB87_188 Depth=1
                                        ; implicit-def: $sgpr3
	s_and_b64 s[6:7], exec, s[4:5]
	s_or_b64 s[0:1], s[6:7], s[0:1]
	s_andn2_b64 exec, exec, s[0:1]
	s_cbranch_execnz .LBB87_188
.LBB87_193:
	s_or_b64 exec, exec, s[0:1]
	v_add_u32_e32 v1, v15, v4
	v_or_b32_e32 v1, 0x80000000, v1
	v_lshlrev_b32_e32 v6, 3, v2
	global_store_dword v[10:11], v1, off sc1
	global_load_dwordx2 v[10:11], v6, s[60:61]
	v_sub_co_u32_e32 v12, vcc, v15, v0
	v_mov_b32_e32 v1, 0
	s_nop 0
	v_subb_co_u32_e64 v13, s[0:1], 0, 0, vcc
	s_lshl_b64 s[0:1], s[68:69], 3
	s_add_u32 s0, s56, s0
	v_lshlrev_b32_e32 v26, 3, v9
	v_mov_b32_e32 v27, v1
	s_addc_u32 s1, s57, s1
	v_lshlrev_b32_e32 v30, 3, v3
	v_sub_u32_e32 v3, v6, v8
	v_mov_b32_e32 v31, v1
	v_lshl_add_u64 v[26:27], s[0:1], 0, v[26:27]
	v_lshl_add_u64 v[26:27], v[26:27], 0, v[30:31]
	v_or_b32_e32 v21, 0x400, v2
	v_add_u32_e32 v28, 0x500, v2
	v_mov_b32_e32 v9, v1
	v_lshlrev_b32_e32 v32, 2, v21
	v_mov_b32_e32 v33, v1
	v_lshlrev_b32_e32 v34, 2, v28
	v_mov_b32_e32 v35, v1
	s_movk_i32 s0, 0x1000
	v_add_u32_e32 v60, 0x600, v2
	v_lshlrev_b32_e32 v36, 2, v60
	v_or_b32_e32 v69, 0x800, v2
	v_mov_b32_e32 v7, v1
	s_add_i32 s10, s10, -1
	s_cmp_lg_u32 s2, s10
	s_waitcnt vmcnt(0)
	v_lshl_add_u64 v[10:11], v[12:13], 0, v[10:11]
	ds_write_b64 v6, v[10:11]
	s_waitcnt lgkmcnt(0)
	s_barrier
	ds_read2st64_b32 v[10:11], v3 offset0:8 offset1:12
	ds_read2st64_b32 v[12:13], v3 offset0:16 offset1:20
	;; [unrolled: 1-line block ×4, first 2 shown]
	global_load_dwordx2 v[40:41], v[26:27], off
	global_load_dwordx2 v[42:43], v[26:27], off offset:512
	global_load_dwordx2 v[44:45], v[26:27], off offset:1024
	s_waitcnt lgkmcnt(3)
	v_lshrrev_b32_e32 v15, s64, v10
	v_xor_b32_e32 v37, 0x7fffffff, v10
	v_lshrrev_b32_e32 v10, s64, v11
	v_xor_b32_e32 v56, 0x7fffffff, v11
	s_waitcnt lgkmcnt(2)
	v_lshrrev_b32_e32 v11, s64, v12
	v_xor_b32_e32 v57, 0x7fffffff, v12
	v_lshrrev_b32_e32 v12, s64, v13
	v_xor_b32_e32 v58, 0x7fffffff, v13
	;; [unrolled: 5-line block ×3, first 2 shown]
	s_waitcnt lgkmcnt(0)
	v_lshrrev_b32_e32 v31, s64, v38
	v_lshrrev_b32_e32 v46, s64, v39
	v_and_b32_e32 v15, s11, v15
	v_and_b32_e32 v10, s11, v10
	;; [unrolled: 1-line block ×8, first 2 shown]
	v_lshlrev_b32_e32 v15, 3, v15
	v_lshlrev_b32_e32 v62, 3, v10
	;; [unrolled: 1-line block ×8, first 2 shown]
	ds_read_b64 v[10:11], v15
	ds_read_b64 v[12:13], v62
	;; [unrolled: 1-line block ×8, first 2 shown]
	s_waitcnt lgkmcnt(7)
	v_lshl_add_u64 v[10:11], v[10:11], 2, s[54:55]
	s_waitcnt lgkmcnt(6)
	v_lshl_add_u64 v[12:13], v[12:13], 2, s[54:55]
	;; [unrolled: 2-line block ×6, first 2 shown]
	v_lshl_add_u64 v[10:11], v[10:11], 0, v[8:9]
	v_lshl_add_u64 v[12:13], v[12:13], 0, v[8:9]
	;; [unrolled: 1-line block ×6, first 2 shown]
	global_store_dword v[10:11], v37, off
	global_store_dword v[12:13], v56, off offset:1024
	global_store_dword v[30:31], v57, off offset:2048
	;; [unrolled: 1-line block ×3, first 2 shown]
	global_store_dword v[32:33], v59, off
	global_store_dword v[34:35], v61, off
	global_load_dwordx2 v[8:9], v[26:27], off offset:1536
	s_nop 0
	global_load_dwordx2 v[10:11], v[26:27], off offset:2048
	global_load_dwordx2 v[12:13], v[26:27], off offset:2560
	;; [unrolled: 1-line block ×4, first 2 shown]
	v_add_co_u32_e32 v26, vcc, s0, v26
	ds_read2st64_b32 v[50:51], v3 offset0:40 offset1:44
	s_nop 0
	v_addc_co_u32_e32 v27, vcc, 0, v27, vcc
	global_load_dwordx2 v[34:35], v[26:27], off
	global_load_dwordx2 v[46:47], v[26:27], off offset:512
	global_load_dwordx2 v[48:49], v[26:27], off offset:1024
	s_waitcnt lgkmcnt(2)
	v_lshl_add_u64 v[52:53], v[52:53], 2, s[54:55]
	global_load_dwordx2 v[26:27], v[26:27], off offset:1536
	v_mov_b32_e32 v37, v1
	v_xor_b32_e32 v38, 0x7fffffff, v38
	v_lshl_add_u64 v[36:37], v[52:53], 0, v[36:37]
	v_add_u32_e32 v61, 0x700, v2
	global_store_dword v[36:37], v38, off
	v_xor_b32_e32 v52, 0x7fffffff, v39
	s_waitcnt lgkmcnt(1)
	v_lshl_add_u64 v[36:37], v[54:55], 2, s[54:55]
	v_lshlrev_b32_e32 v38, 2, v61
	v_mov_b32_e32 v39, v1
	v_lshl_add_u64 v[36:37], v[36:37], 0, v[38:39]
	global_store_dword v[36:37], v52, off
	s_waitcnt lgkmcnt(0)
	v_lshrrev_b32_e32 v36, s64, v50
	v_and_b32_e32 v36, s11, v36
	v_lshlrev_b32_e32 v70, 3, v36
	ds_read2st64_b32 v[36:37], v3 offset0:48 offset1:52
	ds_read_b64 v[38:39], v70
	v_lshrrev_b32_e32 v3, s64, v51
	v_and_b32_e32 v3, s11, v3
	v_lshlrev_b32_e32 v71, 3, v3
	s_waitcnt lgkmcnt(1)
	v_lshrrev_b32_e32 v3, s64, v36
	v_and_b32_e32 v3, s11, v3
	v_lshlrev_b32_e32 v72, 3, v3
	v_lshrrev_b32_e32 v3, s64, v37
	v_and_b32_e32 v3, s11, v3
	v_lshlrev_b32_e32 v73, 3, v3
	ds_read_b64 v[52:53], v71
	ds_read_b64 v[54:55], v72
	;; [unrolled: 1-line block ×3, first 2 shown]
	s_waitcnt lgkmcnt(3)
	v_lshl_add_u64 v[38:39], v[38:39], 2, s[54:55]
	v_lshlrev_b32_e32 v58, 2, v69
	v_mov_b32_e32 v59, v1
	v_xor_b32_e32 v50, 0x7fffffff, v50
	v_lshl_add_u64 v[38:39], v[38:39], 0, v[58:59]
	v_add_u32_e32 v58, 0x900, v2
	global_store_dword v[38:39], v50, off
	v_xor_b32_e32 v3, 0x7fffffff, v51
	s_waitcnt lgkmcnt(2)
	v_lshl_add_u64 v[38:39], v[52:53], 2, s[54:55]
	v_lshlrev_b32_e32 v50, 2, v58
	v_mov_b32_e32 v51, v1
	v_lshl_add_u64 v[38:39], v[38:39], 0, v[50:51]
	v_add_u32_e32 v52, 0xa00, v2
	global_store_dword v[38:39], v3, off
	s_waitcnt lgkmcnt(1)
	v_lshl_add_u64 v[38:39], v[54:55], 2, s[54:55]
	v_lshlrev_b32_e32 v50, 2, v52
	v_xor_b32_e32 v3, 0x7fffffff, v36
	v_lshl_add_u64 v[38:39], v[38:39], 0, v[50:51]
	global_store_dword v[38:39], v3, off
	v_add_u32_e32 v38, 0xb00, v2
	v_xor_b32_e32 v39, 0x7fffffff, v37
	s_waitcnt lgkmcnt(0)
	v_lshl_add_u64 v[2:3], v[56:57], 2, s[54:55]
	v_lshlrev_b32_e32 v36, 2, v38
	v_mov_b32_e32 v37, v1
	v_lshl_add_u64 v[2:3], v[2:3], 0, v[36:37]
	global_store_dword v[2:3], v39, off
	v_lshlrev_b32_e32 v2, 3, v29
	s_barrier
	s_waitcnt vmcnt(23)
	ds_write_b64 v2, v[40:41] offset:2048
	v_lshlrev_b32_e32 v2, 3, v25
	s_waitcnt vmcnt(22)
	ds_write_b64 v2, v[42:43] offset:2048
	v_lshlrev_b32_e32 v2, 3, v24
	;; [unrolled: 3-line block ×11, first 2 shown]
	s_waitcnt vmcnt(6)
	ds_write_b64 v2, v[26:27] offset:2048
	s_waitcnt lgkmcnt(0)
	s_barrier
	ds_read_b64 v[2:3], v15
	ds_read2st64_b64 v[8:11], v6 offset0:4 offset1:8
	ds_read_b64 v[12:13], v62
	ds_read_b64 v[14:15], v63
	;; [unrolled: 1-line block ×3, first 2 shown]
	s_waitcnt lgkmcnt(4)
	v_lshl_add_u64 v[2:3], v[2:3], 3, s[58:59]
	v_lshl_add_u64 v[2:3], v[2:3], 0, v[6:7]
	s_waitcnt lgkmcnt(3)
	global_store_dwordx2 v[2:3], v[8:9], off
	s_waitcnt lgkmcnt(2)
	v_lshl_add_u64 v[2:3], v[12:13], 3, s[58:59]
	v_lshl_add_u64 v[2:3], v[2:3], 0, v[6:7]
	global_store_dwordx2 v[2:3], v[10:11], off offset:2048
	ds_read2st64_b64 v[8:11], v6 offset0:12 offset1:16
	s_waitcnt lgkmcnt(2)
	v_lshl_add_u64 v[2:3], v[14:15], 3, s[58:59]
	v_add_u32_e32 v12, 0x1000, v6
	v_mov_b32_e32 v13, v1
	v_lshl_add_u64 v[2:3], v[2:3], 0, v[12:13]
	s_waitcnt lgkmcnt(0)
	global_store_dwordx2 v[2:3], v[8:9], off
	v_lshl_add_u64 v[2:3], v[16:17], 3, s[58:59]
	v_add_u32_e32 v8, 0x1800, v6
	v_mov_b32_e32 v9, v1
	v_lshl_add_u64 v[2:3], v[2:3], 0, v[8:9]
	global_store_dwordx2 v[2:3], v[10:11], off
	ds_read_b64 v[2:3], v65
	ds_read2st64_b64 v[8:11], v6 offset0:20 offset1:24
	ds_read_b64 v[12:13], v66
	ds_read_b64 v[14:15], v67
	;; [unrolled: 1-line block ×3, first 2 shown]
	s_waitcnt lgkmcnt(4)
	v_lshl_add_u64 v[2:3], v[2:3], 3, s[58:59]
	v_lshlrev_b32_e32 v18, 3, v21
	v_mov_b32_e32 v19, v1
	v_lshl_add_u64 v[2:3], v[2:3], 0, v[18:19]
	s_waitcnt lgkmcnt(3)
	global_store_dwordx2 v[2:3], v[8:9], off
	s_waitcnt lgkmcnt(2)
	v_lshl_add_u64 v[2:3], v[12:13], 3, s[58:59]
	v_lshlrev_b32_e32 v8, 3, v28
	v_mov_b32_e32 v9, v1
	v_lshl_add_u64 v[2:3], v[2:3], 0, v[8:9]
	global_store_dwordx2 v[2:3], v[10:11], off
	ds_read2st64_b64 v[8:11], v6 offset0:28 offset1:32
	s_waitcnt lgkmcnt(2)
	v_lshl_add_u64 v[2:3], v[14:15], 3, s[58:59]
	v_lshlrev_b32_e32 v12, 3, v60
	v_mov_b32_e32 v13, v1
	v_lshl_add_u64 v[2:3], v[2:3], 0, v[12:13]
	s_waitcnt lgkmcnt(0)
	global_store_dwordx2 v[2:3], v[8:9], off
	v_lshl_add_u64 v[2:3], v[16:17], 3, s[58:59]
	v_lshlrev_b32_e32 v8, 3, v61
	v_mov_b32_e32 v9, v1
	v_lshl_add_u64 v[2:3], v[2:3], 0, v[8:9]
	global_store_dwordx2 v[2:3], v[10:11], off
	ds_read_b64 v[2:3], v70
	ds_read2st64_b64 v[8:11], v6 offset0:36 offset1:40
	ds_read_b64 v[12:13], v71
	ds_read_b64 v[14:15], v72
	;; [unrolled: 1-line block ×3, first 2 shown]
	s_waitcnt lgkmcnt(4)
	v_lshl_add_u64 v[2:3], v[2:3], 3, s[58:59]
	v_lshlrev_b32_e32 v18, 3, v69
	v_lshl_add_u64 v[2:3], v[2:3], 0, v[18:19]
	s_waitcnt lgkmcnt(3)
	global_store_dwordx2 v[2:3], v[8:9], off
	s_waitcnt lgkmcnt(2)
	v_lshl_add_u64 v[2:3], v[12:13], 3, s[58:59]
	v_lshlrev_b32_e32 v8, 3, v58
	v_mov_b32_e32 v9, v1
	v_lshl_add_u64 v[2:3], v[2:3], 0, v[8:9]
	global_store_dwordx2 v[2:3], v[10:11], off
	ds_read2st64_b64 v[8:11], v6 offset0:44 offset1:48
	s_waitcnt lgkmcnt(2)
	v_lshl_add_u64 v[2:3], v[14:15], 3, s[58:59]
	v_lshlrev_b32_e32 v12, 3, v52
	v_mov_b32_e32 v13, v1
	v_lshl_add_u64 v[2:3], v[2:3], 0, v[12:13]
	s_waitcnt lgkmcnt(0)
	global_store_dwordx2 v[2:3], v[8:9], off
	v_lshl_add_u64 v[2:3], v[16:17], 3, s[58:59]
	v_lshlrev_b32_e32 v8, 3, v38
	v_mov_b32_e32 v9, v1
	v_lshl_add_u64 v[2:3], v[2:3], 0, v[8:9]
	global_store_dwordx2 v[2:3], v[10:11], off
	s_cbranch_scc1 .LBB87_195
; %bb.194:
	ds_read_b64 v[2:3], v6
	v_mov_b32_e32 v5, v1
	v_lshl_add_u64 v[0:1], v[4:5], 0, v[0:1]
	s_waitcnt lgkmcnt(0)
	v_lshl_add_u64 v[0:1], v[0:1], 0, v[2:3]
	global_store_dwordx2 v6, v[0:1], s[62:63]
.LBB87_195:
	s_endpgm
.LBB87_196:
	s_or_b64 exec, exec, s[4:5]
	s_and_saveexec_b64 s[4:5], s[26:27]
	s_cbranch_execz .LBB87_139
.LBB87_197:
	v_lshlrev_b32_e32 v2, 3, v38
	ds_read_b64 v[22:23], v2
	ds_read_b64 v[24:25], v8 offset:4096
	v_mov_b32_e32 v9, 0
	s_waitcnt lgkmcnt(1)
	v_lshl_add_u64 v[22:23], v[22:23], 3, s[58:59]
	v_lshl_add_u64 v[22:23], v[22:23], 0, v[8:9]
	s_waitcnt lgkmcnt(0)
	global_store_dwordx2 v[22:23], v[24:25], off offset:2048
	s_or_b64 exec, exec, s[4:5]
	s_and_saveexec_b64 s[4:5], s[28:29]
	s_cbranch_execnz .LBB87_140
.LBB87_198:
	s_or_b64 exec, exec, s[4:5]
	s_and_saveexec_b64 s[4:5], s[30:31]
	s_cbranch_execz .LBB87_141
.LBB87_199:
	v_lshlrev_b32_e32 v2, 3, v36
	ds_read_b64 v[22:23], v2
	ds_read_b64 v[24:25], v8 offset:8192
	v_lshlrev_b32_e32 v12, 3, v13
	v_mov_b32_e32 v13, 0
	s_waitcnt lgkmcnt(1)
	v_lshl_add_u64 v[22:23], v[22:23], 3, s[58:59]
	v_lshl_add_u64 v[12:13], v[22:23], 0, v[12:13]
	s_waitcnt lgkmcnt(0)
	global_store_dwordx2 v[12:13], v[24:25], off
	s_or_b64 exec, exec, s[4:5]
	s_and_saveexec_b64 s[4:5], s[34:35]
	s_cbranch_execnz .LBB87_142
.LBB87_200:
	s_or_b64 exec, exec, s[4:5]
	s_and_saveexec_b64 s[4:5], s[36:37]
	s_cbranch_execz .LBB87_143
.LBB87_201:
	v_lshlrev_b32_e32 v2, 3, v34
	ds_read_b64 v[12:13], v2
	ds_read_b64 v[22:23], v8 offset:12288
	v_lshlrev_b32_e32 v24, 3, v16
	v_mov_b32_e32 v25, 0
	s_waitcnt lgkmcnt(1)
	v_lshl_add_u64 v[12:13], v[12:13], 3, s[58:59]
	v_lshl_add_u64 v[12:13], v[12:13], 0, v[24:25]
	s_waitcnt lgkmcnt(0)
	global_store_dwordx2 v[12:13], v[22:23], off
	s_or_b64 exec, exec, s[4:5]
	s_and_saveexec_b64 s[4:5], s[38:39]
	s_cbranch_execnz .LBB87_144
.LBB87_202:
	s_or_b64 exec, exec, s[4:5]
	s_and_saveexec_b64 s[4:5], s[40:41]
	s_cbranch_execz .LBB87_145
.LBB87_203:
	v_lshlrev_b32_e32 v2, 3, v11
	ds_read_b64 v[12:13], v2
	ds_read_b64 v[16:17], v8 offset:16384
	v_lshlrev_b32_e32 v18, 3, v18
	v_mov_b32_e32 v19, 0
	s_waitcnt lgkmcnt(1)
	v_lshl_add_u64 v[12:13], v[12:13], 3, s[58:59]
	v_lshl_add_u64 v[12:13], v[12:13], 0, v[18:19]
	s_waitcnt lgkmcnt(0)
	global_store_dwordx2 v[12:13], v[16:17], off
	s_or_b64 exec, exec, s[4:5]
	s_and_saveexec_b64 s[4:5], s[42:43]
	s_cbranch_execnz .LBB87_146
.LBB87_204:
	s_or_b64 exec, exec, s[4:5]
	s_and_saveexec_b64 s[4:5], s[44:45]
	s_cbranch_execz .LBB87_147
.LBB87_205:
	v_lshlrev_b32_e32 v2, 3, v10
	ds_read_b64 v[10:11], v2
	ds_read_b64 v[12:13], v8 offset:20480
	v_lshlrev_b32_e32 v16, 3, v21
	v_mov_b32_e32 v17, 0
	s_waitcnt lgkmcnt(1)
	v_lshl_add_u64 v[10:11], v[10:11], 3, s[58:59]
	v_lshl_add_u64 v[10:11], v[10:11], 0, v[16:17]
	s_waitcnt lgkmcnt(0)
	global_store_dwordx2 v[10:11], v[12:13], off
	s_or_b64 exec, exec, s[4:5]
	s_and_saveexec_b64 s[4:5], s[46:47]
	s_cbranch_execnz .LBB87_148
.LBB87_206:
	s_or_b64 exec, exec, s[4:5]
	s_and_saveexec_b64 s[4:5], s[48:49]
	s_cbranch_execz .LBB87_149
.LBB87_207:
	v_lshlrev_b32_e32 v2, 3, v3
	ds_read_b64 v[2:3], v2
	ds_read_b64 v[10:11], v8 offset:24576
	v_lshlrev_b32_e32 v12, 3, v31
	v_mov_b32_e32 v13, 0
	s_waitcnt lgkmcnt(1)
	v_lshl_add_u64 v[2:3], v[2:3], 3, s[58:59]
	v_lshl_add_u64 v[2:3], v[2:3], 0, v[12:13]
	s_waitcnt lgkmcnt(0)
	global_store_dwordx2 v[2:3], v[10:11], off
	s_or_b64 exec, exec, s[4:5]
	s_add_i32 s33, s33, -1
	s_cmp_eq_u32 s2, s33
	s_cbranch_scc1 .LBB87_150
	s_branch .LBB87_151
	.section	.rodata,"a",@progbits
	.p2align	6, 0x0
	.amdhsa_kernel _ZN7rocprim17ROCPRIM_304000_NS6detail25onesweep_iteration_kernelINS1_34wrapped_radix_sort_onesweep_configINS0_14default_configEiN2at4cuda3cub6detail10OpaqueTypeILi8EEEEELb1EPiSC_PSA_SD_mNS0_19identity_decomposerEEEvT1_T2_T3_T4_jPT5_SK_PNS1_23onesweep_lookback_stateET6_jjj
		.amdhsa_group_segment_fixed_size 26624
		.amdhsa_private_segment_fixed_size 0
		.amdhsa_kernarg_size 336
		.amdhsa_user_sgpr_count 2
		.amdhsa_user_sgpr_dispatch_ptr 0
		.amdhsa_user_sgpr_queue_ptr 0
		.amdhsa_user_sgpr_kernarg_segment_ptr 1
		.amdhsa_user_sgpr_dispatch_id 0
		.amdhsa_user_sgpr_kernarg_preload_length 0
		.amdhsa_user_sgpr_kernarg_preload_offset 0
		.amdhsa_user_sgpr_private_segment_size 0
		.amdhsa_uses_dynamic_stack 0
		.amdhsa_enable_private_segment 0
		.amdhsa_system_sgpr_workgroup_id_x 1
		.amdhsa_system_sgpr_workgroup_id_y 0
		.amdhsa_system_sgpr_workgroup_id_z 0
		.amdhsa_system_sgpr_workgroup_info 0
		.amdhsa_system_vgpr_workitem_id 2
		.amdhsa_next_free_vgpr 74
		.amdhsa_next_free_sgpr 91
		.amdhsa_accum_offset 76
		.amdhsa_reserve_vcc 1
		.amdhsa_float_round_mode_32 0
		.amdhsa_float_round_mode_16_64 0
		.amdhsa_float_denorm_mode_32 3
		.amdhsa_float_denorm_mode_16_64 3
		.amdhsa_dx10_clamp 1
		.amdhsa_ieee_mode 1
		.amdhsa_fp16_overflow 0
		.amdhsa_tg_split 0
		.amdhsa_exception_fp_ieee_invalid_op 0
		.amdhsa_exception_fp_denorm_src 0
		.amdhsa_exception_fp_ieee_div_zero 0
		.amdhsa_exception_fp_ieee_overflow 0
		.amdhsa_exception_fp_ieee_underflow 0
		.amdhsa_exception_fp_ieee_inexact 0
		.amdhsa_exception_int_div_zero 0
	.end_amdhsa_kernel
	.section	.text._ZN7rocprim17ROCPRIM_304000_NS6detail25onesweep_iteration_kernelINS1_34wrapped_radix_sort_onesweep_configINS0_14default_configEiN2at4cuda3cub6detail10OpaqueTypeILi8EEEEELb1EPiSC_PSA_SD_mNS0_19identity_decomposerEEEvT1_T2_T3_T4_jPT5_SK_PNS1_23onesweep_lookback_stateET6_jjj,"axG",@progbits,_ZN7rocprim17ROCPRIM_304000_NS6detail25onesweep_iteration_kernelINS1_34wrapped_radix_sort_onesweep_configINS0_14default_configEiN2at4cuda3cub6detail10OpaqueTypeILi8EEEEELb1EPiSC_PSA_SD_mNS0_19identity_decomposerEEEvT1_T2_T3_T4_jPT5_SK_PNS1_23onesweep_lookback_stateET6_jjj,comdat
.Lfunc_end87:
	.size	_ZN7rocprim17ROCPRIM_304000_NS6detail25onesweep_iteration_kernelINS1_34wrapped_radix_sort_onesweep_configINS0_14default_configEiN2at4cuda3cub6detail10OpaqueTypeILi8EEEEELb1EPiSC_PSA_SD_mNS0_19identity_decomposerEEEvT1_T2_T3_T4_jPT5_SK_PNS1_23onesweep_lookback_stateET6_jjj, .Lfunc_end87-_ZN7rocprim17ROCPRIM_304000_NS6detail25onesweep_iteration_kernelINS1_34wrapped_radix_sort_onesweep_configINS0_14default_configEiN2at4cuda3cub6detail10OpaqueTypeILi8EEEEELb1EPiSC_PSA_SD_mNS0_19identity_decomposerEEEvT1_T2_T3_T4_jPT5_SK_PNS1_23onesweep_lookback_stateET6_jjj
                                        ; -- End function
	.set _ZN7rocprim17ROCPRIM_304000_NS6detail25onesweep_iteration_kernelINS1_34wrapped_radix_sort_onesweep_configINS0_14default_configEiN2at4cuda3cub6detail10OpaqueTypeILi8EEEEELb1EPiSC_PSA_SD_mNS0_19identity_decomposerEEEvT1_T2_T3_T4_jPT5_SK_PNS1_23onesweep_lookback_stateET6_jjj.num_vgpr, 74
	.set _ZN7rocprim17ROCPRIM_304000_NS6detail25onesweep_iteration_kernelINS1_34wrapped_radix_sort_onesweep_configINS0_14default_configEiN2at4cuda3cub6detail10OpaqueTypeILi8EEEEELb1EPiSC_PSA_SD_mNS0_19identity_decomposerEEEvT1_T2_T3_T4_jPT5_SK_PNS1_23onesweep_lookback_stateET6_jjj.num_agpr, 0
	.set _ZN7rocprim17ROCPRIM_304000_NS6detail25onesweep_iteration_kernelINS1_34wrapped_radix_sort_onesweep_configINS0_14default_configEiN2at4cuda3cub6detail10OpaqueTypeILi8EEEEELb1EPiSC_PSA_SD_mNS0_19identity_decomposerEEEvT1_T2_T3_T4_jPT5_SK_PNS1_23onesweep_lookback_stateET6_jjj.numbered_sgpr, 73
	.set _ZN7rocprim17ROCPRIM_304000_NS6detail25onesweep_iteration_kernelINS1_34wrapped_radix_sort_onesweep_configINS0_14default_configEiN2at4cuda3cub6detail10OpaqueTypeILi8EEEEELb1EPiSC_PSA_SD_mNS0_19identity_decomposerEEEvT1_T2_T3_T4_jPT5_SK_PNS1_23onesweep_lookback_stateET6_jjj.num_named_barrier, 0
	.set _ZN7rocprim17ROCPRIM_304000_NS6detail25onesweep_iteration_kernelINS1_34wrapped_radix_sort_onesweep_configINS0_14default_configEiN2at4cuda3cub6detail10OpaqueTypeILi8EEEEELb1EPiSC_PSA_SD_mNS0_19identity_decomposerEEEvT1_T2_T3_T4_jPT5_SK_PNS1_23onesweep_lookback_stateET6_jjj.private_seg_size, 0
	.set _ZN7rocprim17ROCPRIM_304000_NS6detail25onesweep_iteration_kernelINS1_34wrapped_radix_sort_onesweep_configINS0_14default_configEiN2at4cuda3cub6detail10OpaqueTypeILi8EEEEELb1EPiSC_PSA_SD_mNS0_19identity_decomposerEEEvT1_T2_T3_T4_jPT5_SK_PNS1_23onesweep_lookback_stateET6_jjj.uses_vcc, 1
	.set _ZN7rocprim17ROCPRIM_304000_NS6detail25onesweep_iteration_kernelINS1_34wrapped_radix_sort_onesweep_configINS0_14default_configEiN2at4cuda3cub6detail10OpaqueTypeILi8EEEEELb1EPiSC_PSA_SD_mNS0_19identity_decomposerEEEvT1_T2_T3_T4_jPT5_SK_PNS1_23onesweep_lookback_stateET6_jjj.uses_flat_scratch, 0
	.set _ZN7rocprim17ROCPRIM_304000_NS6detail25onesweep_iteration_kernelINS1_34wrapped_radix_sort_onesweep_configINS0_14default_configEiN2at4cuda3cub6detail10OpaqueTypeILi8EEEEELb1EPiSC_PSA_SD_mNS0_19identity_decomposerEEEvT1_T2_T3_T4_jPT5_SK_PNS1_23onesweep_lookback_stateET6_jjj.has_dyn_sized_stack, 0
	.set _ZN7rocprim17ROCPRIM_304000_NS6detail25onesweep_iteration_kernelINS1_34wrapped_radix_sort_onesweep_configINS0_14default_configEiN2at4cuda3cub6detail10OpaqueTypeILi8EEEEELb1EPiSC_PSA_SD_mNS0_19identity_decomposerEEEvT1_T2_T3_T4_jPT5_SK_PNS1_23onesweep_lookback_stateET6_jjj.has_recursion, 0
	.set _ZN7rocprim17ROCPRIM_304000_NS6detail25onesweep_iteration_kernelINS1_34wrapped_radix_sort_onesweep_configINS0_14default_configEiN2at4cuda3cub6detail10OpaqueTypeILi8EEEEELb1EPiSC_PSA_SD_mNS0_19identity_decomposerEEEvT1_T2_T3_T4_jPT5_SK_PNS1_23onesweep_lookback_stateET6_jjj.has_indirect_call, 0
	.section	.AMDGPU.csdata,"",@progbits
; Kernel info:
; codeLenInByte = 19188
; TotalNumSgprs: 79
; NumVgprs: 74
; NumAgprs: 0
; TotalNumVgprs: 74
; ScratchSize: 0
; MemoryBound: 0
; FloatMode: 240
; IeeeMode: 1
; LDSByteSize: 26624 bytes/workgroup (compile time only)
; SGPRBlocks: 12
; VGPRBlocks: 9
; NumSGPRsForWavesPerEU: 97
; NumVGPRsForWavesPerEU: 74
; AccumOffset: 76
; Occupancy: 6
; WaveLimiterHint : 1
; COMPUTE_PGM_RSRC2:SCRATCH_EN: 0
; COMPUTE_PGM_RSRC2:USER_SGPR: 2
; COMPUTE_PGM_RSRC2:TRAP_HANDLER: 0
; COMPUTE_PGM_RSRC2:TGID_X_EN: 1
; COMPUTE_PGM_RSRC2:TGID_Y_EN: 0
; COMPUTE_PGM_RSRC2:TGID_Z_EN: 0
; COMPUTE_PGM_RSRC2:TIDIG_COMP_CNT: 2
; COMPUTE_PGM_RSRC3_GFX90A:ACCUM_OFFSET: 18
; COMPUTE_PGM_RSRC3_GFX90A:TG_SPLIT: 0
	.section	.text._ZN7rocprim17ROCPRIM_304000_NS6detail28radix_sort_block_sort_kernelINS1_36wrapped_radix_sort_block_sort_configINS0_13kernel_configILj256ELj4ELj4294967295EEEiN2at4cuda3cub6detail10OpaqueTypeILi8EEEEELb0EPKiPiPKSB_PSB_NS0_19identity_decomposerEEEvT1_T2_T3_T4_jT5_jj,"axG",@progbits,_ZN7rocprim17ROCPRIM_304000_NS6detail28radix_sort_block_sort_kernelINS1_36wrapped_radix_sort_block_sort_configINS0_13kernel_configILj256ELj4ELj4294967295EEEiN2at4cuda3cub6detail10OpaqueTypeILi8EEEEELb0EPKiPiPKSB_PSB_NS0_19identity_decomposerEEEvT1_T2_T3_T4_jT5_jj,comdat
	.protected	_ZN7rocprim17ROCPRIM_304000_NS6detail28radix_sort_block_sort_kernelINS1_36wrapped_radix_sort_block_sort_configINS0_13kernel_configILj256ELj4ELj4294967295EEEiN2at4cuda3cub6detail10OpaqueTypeILi8EEEEELb0EPKiPiPKSB_PSB_NS0_19identity_decomposerEEEvT1_T2_T3_T4_jT5_jj ; -- Begin function _ZN7rocprim17ROCPRIM_304000_NS6detail28radix_sort_block_sort_kernelINS1_36wrapped_radix_sort_block_sort_configINS0_13kernel_configILj256ELj4ELj4294967295EEEiN2at4cuda3cub6detail10OpaqueTypeILi8EEEEELb0EPKiPiPKSB_PSB_NS0_19identity_decomposerEEEvT1_T2_T3_T4_jT5_jj
	.globl	_ZN7rocprim17ROCPRIM_304000_NS6detail28radix_sort_block_sort_kernelINS1_36wrapped_radix_sort_block_sort_configINS0_13kernel_configILj256ELj4ELj4294967295EEEiN2at4cuda3cub6detail10OpaqueTypeILi8EEEEELb0EPKiPiPKSB_PSB_NS0_19identity_decomposerEEEvT1_T2_T3_T4_jT5_jj
	.p2align	8
	.type	_ZN7rocprim17ROCPRIM_304000_NS6detail28radix_sort_block_sort_kernelINS1_36wrapped_radix_sort_block_sort_configINS0_13kernel_configILj256ELj4ELj4294967295EEEiN2at4cuda3cub6detail10OpaqueTypeILi8EEEEELb0EPKiPiPKSB_PSB_NS0_19identity_decomposerEEEvT1_T2_T3_T4_jT5_jj,@function
_ZN7rocprim17ROCPRIM_304000_NS6detail28radix_sort_block_sort_kernelINS1_36wrapped_radix_sort_block_sort_configINS0_13kernel_configILj256ELj4ELj4294967295EEEiN2at4cuda3cub6detail10OpaqueTypeILi8EEEEELb0EPKiPiPKSB_PSB_NS0_19identity_decomposerEEEvT1_T2_T3_T4_jT5_jj: ; @_ZN7rocprim17ROCPRIM_304000_NS6detail28radix_sort_block_sort_kernelINS1_36wrapped_radix_sort_block_sort_configINS0_13kernel_configILj256ELj4ELj4294967295EEEiN2at4cuda3cub6detail10OpaqueTypeILi8EEEEELb0EPKiPiPKSB_PSB_NS0_19identity_decomposerEEEvT1_T2_T3_T4_jT5_jj
; %bb.0:
	s_load_dword s4, s[0:1], 0x20
	s_load_dwordx8 s[36:43], s[0:1], 0x0
	s_lshl_b32 s28, s2, 10
	s_mov_b32 s29, 0
	v_and_b32_e32 v8, 0x3ff, v0
	s_waitcnt lgkmcnt(0)
	s_lshr_b32 s3, s4, 10
	s_cmp_lg_u32 s2, s3
	s_cselect_b64 s[30:31], -1, 0
	s_lshl_b64 s[34:35], s[28:29], 2
	v_mbcnt_lo_u32_b32 v1, -1, 0
	s_add_u32 s6, s36, s34
	v_mbcnt_hi_u32_b32 v1, -1, v1
	v_lshlrev_b32_e32 v10, 2, v8
	s_addc_u32 s7, s37, s35
	v_and_b32_e32 v11, 0x300, v10
	v_mov_b32_e32 v7, 0
	v_lshlrev_b32_e32 v6, 2, v1
	v_lshl_add_u64 v[2:3], s[6:7], 0, v[6:7]
	v_lshlrev_b32_e32 v6, 2, v11
	s_cmp_eq_u32 s2, s3
	v_lshl_add_u64 v[14:15], v[2:3], 0, v[6:7]
	v_lshlrev_b32_e32 v6, 3, v1
	v_lshlrev_b32_e32 v12, 3, v11
	v_add_u32_e32 v9, v1, v11
	s_cbranch_scc1 .LBB88_2
; %bb.1:
	s_lshl_b64 s[2:3], s[28:29], 3
	s_add_u32 s2, s40, s2
	s_addc_u32 s3, s41, s3
	v_lshl_add_u64 v[16:17], s[2:3], 0, v[6:7]
	v_mov_b32_e32 v13, v7
	v_lshl_add_u64 v[16:17], v[16:17], 0, v[12:13]
	global_load_dword v2, v[14:15], off
	global_load_dword v3, v[14:15], off offset:256
	global_load_dword v4, v[14:15], off offset:512
	;; [unrolled: 1-line block ×3, first 2 shown]
	global_load_dwordx2 v[46:47], v[16:17], off
	global_load_dwordx2 v[48:49], v[16:17], off offset:512
	global_load_dwordx2 v[50:51], v[16:17], off offset:1024
	;; [unrolled: 1-line block ×3, first 2 shown]
	v_add_u32_e32 v7, v1, v11
	v_add_u32_e32 v16, 64, v7
	;; [unrolled: 1-line block ×4, first 2 shown]
	s_sub_i32 s33, s4, s28
	s_cbranch_execz .LBB88_3
	s_branch .LBB88_17
.LBB88_2:
                                        ; implicit-def: $vgpr2_vgpr3_vgpr4_vgpr5
                                        ; implicit-def: $vgpr46_vgpr47
                                        ; implicit-def: $vgpr48_vgpr49
                                        ; implicit-def: $vgpr50_vgpr51
                                        ; implicit-def: $vgpr52_vgpr53
                                        ; implicit-def: $vgpr7
                                        ; implicit-def: $vgpr16
                                        ; implicit-def: $vgpr17
                                        ; implicit-def: $vgpr18
	s_sub_i32 s33, s4, s28
.LBB88_3:
	s_waitcnt vmcnt(7)
	v_bfrev_b32_e32 v2, -2
	v_cmp_gt_u32_e32 vcc, s33, v9
	s_waitcnt vmcnt(6)
	v_mov_b32_e32 v3, v2
	s_waitcnt vmcnt(5)
	v_mov_b32_e32 v4, v2
	;; [unrolled: 2-line block ×3, first 2 shown]
	s_and_saveexec_b64 s[2:3], vcc
	s_cbranch_execz .LBB88_5
; %bb.4:
	global_load_dword v16, v[14:15], off
	v_mov_b32_e32 v17, v2
	v_mov_b32_e32 v18, v2
	;; [unrolled: 1-line block ×3, first 2 shown]
	s_waitcnt vmcnt(0)
	v_mov_b64_e32 v[2:3], v[16:17]
	v_mov_b64_e32 v[4:5], v[18:19]
.LBB88_5:
	s_or_b64 exec, exec, s[2:3]
	v_add_u32_e32 v16, 64, v9
	v_cmp_gt_u32_e64 s[2:3], s33, v16
	s_and_saveexec_b64 s[4:5], s[2:3]
	s_cbranch_execz .LBB88_7
; %bb.6:
	global_load_dword v3, v[14:15], off offset:256
.LBB88_7:
	s_or_b64 exec, exec, s[4:5]
	v_add_u32_e32 v17, 0x80, v9
	v_cmp_gt_u32_e64 s[4:5], s33, v17
	s_and_saveexec_b64 s[6:7], s[4:5]
	s_cbranch_execz .LBB88_9
; %bb.8:
	global_load_dword v4, v[14:15], off offset:512
.LBB88_9:
	;; [unrolled: 8-line block ×3, first 2 shown]
	s_or_b64 exec, exec, s[8:9]
	s_lshl_b64 s[8:9], s[28:29], 3
	s_add_u32 s8, s40, s8
	s_addc_u32 s9, s41, s9
	v_mov_b32_e32 v7, 0
	v_lshl_add_u64 v[14:15], s[8:9], 0, v[6:7]
	v_mov_b32_e32 v13, v7
	v_lshl_add_u64 v[6:7], v[14:15], 0, v[12:13]
                                        ; implicit-def: $vgpr46_vgpr47
	s_and_saveexec_b64 s[8:9], vcc
	s_cbranch_execnz .LBB88_54
; %bb.12:
	s_or_b64 exec, exec, s[8:9]
                                        ; implicit-def: $vgpr48_vgpr49
	s_and_saveexec_b64 s[8:9], s[2:3]
	s_cbranch_execnz .LBB88_55
.LBB88_13:
	s_or_b64 exec, exec, s[8:9]
                                        ; implicit-def: $vgpr50_vgpr51
	s_and_saveexec_b64 s[2:3], s[4:5]
	s_cbranch_execnz .LBB88_56
.LBB88_14:
	s_or_b64 exec, exec, s[2:3]
                                        ; implicit-def: $vgpr52_vgpr53
	s_and_saveexec_b64 s[2:3], s[6:7]
	s_cbranch_execz .LBB88_16
.LBB88_15:
	global_load_dwordx2 v[52:53], v[6:7], off offset:1536
.LBB88_16:
	s_or_b64 exec, exec, s[2:3]
	v_mov_b32_e32 v7, v9
.LBB88_17:
	s_load_dwordx2 s[36:37], s[0:1], 0x28
	s_waitcnt vmcnt(0)
	v_xor_b32_e32 v12, 0x80000000, v4
	s_load_dword s0, s[0:1], 0x3c
	v_bfe_u32 v4, v0, 10, 10
	v_bfe_u32 v0, v0, 20, 10
	v_xor_b32_e32 v38, 0x80000000, v5
	s_mov_b32 s26, 0
	s_waitcnt lgkmcnt(0)
	s_lshr_b32 s1, s0, 16
	s_and_b32 s0, s0, 0xffff
	v_mad_u32_u24 v0, v0, s1, v4
	v_mad_u64_u32 v[4:5], s[0:1], v0, s0, v[8:9]
	v_lshrrev_b32_e32 v0, 4, v4
	v_and_b32_e32 v11, 0xffffffc, v0
	v_and_b32_e32 v0, 15, v1
	v_cmp_eq_u32_e64 s[0:1], 0, v0
	v_cmp_lt_u32_e64 s[2:3], 1, v0
	v_cmp_lt_u32_e64 s[4:5], 3, v0
	;; [unrolled: 1-line block ×3, first 2 shown]
	v_and_b32_e32 v0, 16, v1
	v_cmp_eq_u32_e64 s[8:9], 0, v0
	v_and_b32_e32 v0, 0x3c0, v8
	v_min_u32_e32 v0, 0xc0, v0
	v_or_b32_e32 v0, 63, v0
	v_cmp_eq_u32_e64 s[12:13], v8, v0
	v_subrev_co_u32_e64 v0, s[18:19], 1, v1
	v_and_b32_e32 v4, 64, v1
	v_cmp_lt_i32_e32 vcc, v0, v4
	v_lshlrev_b32_e32 v26, 2, v7
	v_lshlrev_b32_e32 v27, 2, v16
	v_cndmask_b32_e32 v0, v0, v1, vcc
	v_lshlrev_b32_e32 v23, 2, v0
	v_lshrrev_b32_e32 v0, 4, v8
	v_and_b32_e32 v24, 60, v0
	v_and_b32_e32 v0, 3, v1
	v_lshlrev_b32_e32 v28, 2, v17
	v_lshlrev_b32_e32 v29, 2, v18
	s_mov_b32 s27, s26
	s_mov_b32 s44, s26
	;; [unrolled: 1-line block ×3, first 2 shown]
	v_xor_b32_e32 v2, 0x80000000, v2
	v_xor_b32_e32 v3, 0x80000000, v3
	s_add_i32 s40, s37, s36
	v_lshlrev_b32_e32 v9, 2, v10
	v_cmp_lt_u32_e64 s[10:11], 31, v1
	v_cmp_gt_u32_e64 s[14:15], 4, v8
	v_cmp_lt_u32_e64 s[16:17], 63, v8
	v_cmp_eq_u32_e64 s[20:21], 0, v8
	v_mul_i32_i24_e32 v22, -12, v8
	v_cmp_eq_u32_e64 s[22:23], 0, v0
	v_cmp_lt_u32_e64 s[24:25], 1, v0
	v_add_u32_e32 v25, -4, v24
	v_mov_b64_e32 v[4:5], s[26:27]
	v_mov_b64_e32 v[6:7], s[44:45]
	v_mov_b32_e32 v13, 0
	v_add_u32_e32 v30, v26, v26
	v_add_u32_e32 v31, v27, v27
	;; [unrolled: 1-line block ×4, first 2 shown]
	s_branch .LBB88_19
.LBB88_18:                              ;   in Loop: Header=BB88_19 Depth=1
	s_andn2_b64 vcc, exec, s[26:27]
	s_mov_b32 s37, s41
	s_cbranch_vccz .LBB88_35
.LBB88_19:                              ; =>This Inner Loop Header: Depth=1
	v_mov_b32_e32 v37, v2
	s_min_u32 s26, s37, 8
	s_lshl_b32 s41, -1, s26
	v_lshrrev_b32_e32 v0, s36, v37
	v_bitop3_b32 v2, v0, s41, v0 bitop3:0x30
	v_mov_b32_e32 v35, v12
	v_and_b32_e32 v12, 1, v2
	v_lshl_add_u64 v[0:1], v[12:13], 0, -1
	v_cmp_ne_u32_e32 vcc, 0, v12
	v_mov_b32_e32 v34, v38
	v_mov_b32_e32 v36, v3
	v_xor_b32_e32 v1, vcc_hi, v1
	v_xor_b32_e32 v0, vcc_lo, v0
	v_and_b32_e32 v12, exec_hi, v1
	v_and_b32_e32 v38, exec_lo, v0
	v_lshlrev_b32_e32 v1, 30, v2
	v_mov_b32_e32 v0, v13
	v_cmp_gt_i64_e32 vcc, 0, v[0:1]
	v_not_b32_e32 v0, v1
	v_ashrrev_i32_e32 v0, 31, v0
	v_xor_b32_e32 v1, vcc_hi, v0
	v_xor_b32_e32 v0, vcc_lo, v0
	v_and_b32_e32 v12, v12, v1
	v_and_b32_e32 v38, v38, v0
	v_lshlrev_b32_e32 v1, 29, v2
	v_mov_b32_e32 v0, v13
	v_cmp_gt_i64_e32 vcc, 0, v[0:1]
	v_not_b32_e32 v0, v1
	v_ashrrev_i32_e32 v0, 31, v0
	v_xor_b32_e32 v1, vcc_hi, v0
	v_xor_b32_e32 v0, vcc_lo, v0
	v_and_b32_e32 v12, v12, v1
	v_and_b32_e32 v38, v38, v0
	;; [unrolled: 9-line block ×6, first 2 shown]
	v_lshlrev_b32_e32 v1, 24, v2
	v_mov_b32_e32 v0, v13
	v_cmp_gt_i64_e32 vcc, 0, v[0:1]
	v_not_b32_e32 v0, v1
	v_ashrrev_i32_e32 v0, 31, v0
	v_xor_b32_e32 v1, vcc_hi, v0
	v_xor_b32_e32 v0, vcc_lo, v0
	v_and_b32_e32 v0, v38, v0
	v_lshlrev_b32_e32 v3, 4, v2
	v_and_b32_e32 v1, v12, v1
	v_mbcnt_lo_u32_b32 v2, v0, 0
	v_mbcnt_hi_u32_b32 v38, v1, v2
	v_cmp_eq_u32_e32 vcc, 0, v38
	v_cmp_ne_u64_e64 s[26:27], 0, v[0:1]
	v_mov_b64_e32 v[20:21], v[46:47]
	v_mov_b64_e32 v[18:19], v[48:49]
	;; [unrolled: 1-line block ×4, first 2 shown]
	s_and_b64 s[44:45], s[26:27], vcc
	v_add_u32_e32 v39, v11, v3
	ds_write2_b64 v9, v[4:5], v[6:7] offset0:2 offset1:3
	s_waitcnt lgkmcnt(0)
	s_barrier
	; wave barrier
	s_and_saveexec_b64 s[26:27], s[44:45]
; %bb.20:                               ;   in Loop: Header=BB88_19 Depth=1
	v_bcnt_u32_b32 v0, v0, 0
	v_bcnt_u32_b32 v0, v1, v0
	ds_write_b32 v39, v0 offset:16
; %bb.21:                               ;   in Loop: Header=BB88_19 Depth=1
	s_or_b64 exec, exec, s[26:27]
	s_not_b32 s41, s41
	v_lshrrev_b32_e32 v0, s36, v36
	v_and_b32_e32 v2, s41, v0
	v_lshlrev_b32_e32 v0, 4, v2
	v_and_b32_e32 v12, 1, v2
	v_add_u32_e32 v41, v11, v0
	v_lshl_add_u64 v[0:1], v[12:13], 0, -1
	v_cmp_ne_u32_e32 vcc, 0, v12
	; wave barrier
	s_nop 1
	v_xor_b32_e32 v1, vcc_hi, v1
	v_xor_b32_e32 v0, vcc_lo, v0
	v_and_b32_e32 v3, exec_hi, v1
	v_and_b32_e32 v12, exec_lo, v0
	v_lshlrev_b32_e32 v1, 30, v2
	v_mov_b32_e32 v0, v13
	v_cmp_gt_i64_e32 vcc, 0, v[0:1]
	v_not_b32_e32 v0, v1
	v_ashrrev_i32_e32 v0, 31, v0
	v_xor_b32_e32 v1, vcc_hi, v0
	v_xor_b32_e32 v0, vcc_lo, v0
	v_and_b32_e32 v3, v3, v1
	v_and_b32_e32 v12, v12, v0
	v_lshlrev_b32_e32 v1, 29, v2
	v_mov_b32_e32 v0, v13
	v_cmp_gt_i64_e32 vcc, 0, v[0:1]
	v_not_b32_e32 v0, v1
	v_ashrrev_i32_e32 v0, 31, v0
	v_xor_b32_e32 v1, vcc_hi, v0
	v_xor_b32_e32 v0, vcc_lo, v0
	v_and_b32_e32 v3, v3, v1
	v_and_b32_e32 v12, v12, v0
	;; [unrolled: 9-line block ×6, first 2 shown]
	v_lshlrev_b32_e32 v1, 24, v2
	v_mov_b32_e32 v0, v13
	v_cmp_gt_i64_e32 vcc, 0, v[0:1]
	v_not_b32_e32 v0, v1
	v_ashrrev_i32_e32 v0, 31, v0
	v_xor_b32_e32 v1, vcc_hi, v0
	v_xor_b32_e32 v0, vcc_lo, v0
	ds_read_b32 v40, v41 offset:16
	v_and_b32_e32 v0, v12, v0
	v_and_b32_e32 v1, v3, v1
	v_mbcnt_lo_u32_b32 v2, v0, 0
	v_mbcnt_hi_u32_b32 v42, v1, v2
	v_cmp_eq_u32_e32 vcc, 0, v42
	v_cmp_ne_u64_e64 s[26:27], 0, v[0:1]
	s_and_b64 s[44:45], s[26:27], vcc
	; wave barrier
	s_and_saveexec_b64 s[26:27], s[44:45]
	s_cbranch_execz .LBB88_23
; %bb.22:                               ;   in Loop: Header=BB88_19 Depth=1
	v_bcnt_u32_b32 v0, v0, 0
	v_bcnt_u32_b32 v0, v1, v0
	s_waitcnt lgkmcnt(0)
	v_add_u32_e32 v0, v40, v0
	ds_write_b32 v41, v0 offset:16
.LBB88_23:                              ;   in Loop: Header=BB88_19 Depth=1
	s_or_b64 exec, exec, s[26:27]
	v_lshrrev_b32_e32 v0, s36, v35
	v_and_b32_e32 v2, s41, v0
	v_lshlrev_b32_e32 v0, 4, v2
	v_and_b32_e32 v12, 1, v2
	v_add_u32_e32 v44, v11, v0
	v_lshl_add_u64 v[0:1], v[12:13], 0, -1
	v_cmp_ne_u32_e32 vcc, 0, v12
	; wave barrier
	s_nop 1
	v_xor_b32_e32 v1, vcc_hi, v1
	v_xor_b32_e32 v0, vcc_lo, v0
	v_and_b32_e32 v3, exec_hi, v1
	v_and_b32_e32 v12, exec_lo, v0
	v_lshlrev_b32_e32 v1, 30, v2
	v_mov_b32_e32 v0, v13
	v_cmp_gt_i64_e32 vcc, 0, v[0:1]
	v_not_b32_e32 v0, v1
	v_ashrrev_i32_e32 v0, 31, v0
	v_xor_b32_e32 v1, vcc_hi, v0
	v_xor_b32_e32 v0, vcc_lo, v0
	v_and_b32_e32 v3, v3, v1
	v_and_b32_e32 v12, v12, v0
	v_lshlrev_b32_e32 v1, 29, v2
	v_mov_b32_e32 v0, v13
	v_cmp_gt_i64_e32 vcc, 0, v[0:1]
	v_not_b32_e32 v0, v1
	v_ashrrev_i32_e32 v0, 31, v0
	v_xor_b32_e32 v1, vcc_hi, v0
	v_xor_b32_e32 v0, vcc_lo, v0
	v_and_b32_e32 v3, v3, v1
	v_and_b32_e32 v12, v12, v0
	;; [unrolled: 9-line block ×6, first 2 shown]
	v_lshlrev_b32_e32 v1, 24, v2
	v_mov_b32_e32 v0, v13
	v_cmp_gt_i64_e32 vcc, 0, v[0:1]
	v_not_b32_e32 v0, v1
	v_ashrrev_i32_e32 v0, 31, v0
	v_xor_b32_e32 v1, vcc_hi, v0
	v_xor_b32_e32 v0, vcc_lo, v0
	ds_read_b32 v43, v44 offset:16
	v_and_b32_e32 v0, v12, v0
	v_and_b32_e32 v1, v3, v1
	v_mbcnt_lo_u32_b32 v2, v0, 0
	v_mbcnt_hi_u32_b32 v45, v1, v2
	v_cmp_eq_u32_e32 vcc, 0, v45
	v_cmp_ne_u64_e64 s[26:27], 0, v[0:1]
	s_and_b64 s[44:45], s[26:27], vcc
	; wave barrier
	s_and_saveexec_b64 s[26:27], s[44:45]
	s_cbranch_execz .LBB88_25
; %bb.24:                               ;   in Loop: Header=BB88_19 Depth=1
	v_bcnt_u32_b32 v0, v0, 0
	v_bcnt_u32_b32 v0, v1, v0
	s_waitcnt lgkmcnt(0)
	v_add_u32_e32 v0, v43, v0
	ds_write_b32 v44, v0 offset:16
.LBB88_25:                              ;   in Loop: Header=BB88_19 Depth=1
	s_or_b64 exec, exec, s[26:27]
	v_lshrrev_b32_e32 v0, s36, v34
	v_and_b32_e32 v2, s41, v0
	v_lshlrev_b32_e32 v0, 4, v2
	v_and_b32_e32 v12, 1, v2
	v_add_u32_e32 v47, v11, v0
	v_lshl_add_u64 v[0:1], v[12:13], 0, -1
	v_cmp_ne_u32_e32 vcc, 0, v12
	; wave barrier
	s_nop 1
	v_xor_b32_e32 v1, vcc_hi, v1
	v_xor_b32_e32 v0, vcc_lo, v0
	v_and_b32_e32 v3, exec_hi, v1
	v_and_b32_e32 v12, exec_lo, v0
	v_lshlrev_b32_e32 v1, 30, v2
	v_mov_b32_e32 v0, v13
	v_cmp_gt_i64_e32 vcc, 0, v[0:1]
	v_not_b32_e32 v0, v1
	v_ashrrev_i32_e32 v0, 31, v0
	v_xor_b32_e32 v1, vcc_hi, v0
	v_xor_b32_e32 v0, vcc_lo, v0
	v_and_b32_e32 v3, v3, v1
	v_and_b32_e32 v12, v12, v0
	v_lshlrev_b32_e32 v1, 29, v2
	v_mov_b32_e32 v0, v13
	v_cmp_gt_i64_e32 vcc, 0, v[0:1]
	v_not_b32_e32 v0, v1
	v_ashrrev_i32_e32 v0, 31, v0
	v_xor_b32_e32 v1, vcc_hi, v0
	v_xor_b32_e32 v0, vcc_lo, v0
	v_and_b32_e32 v3, v3, v1
	v_and_b32_e32 v12, v12, v0
	v_lshlrev_b32_e32 v1, 28, v2
	v_mov_b32_e32 v0, v13
	v_cmp_gt_i64_e32 vcc, 0, v[0:1]
	v_not_b32_e32 v0, v1
	v_ashrrev_i32_e32 v0, 31, v0
	v_xor_b32_e32 v1, vcc_hi, v0
	v_xor_b32_e32 v0, vcc_lo, v0
	v_and_b32_e32 v3, v3, v1
	v_and_b32_e32 v12, v12, v0
	v_lshlrev_b32_e32 v1, 27, v2
	v_mov_b32_e32 v0, v13
	v_cmp_gt_i64_e32 vcc, 0, v[0:1]
	v_not_b32_e32 v0, v1
	v_ashrrev_i32_e32 v0, 31, v0
	v_xor_b32_e32 v1, vcc_hi, v0
	v_xor_b32_e32 v0, vcc_lo, v0
	v_and_b32_e32 v3, v3, v1
	v_and_b32_e32 v12, v12, v0
	v_lshlrev_b32_e32 v1, 26, v2
	v_mov_b32_e32 v0, v13
	v_cmp_gt_i64_e32 vcc, 0, v[0:1]
	v_not_b32_e32 v0, v1
	v_ashrrev_i32_e32 v0, 31, v0
	v_xor_b32_e32 v1, vcc_hi, v0
	v_xor_b32_e32 v0, vcc_lo, v0
	v_and_b32_e32 v3, v3, v1
	v_and_b32_e32 v12, v12, v0
	v_lshlrev_b32_e32 v1, 25, v2
	v_mov_b32_e32 v0, v13
	v_cmp_gt_i64_e32 vcc, 0, v[0:1]
	v_not_b32_e32 v0, v1
	v_ashrrev_i32_e32 v0, 31, v0
	v_xor_b32_e32 v1, vcc_hi, v0
	v_xor_b32_e32 v0, vcc_lo, v0
	v_and_b32_e32 v3, v3, v1
	v_and_b32_e32 v12, v12, v0
	v_lshlrev_b32_e32 v1, 24, v2
	v_mov_b32_e32 v0, v13
	v_cmp_gt_i64_e32 vcc, 0, v[0:1]
	v_not_b32_e32 v0, v1
	v_ashrrev_i32_e32 v0, 31, v0
	v_xor_b32_e32 v1, vcc_hi, v0
	v_xor_b32_e32 v0, vcc_lo, v0
	ds_read_b32 v46, v47 offset:16
	v_and_b32_e32 v0, v12, v0
	v_and_b32_e32 v1, v3, v1
	v_mbcnt_lo_u32_b32 v2, v0, 0
	v_mbcnt_hi_u32_b32 v12, v1, v2
	v_cmp_eq_u32_e32 vcc, 0, v12
	v_cmp_ne_u64_e64 s[26:27], 0, v[0:1]
	s_and_b64 s[44:45], s[26:27], vcc
	; wave barrier
	s_and_saveexec_b64 s[26:27], s[44:45]
	s_cbranch_execz .LBB88_27
; %bb.26:                               ;   in Loop: Header=BB88_19 Depth=1
	v_bcnt_u32_b32 v0, v0, 0
	v_bcnt_u32_b32 v0, v1, v0
	s_waitcnt lgkmcnt(0)
	v_add_u32_e32 v0, v46, v0
	ds_write_b32 v47, v0 offset:16
.LBB88_27:                              ;   in Loop: Header=BB88_19 Depth=1
	s_or_b64 exec, exec, s[26:27]
	; wave barrier
	s_waitcnt lgkmcnt(0)
	s_barrier
	ds_read2_b64 v[0:3], v9 offset0:2 offset1:3
	s_waitcnt lgkmcnt(0)
	v_add_u32_e32 v48, v1, v0
	v_add3_u32 v3, v48, v2, v3
	s_nop 1
	v_mov_b32_dpp v48, v3 row_shr:1 row_mask:0xf bank_mask:0xf
	v_cndmask_b32_e64 v48, v48, 0, s[0:1]
	v_add_u32_e32 v3, v48, v3
	s_nop 1
	v_mov_b32_dpp v48, v3 row_shr:2 row_mask:0xf bank_mask:0xf
	v_cndmask_b32_e64 v48, 0, v48, s[2:3]
	v_add_u32_e32 v3, v3, v48
	;; [unrolled: 4-line block ×4, first 2 shown]
	s_nop 1
	v_mov_b32_dpp v48, v3 row_bcast:15 row_mask:0xf bank_mask:0xf
	v_cndmask_b32_e64 v48, v48, 0, s[8:9]
	v_add_u32_e32 v3, v3, v48
	s_nop 1
	v_mov_b32_dpp v48, v3 row_bcast:31 row_mask:0xf bank_mask:0xf
	v_cndmask_b32_e64 v48, 0, v48, s[10:11]
	v_add_u32_e32 v3, v3, v48
	s_and_saveexec_b64 s[26:27], s[12:13]
; %bb.28:                               ;   in Loop: Header=BB88_19 Depth=1
	ds_write_b32 v24, v3
; %bb.29:                               ;   in Loop: Header=BB88_19 Depth=1
	s_or_b64 exec, exec, s[26:27]
	s_waitcnt lgkmcnt(0)
	s_barrier
	s_and_saveexec_b64 s[26:27], s[14:15]
	s_cbranch_execz .LBB88_31
; %bb.30:                               ;   in Loop: Header=BB88_19 Depth=1
	v_add_u32_e32 v48, v9, v22
	ds_read_b32 v49, v48
	s_waitcnt lgkmcnt(0)
	s_nop 0
	v_mov_b32_dpp v50, v49 row_shr:1 row_mask:0xf bank_mask:0xf
	v_cndmask_b32_e64 v50, v50, 0, s[22:23]
	v_add_u32_e32 v49, v50, v49
	s_nop 1
	v_mov_b32_dpp v50, v49 row_shr:2 row_mask:0xf bank_mask:0xf
	v_cndmask_b32_e64 v50, 0, v50, s[24:25]
	v_add_u32_e32 v49, v49, v50
	ds_write_b32 v48, v49
.LBB88_31:                              ;   in Loop: Header=BB88_19 Depth=1
	s_or_b64 exec, exec, s[26:27]
	v_mov_b32_e32 v48, 0
	s_waitcnt lgkmcnt(0)
	s_barrier
	s_and_saveexec_b64 s[26:27], s[16:17]
; %bb.32:                               ;   in Loop: Header=BB88_19 Depth=1
	ds_read_b32 v48, v25
; %bb.33:                               ;   in Loop: Header=BB88_19 Depth=1
	s_or_b64 exec, exec, s[26:27]
	s_waitcnt lgkmcnt(0)
	v_add_u32_e32 v3, v48, v3
	ds_bpermute_b32 v3, v23, v3
	s_add_i32 s36, s36, 8
	s_cmp_ge_u32 s36, s40
	s_mov_b64 s[26:27], -1
                                        ; implicit-def: $vgpr50_vgpr51
                                        ; implicit-def: $vgpr52_vgpr53
	s_waitcnt lgkmcnt(0)
	v_cndmask_b32_e64 v3, v3, v48, s[18:19]
	v_cndmask_b32_e64 v48, v3, 0, s[20:21]
	v_add_u32_e32 v49, v48, v0
	v_add_u32_e32 v0, v49, v1
	;; [unrolled: 1-line block ×3, first 2 shown]
	ds_write2_b64 v9, v[48:49], v[0:1] offset0:2 offset1:3
	s_waitcnt lgkmcnt(0)
	s_barrier
	ds_read_b32 v0, v39 offset:16
	ds_read_b32 v1, v41 offset:16
	;; [unrolled: 1-line block ×4, first 2 shown]
	s_waitcnt lgkmcnt(0)
	v_add_u32_e32 v41, v0, v38
	v_add3_u32 v39, v42, v40, v1
	v_add3_u32 v1, v45, v43, v2
	;; [unrolled: 1-line block ×3, first 2 shown]
	v_lshlrev_b32_e32 v44, 2, v41
	v_lshlrev_b32_e32 v43, 2, v39
	;; [unrolled: 1-line block ×4, first 2 shown]
	v_readfirstlane_b32 s41, v0
                                        ; implicit-def: $vgpr38
                                        ; implicit-def: $vgpr12
                                        ; implicit-def: $vgpr3
                                        ; implicit-def: $vgpr2
                                        ; implicit-def: $vgpr46_vgpr47
                                        ; implicit-def: $vgpr48_vgpr49
	s_cbranch_scc1 .LBB88_18
; %bb.34:                               ;   in Loop: Header=BB88_19 Depth=1
	v_lshl_add_u32 v45, v41, 2, v44
	s_barrier
	ds_write_b32 v44, v37
	ds_write_b32 v43, v36
	;; [unrolled: 1-line block ×4, first 2 shown]
	s_waitcnt lgkmcnt(0)
	s_barrier
	ds_read_b32 v2, v26
	ds_read_b32 v3, v27
	;; [unrolled: 1-line block ×4, first 2 shown]
	s_waitcnt lgkmcnt(0)
	s_barrier
	ds_write_b64 v45, v[20:21]
	v_lshl_add_u32 v45, v39, 2, v43
	ds_write_b64 v45, v[18:19]
	v_lshl_add_u32 v45, v1, 2, v42
	;; [unrolled: 2-line block ×3, first 2 shown]
	ds_write_b64 v45, v[14:15]
	s_waitcnt lgkmcnt(0)
	s_barrier
	ds_read_b64 v[46:47], v30
	ds_read_b64 v[48:49], v31
	;; [unrolled: 1-line block ×4, first 2 shown]
	s_add_i32 s41, s37, -8
	s_mov_b64 s[26:27], 0
	s_waitcnt lgkmcnt(0)
	s_barrier
	s_branch .LBB88_18
.LBB88_35:
	v_add_u32_e32 v2, v9, v22
	s_barrier
	ds_write_b32 v44, v37
	ds_write_b32 v43, v36
	;; [unrolled: 1-line block ×4, first 2 shown]
	s_waitcnt lgkmcnt(0)
	s_barrier
	ds_read2st64_b32 v[22:23], v2 offset1:4
	ds_read2st64_b32 v[24:25], v2 offset0:8 offset1:12
	v_lshl_add_u32 v2, v41, 2, v44
	s_waitcnt lgkmcnt(0)
	s_barrier
	ds_write_b64 v2, v[20:21]
	v_lshl_add_u32 v2, v39, 2, v43
	v_lshl_add_u32 v1, v1, 2, v42
	;; [unrolled: 1-line block ×3, first 2 shown]
	v_lshlrev_b32_e32 v12, 3, v8
	ds_write_b64 v2, v[18:19]
	ds_write_b64 v1, v[16:17]
	;; [unrolled: 1-line block ×3, first 2 shown]
	s_waitcnt lgkmcnt(0)
	s_barrier
	ds_read2st64_b64 v[4:7], v12 offset1:4
	ds_read2st64_b64 v[0:3], v12 offset0:8 offset1:12
	s_add_u32 s0, s38, s34
	s_addc_u32 s1, s39, s35
	v_mov_b32_e32 v11, 0
	v_xor_b32_e32 v18, 0x80000000, v22
	v_xor_b32_e32 v17, 0x80000000, v23
	v_xor_b32_e32 v16, 0x80000000, v24
	v_xor_b32_e32 v9, 0x80000000, v25
	s_andn2_b64 vcc, exec, s[30:31]
	v_lshl_add_u64 v[14:15], s[0:1], 0, v[10:11]
	s_cbranch_vccnz .LBB88_37
; %bb.36:
	s_lshl_b64 s[0:1], s[28:29], 3
	s_add_u32 s0, s42, s0
	s_addc_u32 s1, s43, s1
	v_mov_b32_e32 v13, v11
	v_lshl_add_u64 v[10:11], s[0:1], 0, v[12:13]
	v_add_co_u32_e32 v10, vcc, 0x1000, v10
	global_store_dword v[14:15], v18, off
	global_store_dword v[14:15], v17, off offset:1024
	global_store_dword v[14:15], v16, off offset:2048
	;; [unrolled: 1-line block ×3, first 2 shown]
	s_waitcnt lgkmcnt(1)
	global_store_dwordx2 v12, v[4:5], s[0:1]
	global_store_dwordx2 v12, v[6:7], s[0:1] offset:2048
	v_addc_co_u32_e32 v11, vcc, 0, v11, vcc
	s_mov_b64 s[4:5], -1
	s_waitcnt lgkmcnt(0)
	global_store_dwordx2 v[10:11], v[0:1], off
	s_cbranch_execz .LBB88_38
	s_branch .LBB88_51
.LBB88_37:
	s_mov_b64 s[4:5], 0
.LBB88_38:
	v_cmp_gt_u32_e32 vcc, s33, v8
	s_and_saveexec_b64 s[0:1], vcc
	s_cbranch_execz .LBB88_40
; %bb.39:
	global_store_dword v[14:15], v18, off
.LBB88_40:
	s_or_b64 exec, exec, s[0:1]
	v_add_u32_e32 v10, 0x100, v8
	v_cmp_gt_u32_e64 s[0:1], s33, v10
	s_and_saveexec_b64 s[2:3], s[0:1]
	s_cbranch_execz .LBB88_42
; %bb.41:
	global_store_dword v[14:15], v17, off offset:1024
.LBB88_42:
	s_or_b64 exec, exec, s[2:3]
	v_add_u32_e32 v10, 0x200, v8
	v_cmp_gt_u32_e64 s[2:3], s33, v10
	s_and_saveexec_b64 s[4:5], s[2:3]
	s_cbranch_execz .LBB88_44
; %bb.43:
	global_store_dword v[14:15], v16, off offset:2048
.LBB88_44:
	;; [unrolled: 8-line block ×3, first 2 shown]
	s_or_b64 exec, exec, s[6:7]
	s_lshl_b64 s[6:7], s[28:29], 3
	s_add_u32 s6, s42, s6
	s_addc_u32 s7, s43, s7
	v_mov_b32_e32 v13, 0
	v_lshl_add_u64 v[8:9], s[6:7], 0, v[12:13]
	s_and_saveexec_b64 s[6:7], vcc
	s_cbranch_execnz .LBB88_57
; %bb.47:
	s_or_b64 exec, exec, s[6:7]
	s_and_saveexec_b64 s[6:7], s[0:1]
	s_cbranch_execnz .LBB88_58
.LBB88_48:
	s_or_b64 exec, exec, s[6:7]
	s_and_saveexec_b64 s[0:1], s[2:3]
	s_cbranch_execz .LBB88_50
.LBB88_49:
	s_waitcnt lgkmcnt(1)
	v_add_co_u32_e32 v4, vcc, 0x1000, v8
	s_nop 1
	v_addc_co_u32_e32 v5, vcc, 0, v9, vcc
	s_waitcnt lgkmcnt(0)
	global_store_dwordx2 v[4:5], v[0:1], off
.LBB88_50:
	s_or_b64 exec, exec, s[0:1]
.LBB88_51:
	s_and_saveexec_b64 s[0:1], s[4:5]
	s_cbranch_execnz .LBB88_53
; %bb.52:
	s_endpgm
.LBB88_53:
	s_lshl_b64 s[0:1], s[28:29], 3
	s_add_u32 s0, s42, s0
	s_addc_u32 s1, s43, s1
	v_mov_b32_e32 v13, 0
	s_waitcnt lgkmcnt(0)
	v_lshl_add_u64 v[0:1], s[0:1], 0, v[12:13]
	v_add_co_u32_e32 v0, vcc, 0x1000, v0
	s_nop 1
	v_addc_co_u32_e32 v1, vcc, 0, v1, vcc
	global_store_dwordx2 v[0:1], v[2:3], off offset:2048
	s_endpgm
.LBB88_54:
	global_load_dwordx2 v[46:47], v[6:7], off
	s_or_b64 exec, exec, s[8:9]
                                        ; implicit-def: $vgpr48_vgpr49
	s_and_saveexec_b64 s[8:9], s[2:3]
	s_cbranch_execz .LBB88_13
.LBB88_55:
	global_load_dwordx2 v[48:49], v[6:7], off offset:512
	s_or_b64 exec, exec, s[8:9]
                                        ; implicit-def: $vgpr50_vgpr51
	s_and_saveexec_b64 s[2:3], s[4:5]
	s_cbranch_execz .LBB88_14
.LBB88_56:
	global_load_dwordx2 v[50:51], v[6:7], off offset:1024
	s_or_b64 exec, exec, s[2:3]
                                        ; implicit-def: $vgpr52_vgpr53
	s_and_saveexec_b64 s[2:3], s[6:7]
	s_cbranch_execnz .LBB88_15
	s_branch .LBB88_16
.LBB88_57:
	s_waitcnt lgkmcnt(1)
	global_store_dwordx2 v[8:9], v[4:5], off
	s_or_b64 exec, exec, s[6:7]
	s_and_saveexec_b64 s[6:7], s[0:1]
	s_cbranch_execz .LBB88_48
.LBB88_58:
	s_waitcnt lgkmcnt(1)
	global_store_dwordx2 v[8:9], v[6:7], off offset:2048
	s_or_b64 exec, exec, s[6:7]
	s_and_saveexec_b64 s[0:1], s[2:3]
	s_cbranch_execnz .LBB88_49
	s_branch .LBB88_50
	.section	.rodata,"a",@progbits
	.p2align	6, 0x0
	.amdhsa_kernel _ZN7rocprim17ROCPRIM_304000_NS6detail28radix_sort_block_sort_kernelINS1_36wrapped_radix_sort_block_sort_configINS0_13kernel_configILj256ELj4ELj4294967295EEEiN2at4cuda3cub6detail10OpaqueTypeILi8EEEEELb0EPKiPiPKSB_PSB_NS0_19identity_decomposerEEEvT1_T2_T3_T4_jT5_jj
		.amdhsa_group_segment_fixed_size 8192
		.amdhsa_private_segment_fixed_size 0
		.amdhsa_kernarg_size 304
		.amdhsa_user_sgpr_count 2
		.amdhsa_user_sgpr_dispatch_ptr 0
		.amdhsa_user_sgpr_queue_ptr 0
		.amdhsa_user_sgpr_kernarg_segment_ptr 1
		.amdhsa_user_sgpr_dispatch_id 0
		.amdhsa_user_sgpr_kernarg_preload_length 0
		.amdhsa_user_sgpr_kernarg_preload_offset 0
		.amdhsa_user_sgpr_private_segment_size 0
		.amdhsa_uses_dynamic_stack 0
		.amdhsa_enable_private_segment 0
		.amdhsa_system_sgpr_workgroup_id_x 1
		.amdhsa_system_sgpr_workgroup_id_y 0
		.amdhsa_system_sgpr_workgroup_id_z 0
		.amdhsa_system_sgpr_workgroup_info 0
		.amdhsa_system_vgpr_workitem_id 2
		.amdhsa_next_free_vgpr 54
		.amdhsa_next_free_sgpr 46
		.amdhsa_accum_offset 56
		.amdhsa_reserve_vcc 1
		.amdhsa_float_round_mode_32 0
		.amdhsa_float_round_mode_16_64 0
		.amdhsa_float_denorm_mode_32 3
		.amdhsa_float_denorm_mode_16_64 3
		.amdhsa_dx10_clamp 1
		.amdhsa_ieee_mode 1
		.amdhsa_fp16_overflow 0
		.amdhsa_tg_split 0
		.amdhsa_exception_fp_ieee_invalid_op 0
		.amdhsa_exception_fp_denorm_src 0
		.amdhsa_exception_fp_ieee_div_zero 0
		.amdhsa_exception_fp_ieee_overflow 0
		.amdhsa_exception_fp_ieee_underflow 0
		.amdhsa_exception_fp_ieee_inexact 0
		.amdhsa_exception_int_div_zero 0
	.end_amdhsa_kernel
	.section	.text._ZN7rocprim17ROCPRIM_304000_NS6detail28radix_sort_block_sort_kernelINS1_36wrapped_radix_sort_block_sort_configINS0_13kernel_configILj256ELj4ELj4294967295EEEiN2at4cuda3cub6detail10OpaqueTypeILi8EEEEELb0EPKiPiPKSB_PSB_NS0_19identity_decomposerEEEvT1_T2_T3_T4_jT5_jj,"axG",@progbits,_ZN7rocprim17ROCPRIM_304000_NS6detail28radix_sort_block_sort_kernelINS1_36wrapped_radix_sort_block_sort_configINS0_13kernel_configILj256ELj4ELj4294967295EEEiN2at4cuda3cub6detail10OpaqueTypeILi8EEEEELb0EPKiPiPKSB_PSB_NS0_19identity_decomposerEEEvT1_T2_T3_T4_jT5_jj,comdat
.Lfunc_end88:
	.size	_ZN7rocprim17ROCPRIM_304000_NS6detail28radix_sort_block_sort_kernelINS1_36wrapped_radix_sort_block_sort_configINS0_13kernel_configILj256ELj4ELj4294967295EEEiN2at4cuda3cub6detail10OpaqueTypeILi8EEEEELb0EPKiPiPKSB_PSB_NS0_19identity_decomposerEEEvT1_T2_T3_T4_jT5_jj, .Lfunc_end88-_ZN7rocprim17ROCPRIM_304000_NS6detail28radix_sort_block_sort_kernelINS1_36wrapped_radix_sort_block_sort_configINS0_13kernel_configILj256ELj4ELj4294967295EEEiN2at4cuda3cub6detail10OpaqueTypeILi8EEEEELb0EPKiPiPKSB_PSB_NS0_19identity_decomposerEEEvT1_T2_T3_T4_jT5_jj
                                        ; -- End function
	.set _ZN7rocprim17ROCPRIM_304000_NS6detail28radix_sort_block_sort_kernelINS1_36wrapped_radix_sort_block_sort_configINS0_13kernel_configILj256ELj4ELj4294967295EEEiN2at4cuda3cub6detail10OpaqueTypeILi8EEEEELb0EPKiPiPKSB_PSB_NS0_19identity_decomposerEEEvT1_T2_T3_T4_jT5_jj.num_vgpr, 54
	.set _ZN7rocprim17ROCPRIM_304000_NS6detail28radix_sort_block_sort_kernelINS1_36wrapped_radix_sort_block_sort_configINS0_13kernel_configILj256ELj4ELj4294967295EEEiN2at4cuda3cub6detail10OpaqueTypeILi8EEEEELb0EPKiPiPKSB_PSB_NS0_19identity_decomposerEEEvT1_T2_T3_T4_jT5_jj.num_agpr, 0
	.set _ZN7rocprim17ROCPRIM_304000_NS6detail28radix_sort_block_sort_kernelINS1_36wrapped_radix_sort_block_sort_configINS0_13kernel_configILj256ELj4ELj4294967295EEEiN2at4cuda3cub6detail10OpaqueTypeILi8EEEEELb0EPKiPiPKSB_PSB_NS0_19identity_decomposerEEEvT1_T2_T3_T4_jT5_jj.numbered_sgpr, 46
	.set _ZN7rocprim17ROCPRIM_304000_NS6detail28radix_sort_block_sort_kernelINS1_36wrapped_radix_sort_block_sort_configINS0_13kernel_configILj256ELj4ELj4294967295EEEiN2at4cuda3cub6detail10OpaqueTypeILi8EEEEELb0EPKiPiPKSB_PSB_NS0_19identity_decomposerEEEvT1_T2_T3_T4_jT5_jj.num_named_barrier, 0
	.set _ZN7rocprim17ROCPRIM_304000_NS6detail28radix_sort_block_sort_kernelINS1_36wrapped_radix_sort_block_sort_configINS0_13kernel_configILj256ELj4ELj4294967295EEEiN2at4cuda3cub6detail10OpaqueTypeILi8EEEEELb0EPKiPiPKSB_PSB_NS0_19identity_decomposerEEEvT1_T2_T3_T4_jT5_jj.private_seg_size, 0
	.set _ZN7rocprim17ROCPRIM_304000_NS6detail28radix_sort_block_sort_kernelINS1_36wrapped_radix_sort_block_sort_configINS0_13kernel_configILj256ELj4ELj4294967295EEEiN2at4cuda3cub6detail10OpaqueTypeILi8EEEEELb0EPKiPiPKSB_PSB_NS0_19identity_decomposerEEEvT1_T2_T3_T4_jT5_jj.uses_vcc, 1
	.set _ZN7rocprim17ROCPRIM_304000_NS6detail28radix_sort_block_sort_kernelINS1_36wrapped_radix_sort_block_sort_configINS0_13kernel_configILj256ELj4ELj4294967295EEEiN2at4cuda3cub6detail10OpaqueTypeILi8EEEEELb0EPKiPiPKSB_PSB_NS0_19identity_decomposerEEEvT1_T2_T3_T4_jT5_jj.uses_flat_scratch, 0
	.set _ZN7rocprim17ROCPRIM_304000_NS6detail28radix_sort_block_sort_kernelINS1_36wrapped_radix_sort_block_sort_configINS0_13kernel_configILj256ELj4ELj4294967295EEEiN2at4cuda3cub6detail10OpaqueTypeILi8EEEEELb0EPKiPiPKSB_PSB_NS0_19identity_decomposerEEEvT1_T2_T3_T4_jT5_jj.has_dyn_sized_stack, 0
	.set _ZN7rocprim17ROCPRIM_304000_NS6detail28radix_sort_block_sort_kernelINS1_36wrapped_radix_sort_block_sort_configINS0_13kernel_configILj256ELj4ELj4294967295EEEiN2at4cuda3cub6detail10OpaqueTypeILi8EEEEELb0EPKiPiPKSB_PSB_NS0_19identity_decomposerEEEvT1_T2_T3_T4_jT5_jj.has_recursion, 0
	.set _ZN7rocprim17ROCPRIM_304000_NS6detail28radix_sort_block_sort_kernelINS1_36wrapped_radix_sort_block_sort_configINS0_13kernel_configILj256ELj4ELj4294967295EEEiN2at4cuda3cub6detail10OpaqueTypeILi8EEEEELb0EPKiPiPKSB_PSB_NS0_19identity_decomposerEEEvT1_T2_T3_T4_jT5_jj.has_indirect_call, 0
	.section	.AMDGPU.csdata,"",@progbits
; Kernel info:
; codeLenInByte = 3940
; TotalNumSgprs: 52
; NumVgprs: 54
; NumAgprs: 0
; TotalNumVgprs: 54
; ScratchSize: 0
; MemoryBound: 0
; FloatMode: 240
; IeeeMode: 1
; LDSByteSize: 8192 bytes/workgroup (compile time only)
; SGPRBlocks: 6
; VGPRBlocks: 6
; NumSGPRsForWavesPerEU: 52
; NumVGPRsForWavesPerEU: 54
; AccumOffset: 56
; Occupancy: 8
; WaveLimiterHint : 1
; COMPUTE_PGM_RSRC2:SCRATCH_EN: 0
; COMPUTE_PGM_RSRC2:USER_SGPR: 2
; COMPUTE_PGM_RSRC2:TRAP_HANDLER: 0
; COMPUTE_PGM_RSRC2:TGID_X_EN: 1
; COMPUTE_PGM_RSRC2:TGID_Y_EN: 0
; COMPUTE_PGM_RSRC2:TGID_Z_EN: 0
; COMPUTE_PGM_RSRC2:TIDIG_COMP_CNT: 2
; COMPUTE_PGM_RSRC3_GFX90A:ACCUM_OFFSET: 13
; COMPUTE_PGM_RSRC3_GFX90A:TG_SPLIT: 0
	.section	.text._ZN7rocprim17ROCPRIM_304000_NS6detail45device_block_merge_mergepath_partition_kernelINS1_37wrapped_merge_sort_block_merge_configINS0_14default_configEiN2at4cuda3cub6detail10OpaqueTypeILi8EEEEEPijNS1_19radix_merge_compareILb0ELb0EiNS0_19identity_decomposerEEEEEvT0_T1_jPSH_T2_SH_,"axG",@progbits,_ZN7rocprim17ROCPRIM_304000_NS6detail45device_block_merge_mergepath_partition_kernelINS1_37wrapped_merge_sort_block_merge_configINS0_14default_configEiN2at4cuda3cub6detail10OpaqueTypeILi8EEEEEPijNS1_19radix_merge_compareILb0ELb0EiNS0_19identity_decomposerEEEEEvT0_T1_jPSH_T2_SH_,comdat
	.protected	_ZN7rocprim17ROCPRIM_304000_NS6detail45device_block_merge_mergepath_partition_kernelINS1_37wrapped_merge_sort_block_merge_configINS0_14default_configEiN2at4cuda3cub6detail10OpaqueTypeILi8EEEEEPijNS1_19radix_merge_compareILb0ELb0EiNS0_19identity_decomposerEEEEEvT0_T1_jPSH_T2_SH_ ; -- Begin function _ZN7rocprim17ROCPRIM_304000_NS6detail45device_block_merge_mergepath_partition_kernelINS1_37wrapped_merge_sort_block_merge_configINS0_14default_configEiN2at4cuda3cub6detail10OpaqueTypeILi8EEEEEPijNS1_19radix_merge_compareILb0ELb0EiNS0_19identity_decomposerEEEEEvT0_T1_jPSH_T2_SH_
	.globl	_ZN7rocprim17ROCPRIM_304000_NS6detail45device_block_merge_mergepath_partition_kernelINS1_37wrapped_merge_sort_block_merge_configINS0_14default_configEiN2at4cuda3cub6detail10OpaqueTypeILi8EEEEEPijNS1_19radix_merge_compareILb0ELb0EiNS0_19identity_decomposerEEEEEvT0_T1_jPSH_T2_SH_
	.p2align	8
	.type	_ZN7rocprim17ROCPRIM_304000_NS6detail45device_block_merge_mergepath_partition_kernelINS1_37wrapped_merge_sort_block_merge_configINS0_14default_configEiN2at4cuda3cub6detail10OpaqueTypeILi8EEEEEPijNS1_19radix_merge_compareILb0ELb0EiNS0_19identity_decomposerEEEEEvT0_T1_jPSH_T2_SH_,@function
_ZN7rocprim17ROCPRIM_304000_NS6detail45device_block_merge_mergepath_partition_kernelINS1_37wrapped_merge_sort_block_merge_configINS0_14default_configEiN2at4cuda3cub6detail10OpaqueTypeILi8EEEEEPijNS1_19radix_merge_compareILb0ELb0EiNS0_19identity_decomposerEEEEEvT0_T1_jPSH_T2_SH_: ; @_ZN7rocprim17ROCPRIM_304000_NS6detail45device_block_merge_mergepath_partition_kernelINS1_37wrapped_merge_sort_block_merge_configINS0_14default_configEiN2at4cuda3cub6detail10OpaqueTypeILi8EEEEEPijNS1_19radix_merge_compareILb0ELb0EiNS0_19identity_decomposerEEEEEvT0_T1_jPSH_T2_SH_
; %bb.0:
	s_load_dwordx2 s[4:5], s[0:1], 0x8
	v_lshl_or_b32 v0, s2, 7, v0
	s_waitcnt lgkmcnt(0)
	v_cmp_gt_u32_e32 vcc, s5, v0
	s_and_saveexec_b64 s[2:3], vcc
	s_cbranch_execz .LBB89_6
; %bb.1:
	s_load_dword s2, s[0:1], 0x1c
	s_waitcnt lgkmcnt(0)
	s_lshr_b32 s3, s2, 9
	s_and_b32 s3, s3, 0x7ffffe
	s_add_i32 s5, s3, -1
	s_sub_i32 s3, 0, s3
	v_and_b32_e32 v1, s3, v0
	v_and_b32_e32 v2, s5, v0
	v_lshlrev_b32_e32 v1, 10, v1
	v_lshlrev_b32_e32 v3, 10, v2
	v_min_u32_e32 v2, s4, v1
	v_add_u32_e32 v1, s2, v1
	v_min_u32_e32 v4, s4, v1
	v_add_u32_e32 v1, s2, v4
	v_min_u32_e32 v1, s4, v1
	v_sub_u32_e32 v5, v1, v2
	v_min_u32_e32 v10, v5, v3
	v_sub_u32_e32 v3, v4, v2
	v_sub_u32_e32 v1, v1, v4
	v_sub_u32_e64 v1, v10, v1 clamp
	v_min_u32_e32 v11, v10, v3
	v_cmp_lt_u32_e32 vcc, v1, v11
	s_and_saveexec_b64 s[2:3], vcc
	s_cbranch_execz .LBB89_5
; %bb.2:
	s_load_dwordx2 s[4:5], s[0:1], 0x0
	v_mov_b32_e32 v5, 0
	v_mov_b32_e32 v3, v5
	s_waitcnt lgkmcnt(0)
	v_lshl_add_u64 v[6:7], v[2:3], 2, s[4:5]
	v_lshl_add_u64 v[8:9], v[4:5], 2, s[4:5]
	s_mov_b64 s[4:5], 0
.LBB89_3:                               ; =>This Inner Loop Header: Depth=1
	v_add_u32_e32 v3, v11, v1
	v_lshrrev_b32_e32 v4, 1, v3
	v_mov_b32_e32 v13, v5
	v_xad_u32 v12, v4, -1, v10
	v_lshl_add_u64 v[14:15], v[4:5], 2, v[6:7]
	v_lshl_add_u64 v[12:13], v[12:13], 2, v[8:9]
	global_load_dword v3, v[14:15], off
	global_load_dword v16, v[12:13], off
	v_add_u32_e32 v12, 1, v4
	s_waitcnt vmcnt(0)
	v_cmp_gt_i32_e32 vcc, v3, v16
	s_nop 1
	v_cndmask_b32_e32 v11, v11, v4, vcc
	v_cndmask_b32_e32 v1, v12, v1, vcc
	v_cmp_ge_u32_e32 vcc, v1, v11
	s_or_b64 s[4:5], vcc, s[4:5]
	s_andn2_b64 exec, exec, s[4:5]
	s_cbranch_execnz .LBB89_3
; %bb.4:
	s_or_b64 exec, exec, s[4:5]
.LBB89_5:
	s_or_b64 exec, exec, s[2:3]
	s_load_dwordx2 s[0:1], s[0:1], 0x10
	v_add_u32_e32 v2, v1, v2
	v_mov_b32_e32 v1, 0
	s_waitcnt lgkmcnt(0)
	v_lshl_add_u64 v[0:1], v[0:1], 2, s[0:1]
	global_store_dword v[0:1], v2, off
.LBB89_6:
	s_endpgm
	.section	.rodata,"a",@progbits
	.p2align	6, 0x0
	.amdhsa_kernel _ZN7rocprim17ROCPRIM_304000_NS6detail45device_block_merge_mergepath_partition_kernelINS1_37wrapped_merge_sort_block_merge_configINS0_14default_configEiN2at4cuda3cub6detail10OpaqueTypeILi8EEEEEPijNS1_19radix_merge_compareILb0ELb0EiNS0_19identity_decomposerEEEEEvT0_T1_jPSH_T2_SH_
		.amdhsa_group_segment_fixed_size 0
		.amdhsa_private_segment_fixed_size 0
		.amdhsa_kernarg_size 32
		.amdhsa_user_sgpr_count 2
		.amdhsa_user_sgpr_dispatch_ptr 0
		.amdhsa_user_sgpr_queue_ptr 0
		.amdhsa_user_sgpr_kernarg_segment_ptr 1
		.amdhsa_user_sgpr_dispatch_id 0
		.amdhsa_user_sgpr_kernarg_preload_length 0
		.amdhsa_user_sgpr_kernarg_preload_offset 0
		.amdhsa_user_sgpr_private_segment_size 0
		.amdhsa_uses_dynamic_stack 0
		.amdhsa_enable_private_segment 0
		.amdhsa_system_sgpr_workgroup_id_x 1
		.amdhsa_system_sgpr_workgroup_id_y 0
		.amdhsa_system_sgpr_workgroup_id_z 0
		.amdhsa_system_sgpr_workgroup_info 0
		.amdhsa_system_vgpr_workitem_id 0
		.amdhsa_next_free_vgpr 17
		.amdhsa_next_free_sgpr 6
		.amdhsa_accum_offset 20
		.amdhsa_reserve_vcc 1
		.amdhsa_float_round_mode_32 0
		.amdhsa_float_round_mode_16_64 0
		.amdhsa_float_denorm_mode_32 3
		.amdhsa_float_denorm_mode_16_64 3
		.amdhsa_dx10_clamp 1
		.amdhsa_ieee_mode 1
		.amdhsa_fp16_overflow 0
		.amdhsa_tg_split 0
		.amdhsa_exception_fp_ieee_invalid_op 0
		.amdhsa_exception_fp_denorm_src 0
		.amdhsa_exception_fp_ieee_div_zero 0
		.amdhsa_exception_fp_ieee_overflow 0
		.amdhsa_exception_fp_ieee_underflow 0
		.amdhsa_exception_fp_ieee_inexact 0
		.amdhsa_exception_int_div_zero 0
	.end_amdhsa_kernel
	.section	.text._ZN7rocprim17ROCPRIM_304000_NS6detail45device_block_merge_mergepath_partition_kernelINS1_37wrapped_merge_sort_block_merge_configINS0_14default_configEiN2at4cuda3cub6detail10OpaqueTypeILi8EEEEEPijNS1_19radix_merge_compareILb0ELb0EiNS0_19identity_decomposerEEEEEvT0_T1_jPSH_T2_SH_,"axG",@progbits,_ZN7rocprim17ROCPRIM_304000_NS6detail45device_block_merge_mergepath_partition_kernelINS1_37wrapped_merge_sort_block_merge_configINS0_14default_configEiN2at4cuda3cub6detail10OpaqueTypeILi8EEEEEPijNS1_19radix_merge_compareILb0ELb0EiNS0_19identity_decomposerEEEEEvT0_T1_jPSH_T2_SH_,comdat
.Lfunc_end89:
	.size	_ZN7rocprim17ROCPRIM_304000_NS6detail45device_block_merge_mergepath_partition_kernelINS1_37wrapped_merge_sort_block_merge_configINS0_14default_configEiN2at4cuda3cub6detail10OpaqueTypeILi8EEEEEPijNS1_19radix_merge_compareILb0ELb0EiNS0_19identity_decomposerEEEEEvT0_T1_jPSH_T2_SH_, .Lfunc_end89-_ZN7rocprim17ROCPRIM_304000_NS6detail45device_block_merge_mergepath_partition_kernelINS1_37wrapped_merge_sort_block_merge_configINS0_14default_configEiN2at4cuda3cub6detail10OpaqueTypeILi8EEEEEPijNS1_19radix_merge_compareILb0ELb0EiNS0_19identity_decomposerEEEEEvT0_T1_jPSH_T2_SH_
                                        ; -- End function
	.set _ZN7rocprim17ROCPRIM_304000_NS6detail45device_block_merge_mergepath_partition_kernelINS1_37wrapped_merge_sort_block_merge_configINS0_14default_configEiN2at4cuda3cub6detail10OpaqueTypeILi8EEEEEPijNS1_19radix_merge_compareILb0ELb0EiNS0_19identity_decomposerEEEEEvT0_T1_jPSH_T2_SH_.num_vgpr, 17
	.set _ZN7rocprim17ROCPRIM_304000_NS6detail45device_block_merge_mergepath_partition_kernelINS1_37wrapped_merge_sort_block_merge_configINS0_14default_configEiN2at4cuda3cub6detail10OpaqueTypeILi8EEEEEPijNS1_19radix_merge_compareILb0ELb0EiNS0_19identity_decomposerEEEEEvT0_T1_jPSH_T2_SH_.num_agpr, 0
	.set _ZN7rocprim17ROCPRIM_304000_NS6detail45device_block_merge_mergepath_partition_kernelINS1_37wrapped_merge_sort_block_merge_configINS0_14default_configEiN2at4cuda3cub6detail10OpaqueTypeILi8EEEEEPijNS1_19radix_merge_compareILb0ELb0EiNS0_19identity_decomposerEEEEEvT0_T1_jPSH_T2_SH_.numbered_sgpr, 6
	.set _ZN7rocprim17ROCPRIM_304000_NS6detail45device_block_merge_mergepath_partition_kernelINS1_37wrapped_merge_sort_block_merge_configINS0_14default_configEiN2at4cuda3cub6detail10OpaqueTypeILi8EEEEEPijNS1_19radix_merge_compareILb0ELb0EiNS0_19identity_decomposerEEEEEvT0_T1_jPSH_T2_SH_.num_named_barrier, 0
	.set _ZN7rocprim17ROCPRIM_304000_NS6detail45device_block_merge_mergepath_partition_kernelINS1_37wrapped_merge_sort_block_merge_configINS0_14default_configEiN2at4cuda3cub6detail10OpaqueTypeILi8EEEEEPijNS1_19radix_merge_compareILb0ELb0EiNS0_19identity_decomposerEEEEEvT0_T1_jPSH_T2_SH_.private_seg_size, 0
	.set _ZN7rocprim17ROCPRIM_304000_NS6detail45device_block_merge_mergepath_partition_kernelINS1_37wrapped_merge_sort_block_merge_configINS0_14default_configEiN2at4cuda3cub6detail10OpaqueTypeILi8EEEEEPijNS1_19radix_merge_compareILb0ELb0EiNS0_19identity_decomposerEEEEEvT0_T1_jPSH_T2_SH_.uses_vcc, 1
	.set _ZN7rocprim17ROCPRIM_304000_NS6detail45device_block_merge_mergepath_partition_kernelINS1_37wrapped_merge_sort_block_merge_configINS0_14default_configEiN2at4cuda3cub6detail10OpaqueTypeILi8EEEEEPijNS1_19radix_merge_compareILb0ELb0EiNS0_19identity_decomposerEEEEEvT0_T1_jPSH_T2_SH_.uses_flat_scratch, 0
	.set _ZN7rocprim17ROCPRIM_304000_NS6detail45device_block_merge_mergepath_partition_kernelINS1_37wrapped_merge_sort_block_merge_configINS0_14default_configEiN2at4cuda3cub6detail10OpaqueTypeILi8EEEEEPijNS1_19radix_merge_compareILb0ELb0EiNS0_19identity_decomposerEEEEEvT0_T1_jPSH_T2_SH_.has_dyn_sized_stack, 0
	.set _ZN7rocprim17ROCPRIM_304000_NS6detail45device_block_merge_mergepath_partition_kernelINS1_37wrapped_merge_sort_block_merge_configINS0_14default_configEiN2at4cuda3cub6detail10OpaqueTypeILi8EEEEEPijNS1_19radix_merge_compareILb0ELb0EiNS0_19identity_decomposerEEEEEvT0_T1_jPSH_T2_SH_.has_recursion, 0
	.set _ZN7rocprim17ROCPRIM_304000_NS6detail45device_block_merge_mergepath_partition_kernelINS1_37wrapped_merge_sort_block_merge_configINS0_14default_configEiN2at4cuda3cub6detail10OpaqueTypeILi8EEEEEPijNS1_19radix_merge_compareILb0ELb0EiNS0_19identity_decomposerEEEEEvT0_T1_jPSH_T2_SH_.has_indirect_call, 0
	.section	.AMDGPU.csdata,"",@progbits
; Kernel info:
; codeLenInByte = 320
; TotalNumSgprs: 12
; NumVgprs: 17
; NumAgprs: 0
; TotalNumVgprs: 17
; ScratchSize: 0
; MemoryBound: 0
; FloatMode: 240
; IeeeMode: 1
; LDSByteSize: 0 bytes/workgroup (compile time only)
; SGPRBlocks: 1
; VGPRBlocks: 2
; NumSGPRsForWavesPerEU: 12
; NumVGPRsForWavesPerEU: 17
; AccumOffset: 20
; Occupancy: 8
; WaveLimiterHint : 0
; COMPUTE_PGM_RSRC2:SCRATCH_EN: 0
; COMPUTE_PGM_RSRC2:USER_SGPR: 2
; COMPUTE_PGM_RSRC2:TRAP_HANDLER: 0
; COMPUTE_PGM_RSRC2:TGID_X_EN: 1
; COMPUTE_PGM_RSRC2:TGID_Y_EN: 0
; COMPUTE_PGM_RSRC2:TGID_Z_EN: 0
; COMPUTE_PGM_RSRC2:TIDIG_COMP_CNT: 0
; COMPUTE_PGM_RSRC3_GFX90A:ACCUM_OFFSET: 4
; COMPUTE_PGM_RSRC3_GFX90A:TG_SPLIT: 0
	.section	.text._ZN7rocprim17ROCPRIM_304000_NS6detail35device_block_merge_mergepath_kernelINS1_37wrapped_merge_sort_block_merge_configINS0_14default_configEiN2at4cuda3cub6detail10OpaqueTypeILi8EEEEEPiSC_PSA_SD_jNS1_19radix_merge_compareILb0ELb0EiNS0_19identity_decomposerEEEEEvT0_T1_T2_T3_T4_SL_jT5_PKSL_NS1_7vsmem_tE,"axG",@progbits,_ZN7rocprim17ROCPRIM_304000_NS6detail35device_block_merge_mergepath_kernelINS1_37wrapped_merge_sort_block_merge_configINS0_14default_configEiN2at4cuda3cub6detail10OpaqueTypeILi8EEEEEPiSC_PSA_SD_jNS1_19radix_merge_compareILb0ELb0EiNS0_19identity_decomposerEEEEEvT0_T1_T2_T3_T4_SL_jT5_PKSL_NS1_7vsmem_tE,comdat
	.protected	_ZN7rocprim17ROCPRIM_304000_NS6detail35device_block_merge_mergepath_kernelINS1_37wrapped_merge_sort_block_merge_configINS0_14default_configEiN2at4cuda3cub6detail10OpaqueTypeILi8EEEEEPiSC_PSA_SD_jNS1_19radix_merge_compareILb0ELb0EiNS0_19identity_decomposerEEEEEvT0_T1_T2_T3_T4_SL_jT5_PKSL_NS1_7vsmem_tE ; -- Begin function _ZN7rocprim17ROCPRIM_304000_NS6detail35device_block_merge_mergepath_kernelINS1_37wrapped_merge_sort_block_merge_configINS0_14default_configEiN2at4cuda3cub6detail10OpaqueTypeILi8EEEEEPiSC_PSA_SD_jNS1_19radix_merge_compareILb0ELb0EiNS0_19identity_decomposerEEEEEvT0_T1_T2_T3_T4_SL_jT5_PKSL_NS1_7vsmem_tE
	.globl	_ZN7rocprim17ROCPRIM_304000_NS6detail35device_block_merge_mergepath_kernelINS1_37wrapped_merge_sort_block_merge_configINS0_14default_configEiN2at4cuda3cub6detail10OpaqueTypeILi8EEEEEPiSC_PSA_SD_jNS1_19radix_merge_compareILb0ELb0EiNS0_19identity_decomposerEEEEEvT0_T1_T2_T3_T4_SL_jT5_PKSL_NS1_7vsmem_tE
	.p2align	8
	.type	_ZN7rocprim17ROCPRIM_304000_NS6detail35device_block_merge_mergepath_kernelINS1_37wrapped_merge_sort_block_merge_configINS0_14default_configEiN2at4cuda3cub6detail10OpaqueTypeILi8EEEEEPiSC_PSA_SD_jNS1_19radix_merge_compareILb0ELb0EiNS0_19identity_decomposerEEEEEvT0_T1_T2_T3_T4_SL_jT5_PKSL_NS1_7vsmem_tE,@function
_ZN7rocprim17ROCPRIM_304000_NS6detail35device_block_merge_mergepath_kernelINS1_37wrapped_merge_sort_block_merge_configINS0_14default_configEiN2at4cuda3cub6detail10OpaqueTypeILi8EEEEEPiSC_PSA_SD_jNS1_19radix_merge_compareILb0ELb0EiNS0_19identity_decomposerEEEEEvT0_T1_T2_T3_T4_SL_jT5_PKSL_NS1_7vsmem_tE: ; @_ZN7rocprim17ROCPRIM_304000_NS6detail35device_block_merge_mergepath_kernelINS1_37wrapped_merge_sort_block_merge_configINS0_14default_configEiN2at4cuda3cub6detail10OpaqueTypeILi8EEEEEPiSC_PSA_SD_jNS1_19radix_merge_compareILb0ELb0EiNS0_19identity_decomposerEEEEEvT0_T1_T2_T3_T4_SL_jT5_PKSL_NS1_7vsmem_tE
; %bb.0:
	s_load_dwordx2 s[26:27], s[0:1], 0x40
	s_load_dwordx4 s[12:15], s[0:1], 0x20
	s_add_u32 s24, s0, 64
	s_addc_u32 s25, s1, 0
	s_waitcnt lgkmcnt(0)
	s_mul_i32 s4, s27, s4
	s_add_i32 s3, s4, s3
	s_mul_i32 s3, s3, s26
	s_add_i32 s22, s3, s2
	s_cmp_ge_u32 s22, s14
	s_cbranch_scc1 .LBB90_51
; %bb.1:
	s_load_dwordx8 s[4:11], s[0:1], 0x0
	s_load_dwordx2 s[14:15], s[0:1], 0x30
	s_lshr_b32 s27, s12, 10
	s_cmp_lg_u32 s22, s27
	s_mov_b32 s23, 0
	s_cselect_b64 s[16:17], -1, 0
	s_lshl_b64 s[0:1], s[22:23], 2
	s_waitcnt lgkmcnt(0)
	s_add_u32 s0, s14, s0
	s_addc_u32 s1, s15, s1
	s_load_dwordx2 s[18:19], s[0:1], 0x0
	s_lshr_b32 s0, s13, 9
	s_and_b32 s0, s0, 0x7ffffe
	s_sub_i32 s0, 0, s0
	s_and_b32 s1, s22, s0
	s_lshl_b32 s3, s1, 10
	s_lshl_b32 s14, s22, 10
	;; [unrolled: 1-line block ×3, first 2 shown]
	s_sub_i32 s15, s14, s3
	s_add_i32 s1, s1, s13
	s_add_i32 s15, s1, s15
	s_waitcnt lgkmcnt(0)
	s_sub_i32 s20, s15, s18
	s_sub_i32 s15, s15, s19
	;; [unrolled: 1-line block ×3, first 2 shown]
	s_min_u32 s20, s12, s20
	s_addk_i32 s15, 0x400
	s_or_b32 s0, s22, s0
	s_min_u32 s3, s12, s1
	s_add_i32 s1, s1, s13
	s_cmp_eq_u32 s0, -1
	s_cselect_b32 s0, s1, s15
	s_cselect_b32 s1, s3, s19
	s_min_u32 s0, s0, s12
	s_mov_b32 s19, s23
	s_sub_i32 s13, s1, s18
	s_sub_i32 s15, s0, s20
	s_lshl_b64 s[0:1], s[18:19], 2
	s_add_u32 s0, s4, s0
	s_mov_b32 s21, s23
	s_addc_u32 s1, s5, s1
	s_lshl_b64 s[28:29], s[20:21], 2
	s_add_u32 s4, s4, s28
	s_addc_u32 s5, s5, s29
	s_cmp_lt_u32 s2, s26
	v_mov_b32_e32 v3, 0
	s_cselect_b32 s2, 12, 18
	global_load_dword v1, v3, s[24:25] offset:14
	s_add_u32 s2, s24, s2
	s_addc_u32 s3, s25, 0
	global_load_ushort v2, v3, s[2:3]
	v_cmp_gt_u32_e32 vcc, s13, v0
	s_cmp_eq_u32 s22, s27
	s_waitcnt vmcnt(1)
	v_lshrrev_b32_e32 v4, 16, v1
	v_and_b32_e32 v1, 0xffff, v1
	v_mul_lo_u32 v1, v1, v4
	s_waitcnt vmcnt(0)
	v_mul_lo_u32 v1, v1, v2
	v_lshlrev_b32_e32 v2, 2, v0
	v_add_u32_e32 v6, v1, v0
	s_cbranch_scc1 .LBB90_3
; %bb.2:
	v_subrev_u32_e32 v1, s13, v0
	v_lshlrev_b32_e32 v8, 2, v1
	v_mov_b32_e32 v9, v3
	v_lshl_add_u64 v[4:5], s[0:1], 0, v[2:3]
	v_lshl_add_u64 v[8:9], s[4:5], 0, v[8:9]
	v_cndmask_b32_e32 v5, v9, v5, vcc
	v_cndmask_b32_e32 v4, v8, v4, vcc
	v_mov_b32_e32 v7, v3
	v_subrev_co_u32_e32 v10, vcc, s13, v6
	v_mov_b32_e32 v11, v3
	v_lshl_add_u64 v[8:9], v[6:7], 2, s[0:1]
	v_lshl_add_u64 v[10:11], v[10:11], 2, s[4:5]
	v_cndmask_b32_e32 v9, v11, v9, vcc
	v_cndmask_b32_e32 v8, v10, v8, vcc
	global_load_dword v4, v[4:5], off
	s_add_i32 s22, s15, s13
	global_load_dword v1, v[8:9], off
	v_mov_b32_e32 v5, s22
	s_cbranch_execz .LBB90_4
	s_branch .LBB90_9
.LBB90_3:
                                        ; implicit-def: $vgpr1
                                        ; implicit-def: $vgpr5
                                        ; implicit-def: $vgpr4
.LBB90_4:
	s_add_i32 s22, s15, s13
	v_cmp_gt_u32_e32 vcc, s22, v0
	s_waitcnt vmcnt(0)
	v_mov_b32_e32 v1, 0
	v_mov_b32_e32 v4, 0
	s_and_saveexec_b64 s[2:3], vcc
	s_cbranch_execz .LBB90_6
; %bb.5:
	v_mov_b32_e32 v3, 0
	v_subrev_u32_e32 v7, s13, v0
	v_lshlrev_b32_e32 v8, 2, v7
	v_mov_b32_e32 v9, v3
	v_lshl_add_u64 v[4:5], s[0:1], 0, v[2:3]
	v_lshl_add_u64 v[8:9], s[4:5], 0, v[8:9]
	v_cmp_gt_u32_e32 vcc, s13, v0
	s_nop 1
	v_cndmask_b32_e32 v5, v9, v5, vcc
	v_cndmask_b32_e32 v4, v8, v4, vcc
	global_load_dword v4, v[4:5], off
.LBB90_6:
	s_or_b64 exec, exec, s[2:3]
	v_cmp_gt_u32_e32 vcc, s22, v6
	s_and_saveexec_b64 s[2:3], vcc
	s_cbranch_execz .LBB90_8
; %bb.7:
	v_mov_b32_e32 v7, 0
	v_lshl_add_u64 v[8:9], v[6:7], 2, s[0:1]
	v_subrev_co_u32_e32 v6, vcc, s13, v6
	v_lshl_add_u64 v[6:7], v[6:7], 2, s[4:5]
	s_nop 0
	v_cndmask_b32_e32 v7, v7, v9, vcc
	v_cndmask_b32_e32 v6, v6, v8, vcc
	global_load_dword v1, v[6:7], off
.LBB90_8:
	s_or_b64 exec, exec, s[2:3]
	v_mov_b32_e32 v5, s22
.LBB90_9:
	v_lshlrev_b32_e32 v3, 1, v0
	v_min_u32_e32 v7, v5, v3
	v_sub_u32_e64 v6, v7, s15 clamp
	v_min_u32_e32 v8, s13, v7
	v_cmp_lt_u32_e32 vcc, v6, v8
	s_waitcnt vmcnt(0)
	ds_write2st64_b32 v2, v4, v1 offset1:8
	s_waitcnt lgkmcnt(0)
	s_barrier
	s_and_saveexec_b64 s[0:1], vcc
	s_cbranch_execz .LBB90_13
; %bb.10:
	v_lshlrev_b32_e32 v9, 2, v7
	v_lshl_add_u32 v9, s13, 2, v9
	s_mov_b64 s[2:3], 0
.LBB90_11:                              ; =>This Inner Loop Header: Depth=1
	v_add_u32_e32 v10, v8, v6
	v_lshrrev_b32_e32 v10, 1, v10
	v_not_b32_e32 v11, v10
	v_lshlrev_b32_e32 v12, 2, v10
	v_lshl_add_u32 v11, v11, 2, v9
	ds_read_b32 v12, v12
	ds_read_b32 v11, v11
	v_add_u32_e32 v13, 1, v10
	s_waitcnt lgkmcnt(0)
	v_cmp_gt_i32_e32 vcc, v12, v11
	s_nop 1
	v_cndmask_b32_e32 v8, v8, v10, vcc
	v_cndmask_b32_e32 v6, v13, v6, vcc
	v_cmp_ge_u32_e32 vcc, v6, v8
	s_or_b64 s[2:3], vcc, s[2:3]
	s_andn2_b64 exec, exec, s[2:3]
	s_cbranch_execnz .LBB90_11
; %bb.12:
	s_or_b64 exec, exec, s[2:3]
.LBB90_13:
	s_or_b64 exec, exec, s[0:1]
	v_sub_u32_e32 v7, v7, v6
	v_add_u32_e32 v7, s13, v7
	v_cmp_ge_u32_e32 vcc, s13, v6
	v_cmp_le_u32_e64 s[0:1], v7, v5
	s_or_b64 s[0:1], vcc, s[0:1]
	v_mov_b32_e32 v10, 0
	v_mov_b32_e32 v11, 0
	s_and_saveexec_b64 s[4:5], s[0:1]
	s_cbranch_execz .LBB90_19
; %bb.14:
	v_cmp_gt_u32_e32 vcc, s13, v6
                                        ; implicit-def: $vgpr1
	s_and_saveexec_b64 s[0:1], vcc
; %bb.15:
	v_lshlrev_b32_e32 v1, 2, v6
	ds_read_b32 v1, v1
; %bb.16:
	s_or_b64 exec, exec, s[0:1]
	v_cmp_ge_u32_e64 s[0:1], v7, v5
	v_cmp_lt_u32_e64 s[2:3], v7, v5
                                        ; implicit-def: $vgpr8
	s_and_saveexec_b64 s[22:23], s[2:3]
; %bb.17:
	v_lshlrev_b32_e32 v4, 2, v7
	ds_read_b32 v8, v4
; %bb.18:
	s_or_b64 exec, exec, s[22:23]
	s_waitcnt lgkmcnt(0)
	v_cmp_le_i32_e64 s[2:3], v1, v8
	s_and_b64 s[2:3], vcc, s[2:3]
	s_or_b64 vcc, s[0:1], s[2:3]
	v_mov_b32_e32 v4, s13
	v_cndmask_b32_e32 v11, v7, v6, vcc
	v_cndmask_b32_e32 v4, v5, v4, vcc
	v_add_u32_e32 v9, 1, v11
	v_add_u32_e32 v4, -1, v4
	v_min_u32_e32 v4, v9, v4
	v_lshlrev_b32_e32 v4, 2, v4
	ds_read_b32 v10, v4
	v_cndmask_b32_e32 v4, v8, v1, vcc
	v_cndmask_b32_e32 v6, v6, v9, vcc
	v_cndmask_b32_e32 v7, v9, v7, vcc
	v_cmp_gt_u32_e64 s[0:1], s13, v6
	s_waitcnt lgkmcnt(0)
	v_cndmask_b32_e32 v8, v10, v8, vcc
	v_cndmask_b32_e32 v1, v1, v10, vcc
	v_cmp_le_i32_e64 s[2:3], v1, v8
	v_cmp_ge_u32_e32 vcc, v7, v5
	s_and_b64 s[0:1], s[0:1], s[2:3]
	s_or_b64 vcc, vcc, s[0:1]
	v_cndmask_b32_e32 v10, v7, v6, vcc
	v_cndmask_b32_e32 v1, v8, v1, vcc
.LBB90_19:
	s_or_b64 exec, exec, s[4:5]
	s_lshl_b64 s[0:1], s[18:19], 3
	s_add_u32 s18, s8, s0
	s_addc_u32 s19, s9, s1
	s_lshl_b64 s[0:1], s[20:21], 3
	s_add_u32 s8, s8, s0
	v_cndmask_b32_e64 v6, 0, 1, s[16:17]
	v_mov_b32_e32 v7, 0
	s_addc_u32 s9, s9, s1
	v_cmp_gt_u32_e64 s[4:5], s13, v0
	v_cmp_ne_u32_e64 s[0:1], 1, v6
	s_andn2_b64 vcc, exec, s[16:17]
	v_cmp_le_u32_e64 s[2:3], s13, v0
	s_barrier
	s_cbranch_vccnz .LBB90_21
; %bb.20:
	v_lshlrev_b32_e32 v6, 3, v0
	v_lshl_add_u64 v[8:9], s[18:19], 0, v[6:7]
	v_subrev_u32_e32 v6, s13, v0
	v_lshlrev_b32_e32 v6, 3, v6
	v_lshl_add_u64 v[6:7], s[8:9], 0, v[6:7]
	v_cndmask_b32_e64 v7, v7, v9, s[4:5]
	v_cndmask_b32_e64 v6, v6, v8, s[4:5]
	global_load_dwordx2 v[14:15], v[6:7], off
	v_or_b32_e32 v12, 0x200, v0
	v_mov_b32_e32 v6, s9
	v_mov_b32_e32 v7, s19
	v_mov_b32_e32 v13, s8
	v_mov_b32_e32 v16, s18
	v_subrev_u32_e32 v8, s13, v12
	v_cmp_gt_u32_e32 vcc, s13, v12
	v_lshl_add_u32 v9, v0, 2, v2
	s_nop 0
	v_cndmask_b32_e32 v7, v6, v7, vcc
	v_min_u32_e32 v8, v12, v8
	v_cndmask_b32_e32 v6, v13, v16, vcc
	s_mov_b64 s[4:5], -1
	s_waitcnt vmcnt(0)
	ds_write_b64 v9, v[14:15]
	s_cbranch_execz .LBB90_22
	s_branch .LBB90_31
.LBB90_21:
	s_mov_b64 s[4:5], 0
                                        ; implicit-def: $vgpr12
                                        ; implicit-def: $vgpr6_vgpr7
                                        ; implicit-def: $vgpr8
.LBB90_22:
	s_and_saveexec_b64 s[4:5], s[2:3]
	s_xor_b64 s[2:3], exec, s[4:5]
	s_cbranch_execz .LBB90_26
; %bb.23:
	v_subrev_u32_e32 v6, s13, v0
	v_cmp_gt_u32_e32 vcc, s15, v6
	s_and_saveexec_b64 s[4:5], vcc
	s_cbranch_execz .LBB90_25
; %bb.24:
	v_lshlrev_b32_e32 v6, 3, v6
	global_load_dwordx2 v[6:7], v6, s[8:9]
	v_lshl_add_u32 v8, v0, 2, v2
	s_waitcnt vmcnt(0)
	ds_write_b64 v8, v[6:7]
.LBB90_25:
	s_or_b64 exec, exec, s[4:5]
.LBB90_26:
	s_andn2_saveexec_b64 s[2:3], s[2:3]
	s_cbranch_execz .LBB90_28
; %bb.27:
	v_lshlrev_b32_e32 v6, 3, v0
	global_load_dwordx2 v[6:7], v6, s[18:19]
	v_lshl_add_u32 v8, v0, 2, v2
	s_waitcnt vmcnt(0)
	ds_write_b64 v8, v[6:7]
.LBB90_28:
	s_or_b64 exec, exec, s[2:3]
	v_or_b32_e32 v12, 0x200, v0
	v_cmp_le_u32_e32 vcc, s13, v12
	s_mov_b64 s[4:5], -1
	v_mov_b64_e32 v[6:7], s[18:19]
	v_mov_b32_e32 v8, v12
	s_and_saveexec_b64 s[2:3], vcc
; %bb.29:
	v_subrev_u32_e32 v8, s13, v12
	v_cmp_gt_u32_e32 vcc, s15, v8
	v_mov_b64_e32 v[6:7], s[8:9]
	s_orn2_b64 s[4:5], vcc, exec
; %bb.30:
	s_or_b64 exec, exec, s[2:3]
.LBB90_31:
	s_and_saveexec_b64 s[2:3], s[4:5]
	s_cbranch_execz .LBB90_33
; %bb.32:
	v_mov_b32_e32 v9, 0
	v_lshl_add_u64 v[6:7], v[8:9], 3, v[6:7]
	global_load_dwordx2 v[6:7], v[6:7], off
	v_lshlrev_b32_e32 v8, 3, v12
	s_waitcnt vmcnt(0)
	ds_write_b64 v8, v[6:7]
.LBB90_33:
	s_or_b64 exec, exec, s[2:3]
	s_and_b64 vcc, exec, s[0:1]
	v_add_u32_e32 v6, s14, v3
	s_waitcnt lgkmcnt(0)
	s_barrier
	s_cbranch_vccnz .LBB90_35
; %bb.34:
	v_lshlrev_b32_e32 v7, 3, v11
	ds_read_b64 v[8:9], v7
	v_mov_b32_e32 v7, 0
	v_lshl_add_u64 v[12:13], v[6:7], 3, s[10:11]
	s_mov_b64 s[0:1], -1
	s_waitcnt lgkmcnt(0)
	global_store_dwordx2 v[12:13], v[8:9], off
	s_cbranch_execz .LBB90_36
	s_branch .LBB90_41
.LBB90_35:
	s_mov_b64 s[0:1], 0
.LBB90_36:
	v_cmp_lt_u32_e32 vcc, v3, v5
	s_and_saveexec_b64 s[2:3], vcc
	s_cbranch_execz .LBB90_38
; %bb.37:
	v_lshlrev_b32_e32 v7, 3, v11
	ds_read_b64 v[8:9], v7
	v_mov_b32_e32 v7, 0
	v_lshl_add_u64 v[12:13], v[6:7], 3, s[10:11]
	s_waitcnt lgkmcnt(0)
	global_store_dwordx2 v[12:13], v[8:9], off
.LBB90_38:
	s_or_b64 exec, exec, s[2:3]
	v_or_b32_e32 v7, 1, v3
	v_cmp_lt_u32_e32 vcc, v7, v5
	s_and_saveexec_b64 s[2:3], vcc
; %bb.39:
	v_mov_b32_e32 v7, 0
	s_or_b64 s[0:1], s[0:1], exec
; %bb.40:
	s_or_b64 exec, exec, s[2:3]
.LBB90_41:
	s_and_saveexec_b64 s[2:3], s[0:1]
	s_cbranch_execz .LBB90_43
; %bb.42:
	v_lshlrev_b32_e32 v5, 3, v10
	ds_read_b64 v[8:9], v5
	v_lshl_add_u64 v[6:7], v[6:7], 3, s[10:11]
	s_waitcnt lgkmcnt(0)
	global_store_dwordx2 v[6:7], v[8:9], off offset:8
.LBB90_43:
	s_or_b64 exec, exec, s[2:3]
	v_lshrrev_b32_e32 v5, 2, v0
	v_and_b32_e32 v5, 0x7c, v5
	v_lshl_add_u32 v3, v3, 2, v5
	s_barrier
	s_barrier
	ds_write2_b32 v3, v4, v1 offset1:1
	v_lshrrev_b32_e32 v1, 3, v0
	v_and_b32_e32 v1, 60, v1
	s_mov_b32 s15, 0
	v_add_u32_e32 v4, v1, v2
	v_or_b32_e32 v1, 0x200, v0
	s_lshl_b64 s[0:1], s[14:15], 2
	v_lshrrev_b32_e32 v3, 3, v1
	s_add_u32 s0, s6, s0
	v_and_b32_e32 v3, 0x7c, v3
	s_addc_u32 s1, s7, s1
	v_add_u32_e32 v6, v3, v2
	v_mov_b32_e32 v3, 0
	v_lshl_add_u64 v[2:3], s[0:1], 0, v[2:3]
	s_and_b64 vcc, exec, s[16:17]
	s_waitcnt lgkmcnt(0)
	s_cbranch_vccz .LBB90_45
; %bb.44:
	s_barrier
	ds_read_b32 v7, v4
	ds_read_b32 v5, v6 offset:2048
	s_mov_b64 s[0:1], -1
	s_waitcnt lgkmcnt(1)
	global_store_dword v[2:3], v7, off
	s_cbranch_execz .LBB90_46
	s_branch .LBB90_49
.LBB90_45:
	s_mov_b64 s[0:1], 0
                                        ; implicit-def: $vgpr5
.LBB90_46:
	s_barrier
	s_waitcnt lgkmcnt(0)
	ds_read_b32 v5, v6 offset:2048
	s_sub_i32 s2, s12, s14
	v_cmp_gt_u32_e32 vcc, s2, v0
	s_and_saveexec_b64 s[0:1], vcc
	s_cbranch_execz .LBB90_48
; %bb.47:
	ds_read_b32 v0, v4
	s_waitcnt lgkmcnt(0)
	global_store_dword v[2:3], v0, off
.LBB90_48:
	s_or_b64 exec, exec, s[0:1]
	v_cmp_gt_u32_e64 s[0:1], s2, v1
.LBB90_49:
	s_and_saveexec_b64 s[2:3], s[0:1]
	s_cbranch_execz .LBB90_51
; %bb.50:
	s_waitcnt lgkmcnt(0)
	global_store_dword v[2:3], v5, off offset:2048
.LBB90_51:
	s_endpgm
	.section	.rodata,"a",@progbits
	.p2align	6, 0x0
	.amdhsa_kernel _ZN7rocprim17ROCPRIM_304000_NS6detail35device_block_merge_mergepath_kernelINS1_37wrapped_merge_sort_block_merge_configINS0_14default_configEiN2at4cuda3cub6detail10OpaqueTypeILi8EEEEEPiSC_PSA_SD_jNS1_19radix_merge_compareILb0ELb0EiNS0_19identity_decomposerEEEEEvT0_T1_T2_T3_T4_SL_jT5_PKSL_NS1_7vsmem_tE
		.amdhsa_group_segment_fixed_size 8208
		.amdhsa_private_segment_fixed_size 0
		.amdhsa_kernarg_size 320
		.amdhsa_user_sgpr_count 2
		.amdhsa_user_sgpr_dispatch_ptr 0
		.amdhsa_user_sgpr_queue_ptr 0
		.amdhsa_user_sgpr_kernarg_segment_ptr 1
		.amdhsa_user_sgpr_dispatch_id 0
		.amdhsa_user_sgpr_kernarg_preload_length 0
		.amdhsa_user_sgpr_kernarg_preload_offset 0
		.amdhsa_user_sgpr_private_segment_size 0
		.amdhsa_uses_dynamic_stack 0
		.amdhsa_enable_private_segment 0
		.amdhsa_system_sgpr_workgroup_id_x 1
		.amdhsa_system_sgpr_workgroup_id_y 1
		.amdhsa_system_sgpr_workgroup_id_z 1
		.amdhsa_system_sgpr_workgroup_info 0
		.amdhsa_system_vgpr_workitem_id 0
		.amdhsa_next_free_vgpr 17
		.amdhsa_next_free_sgpr 30
		.amdhsa_accum_offset 20
		.amdhsa_reserve_vcc 1
		.amdhsa_float_round_mode_32 0
		.amdhsa_float_round_mode_16_64 0
		.amdhsa_float_denorm_mode_32 3
		.amdhsa_float_denorm_mode_16_64 3
		.amdhsa_dx10_clamp 1
		.amdhsa_ieee_mode 1
		.amdhsa_fp16_overflow 0
		.amdhsa_tg_split 0
		.amdhsa_exception_fp_ieee_invalid_op 0
		.amdhsa_exception_fp_denorm_src 0
		.amdhsa_exception_fp_ieee_div_zero 0
		.amdhsa_exception_fp_ieee_overflow 0
		.amdhsa_exception_fp_ieee_underflow 0
		.amdhsa_exception_fp_ieee_inexact 0
		.amdhsa_exception_int_div_zero 0
	.end_amdhsa_kernel
	.section	.text._ZN7rocprim17ROCPRIM_304000_NS6detail35device_block_merge_mergepath_kernelINS1_37wrapped_merge_sort_block_merge_configINS0_14default_configEiN2at4cuda3cub6detail10OpaqueTypeILi8EEEEEPiSC_PSA_SD_jNS1_19radix_merge_compareILb0ELb0EiNS0_19identity_decomposerEEEEEvT0_T1_T2_T3_T4_SL_jT5_PKSL_NS1_7vsmem_tE,"axG",@progbits,_ZN7rocprim17ROCPRIM_304000_NS6detail35device_block_merge_mergepath_kernelINS1_37wrapped_merge_sort_block_merge_configINS0_14default_configEiN2at4cuda3cub6detail10OpaqueTypeILi8EEEEEPiSC_PSA_SD_jNS1_19radix_merge_compareILb0ELb0EiNS0_19identity_decomposerEEEEEvT0_T1_T2_T3_T4_SL_jT5_PKSL_NS1_7vsmem_tE,comdat
.Lfunc_end90:
	.size	_ZN7rocprim17ROCPRIM_304000_NS6detail35device_block_merge_mergepath_kernelINS1_37wrapped_merge_sort_block_merge_configINS0_14default_configEiN2at4cuda3cub6detail10OpaqueTypeILi8EEEEEPiSC_PSA_SD_jNS1_19radix_merge_compareILb0ELb0EiNS0_19identity_decomposerEEEEEvT0_T1_T2_T3_T4_SL_jT5_PKSL_NS1_7vsmem_tE, .Lfunc_end90-_ZN7rocprim17ROCPRIM_304000_NS6detail35device_block_merge_mergepath_kernelINS1_37wrapped_merge_sort_block_merge_configINS0_14default_configEiN2at4cuda3cub6detail10OpaqueTypeILi8EEEEEPiSC_PSA_SD_jNS1_19radix_merge_compareILb0ELb0EiNS0_19identity_decomposerEEEEEvT0_T1_T2_T3_T4_SL_jT5_PKSL_NS1_7vsmem_tE
                                        ; -- End function
	.set _ZN7rocprim17ROCPRIM_304000_NS6detail35device_block_merge_mergepath_kernelINS1_37wrapped_merge_sort_block_merge_configINS0_14default_configEiN2at4cuda3cub6detail10OpaqueTypeILi8EEEEEPiSC_PSA_SD_jNS1_19radix_merge_compareILb0ELb0EiNS0_19identity_decomposerEEEEEvT0_T1_T2_T3_T4_SL_jT5_PKSL_NS1_7vsmem_tE.num_vgpr, 17
	.set _ZN7rocprim17ROCPRIM_304000_NS6detail35device_block_merge_mergepath_kernelINS1_37wrapped_merge_sort_block_merge_configINS0_14default_configEiN2at4cuda3cub6detail10OpaqueTypeILi8EEEEEPiSC_PSA_SD_jNS1_19radix_merge_compareILb0ELb0EiNS0_19identity_decomposerEEEEEvT0_T1_T2_T3_T4_SL_jT5_PKSL_NS1_7vsmem_tE.num_agpr, 0
	.set _ZN7rocprim17ROCPRIM_304000_NS6detail35device_block_merge_mergepath_kernelINS1_37wrapped_merge_sort_block_merge_configINS0_14default_configEiN2at4cuda3cub6detail10OpaqueTypeILi8EEEEEPiSC_PSA_SD_jNS1_19radix_merge_compareILb0ELb0EiNS0_19identity_decomposerEEEEEvT0_T1_T2_T3_T4_SL_jT5_PKSL_NS1_7vsmem_tE.numbered_sgpr, 30
	.set _ZN7rocprim17ROCPRIM_304000_NS6detail35device_block_merge_mergepath_kernelINS1_37wrapped_merge_sort_block_merge_configINS0_14default_configEiN2at4cuda3cub6detail10OpaqueTypeILi8EEEEEPiSC_PSA_SD_jNS1_19radix_merge_compareILb0ELb0EiNS0_19identity_decomposerEEEEEvT0_T1_T2_T3_T4_SL_jT5_PKSL_NS1_7vsmem_tE.num_named_barrier, 0
	.set _ZN7rocprim17ROCPRIM_304000_NS6detail35device_block_merge_mergepath_kernelINS1_37wrapped_merge_sort_block_merge_configINS0_14default_configEiN2at4cuda3cub6detail10OpaqueTypeILi8EEEEEPiSC_PSA_SD_jNS1_19radix_merge_compareILb0ELb0EiNS0_19identity_decomposerEEEEEvT0_T1_T2_T3_T4_SL_jT5_PKSL_NS1_7vsmem_tE.private_seg_size, 0
	.set _ZN7rocprim17ROCPRIM_304000_NS6detail35device_block_merge_mergepath_kernelINS1_37wrapped_merge_sort_block_merge_configINS0_14default_configEiN2at4cuda3cub6detail10OpaqueTypeILi8EEEEEPiSC_PSA_SD_jNS1_19radix_merge_compareILb0ELb0EiNS0_19identity_decomposerEEEEEvT0_T1_T2_T3_T4_SL_jT5_PKSL_NS1_7vsmem_tE.uses_vcc, 1
	.set _ZN7rocprim17ROCPRIM_304000_NS6detail35device_block_merge_mergepath_kernelINS1_37wrapped_merge_sort_block_merge_configINS0_14default_configEiN2at4cuda3cub6detail10OpaqueTypeILi8EEEEEPiSC_PSA_SD_jNS1_19radix_merge_compareILb0ELb0EiNS0_19identity_decomposerEEEEEvT0_T1_T2_T3_T4_SL_jT5_PKSL_NS1_7vsmem_tE.uses_flat_scratch, 0
	.set _ZN7rocprim17ROCPRIM_304000_NS6detail35device_block_merge_mergepath_kernelINS1_37wrapped_merge_sort_block_merge_configINS0_14default_configEiN2at4cuda3cub6detail10OpaqueTypeILi8EEEEEPiSC_PSA_SD_jNS1_19radix_merge_compareILb0ELb0EiNS0_19identity_decomposerEEEEEvT0_T1_T2_T3_T4_SL_jT5_PKSL_NS1_7vsmem_tE.has_dyn_sized_stack, 0
	.set _ZN7rocprim17ROCPRIM_304000_NS6detail35device_block_merge_mergepath_kernelINS1_37wrapped_merge_sort_block_merge_configINS0_14default_configEiN2at4cuda3cub6detail10OpaqueTypeILi8EEEEEPiSC_PSA_SD_jNS1_19radix_merge_compareILb0ELb0EiNS0_19identity_decomposerEEEEEvT0_T1_T2_T3_T4_SL_jT5_PKSL_NS1_7vsmem_tE.has_recursion, 0
	.set _ZN7rocprim17ROCPRIM_304000_NS6detail35device_block_merge_mergepath_kernelINS1_37wrapped_merge_sort_block_merge_configINS0_14default_configEiN2at4cuda3cub6detail10OpaqueTypeILi8EEEEEPiSC_PSA_SD_jNS1_19radix_merge_compareILb0ELb0EiNS0_19identity_decomposerEEEEEvT0_T1_T2_T3_T4_SL_jT5_PKSL_NS1_7vsmem_tE.has_indirect_call, 0
	.section	.AMDGPU.csdata,"",@progbits
; Kernel info:
; codeLenInByte = 1820
; TotalNumSgprs: 36
; NumVgprs: 17
; NumAgprs: 0
; TotalNumVgprs: 17
; ScratchSize: 0
; MemoryBound: 0
; FloatMode: 240
; IeeeMode: 1
; LDSByteSize: 8208 bytes/workgroup (compile time only)
; SGPRBlocks: 4
; VGPRBlocks: 2
; NumSGPRsForWavesPerEU: 36
; NumVGPRsForWavesPerEU: 17
; AccumOffset: 20
; Occupancy: 8
; WaveLimiterHint : 1
; COMPUTE_PGM_RSRC2:SCRATCH_EN: 0
; COMPUTE_PGM_RSRC2:USER_SGPR: 2
; COMPUTE_PGM_RSRC2:TRAP_HANDLER: 0
; COMPUTE_PGM_RSRC2:TGID_X_EN: 1
; COMPUTE_PGM_RSRC2:TGID_Y_EN: 1
; COMPUTE_PGM_RSRC2:TGID_Z_EN: 1
; COMPUTE_PGM_RSRC2:TIDIG_COMP_CNT: 0
; COMPUTE_PGM_RSRC3_GFX90A:ACCUM_OFFSET: 4
; COMPUTE_PGM_RSRC3_GFX90A:TG_SPLIT: 0
	.section	.text._ZN7rocprim17ROCPRIM_304000_NS6detail33device_block_merge_oddeven_kernelINS1_37wrapped_merge_sort_block_merge_configINS0_14default_configEiN2at4cuda3cub6detail10OpaqueTypeILi8EEEEEPiSC_PSA_SD_jNS1_19radix_merge_compareILb0ELb0EiNS0_19identity_decomposerEEEEEvT0_T1_T2_T3_T4_SL_T5_,"axG",@progbits,_ZN7rocprim17ROCPRIM_304000_NS6detail33device_block_merge_oddeven_kernelINS1_37wrapped_merge_sort_block_merge_configINS0_14default_configEiN2at4cuda3cub6detail10OpaqueTypeILi8EEEEEPiSC_PSA_SD_jNS1_19radix_merge_compareILb0ELb0EiNS0_19identity_decomposerEEEEEvT0_T1_T2_T3_T4_SL_T5_,comdat
	.protected	_ZN7rocprim17ROCPRIM_304000_NS6detail33device_block_merge_oddeven_kernelINS1_37wrapped_merge_sort_block_merge_configINS0_14default_configEiN2at4cuda3cub6detail10OpaqueTypeILi8EEEEEPiSC_PSA_SD_jNS1_19radix_merge_compareILb0ELb0EiNS0_19identity_decomposerEEEEEvT0_T1_T2_T3_T4_SL_T5_ ; -- Begin function _ZN7rocprim17ROCPRIM_304000_NS6detail33device_block_merge_oddeven_kernelINS1_37wrapped_merge_sort_block_merge_configINS0_14default_configEiN2at4cuda3cub6detail10OpaqueTypeILi8EEEEEPiSC_PSA_SD_jNS1_19radix_merge_compareILb0ELb0EiNS0_19identity_decomposerEEEEEvT0_T1_T2_T3_T4_SL_T5_
	.globl	_ZN7rocprim17ROCPRIM_304000_NS6detail33device_block_merge_oddeven_kernelINS1_37wrapped_merge_sort_block_merge_configINS0_14default_configEiN2at4cuda3cub6detail10OpaqueTypeILi8EEEEEPiSC_PSA_SD_jNS1_19radix_merge_compareILb0ELb0EiNS0_19identity_decomposerEEEEEvT0_T1_T2_T3_T4_SL_T5_
	.p2align	8
	.type	_ZN7rocprim17ROCPRIM_304000_NS6detail33device_block_merge_oddeven_kernelINS1_37wrapped_merge_sort_block_merge_configINS0_14default_configEiN2at4cuda3cub6detail10OpaqueTypeILi8EEEEEPiSC_PSA_SD_jNS1_19radix_merge_compareILb0ELb0EiNS0_19identity_decomposerEEEEEvT0_T1_T2_T3_T4_SL_T5_,@function
_ZN7rocprim17ROCPRIM_304000_NS6detail33device_block_merge_oddeven_kernelINS1_37wrapped_merge_sort_block_merge_configINS0_14default_configEiN2at4cuda3cub6detail10OpaqueTypeILi8EEEEEPiSC_PSA_SD_jNS1_19radix_merge_compareILb0ELb0EiNS0_19identity_decomposerEEEEEvT0_T1_T2_T3_T4_SL_T5_: ; @_ZN7rocprim17ROCPRIM_304000_NS6detail33device_block_merge_oddeven_kernelINS1_37wrapped_merge_sort_block_merge_configINS0_14default_configEiN2at4cuda3cub6detail10OpaqueTypeILi8EEEEEPiSC_PSA_SD_jNS1_19radix_merge_compareILb0ELb0EiNS0_19identity_decomposerEEEEEvT0_T1_T2_T3_T4_SL_T5_
; %bb.0:
	s_load_dwordx2 s[16:17], s[0:1], 0x20
	s_waitcnt lgkmcnt(0)
	s_lshr_b32 s3, s16, 8
	s_cmp_eq_u32 s2, s3
	s_cselect_b64 s[6:7], -1, 0
	s_cmp_lg_u32 s2, s3
	s_cselect_b64 s[8:9], -1, 0
	s_lshl_b32 s18, s2, 8
	s_sub_i32 s3, s16, s18
	v_cmp_gt_u32_e64 s[4:5], s3, v0
	s_or_b64 s[8:9], s[8:9], s[4:5]
	s_and_saveexec_b64 s[10:11], s[8:9]
	s_cbranch_execz .LBB91_24
; %bb.1:
	s_load_dwordx8 s[8:15], s[0:1], 0x0
	s_mov_b32 s19, 0
	s_lshl_b64 s[0:1], s[18:19], 2
	v_lshlrev_b32_e32 v5, 3, v0
	v_lshlrev_b32_e32 v1, 2, v0
	s_waitcnt lgkmcnt(0)
	s_add_u32 s0, s8, s0
	s_addc_u32 s1, s9, s1
	s_lshl_b64 s[20:21], s[18:19], 3
	s_add_u32 s12, s12, s20
	s_addc_u32 s13, s13, s21
	global_load_dwordx2 v[2:3], v5, s[12:13]
	global_load_dword v4, v1, s[0:1]
	s_lshr_b32 s0, s17, 8
	s_sub_i32 s1, 0, s0
	s_and_b32 s1, s2, s1
	s_and_b32 s0, s1, s0
	s_lshl_b32 s19, s1, 8
	s_sub_i32 s12, 0, s17
	s_cmp_eq_u32 s0, 0
	s_cselect_b64 s[0:1], -1, 0
	s_and_b64 s[2:3], s[0:1], exec
	s_cselect_b32 s12, s17, s12
	s_add_i32 s12, s12, s19
	s_mov_b64 s[2:3], -1
	s_cmp_gt_u32 s16, s12
	v_add_u32_e32 v0, s18, v0
	s_cbranch_scc1 .LBB91_9
; %bb.2:
	s_and_b64 vcc, exec, s[6:7]
	s_cbranch_vccz .LBB91_6
; %bb.3:
	v_cmp_gt_u32_e32 vcc, s16, v0
	s_and_saveexec_b64 s[2:3], vcc
	s_cbranch_execz .LBB91_5
; %bb.4:
	v_mov_b32_e32 v1, 0
	v_lshl_add_u64 v[8:9], v[0:1], 2, s[10:11]
	v_lshl_add_u64 v[6:7], v[0:1], 3, s[14:15]
	s_waitcnt vmcnt(0)
	global_store_dword v[8:9], v4, off
	global_store_dwordx2 v[6:7], v[2:3], off
.LBB91_5:
	s_or_b64 exec, exec, s[2:3]
	s_mov_b64 s[2:3], 0
.LBB91_6:
	s_andn2_b64 vcc, exec, s[2:3]
	s_cbranch_vccnz .LBB91_8
; %bb.7:
	v_mov_b32_e32 v1, 0
	v_lshl_add_u64 v[6:7], v[0:1], 2, s[10:11]
	v_lshl_add_u64 v[8:9], v[0:1], 3, s[14:15]
	s_waitcnt vmcnt(0)
	global_store_dword v[6:7], v4, off
	global_store_dwordx2 v[8:9], v[2:3], off
.LBB91_8:
	s_mov_b64 s[2:3], 0
.LBB91_9:
	s_andn2_b64 vcc, exec, s[2:3]
	s_cbranch_vccnz .LBB91_24
; %bb.10:
	s_min_u32 s13, s12, s16
	s_add_i32 s2, s13, s17
	s_min_u32 s16, s2, s16
	s_min_u32 s2, s19, s13
	s_add_i32 s19, s19, s13
	v_subrev_u32_e32 v0, s19, v0
	v_add_u32_e32 v5, s2, v0
	s_andn2_b64 vcc, exec, s[6:7]
	s_mov_b64 s[2:3], -1
	s_cbranch_vccnz .LBB91_18
; %bb.11:
	s_and_saveexec_b64 s[2:3], s[4:5]
	s_cbranch_execz .LBB91_17
; %bb.12:
	s_cmp_ge_u32 s12, s16
	v_mov_b32_e32 v6, s13
	s_cbranch_scc1 .LBB91_16
; %bb.13:
	s_mov_b64 s[4:5], 0
	v_mov_b32_e32 v7, s16
	v_mov_b32_e32 v6, s13
	;; [unrolled: 1-line block ×3, first 2 shown]
.LBB91_14:                              ; =>This Inner Loop Header: Depth=1
	v_add_u32_e32 v0, v6, v7
	v_lshrrev_b32_e32 v0, 1, v0
	v_lshl_add_u64 v[8:9], v[0:1], 2, s[8:9]
	global_load_dword v8, v[8:9], off
	v_add_u32_e32 v9, 1, v0
	s_waitcnt vmcnt(0)
	v_cmp_gt_i32_e32 vcc, v4, v8
	s_nop 1
	v_cndmask_b32_e64 v10, 0, 1, vcc
	v_cmp_le_i32_e32 vcc, v8, v4
	s_nop 1
	v_cndmask_b32_e64 v8, 0, 1, vcc
	v_cndmask_b32_e64 v8, v8, v10, s[0:1]
	v_and_b32_e32 v8, 1, v8
	v_cmp_eq_u32_e32 vcc, 1, v8
	s_nop 1
	v_cndmask_b32_e32 v7, v0, v7, vcc
	v_cndmask_b32_e32 v6, v6, v9, vcc
	v_cmp_ge_u32_e32 vcc, v6, v7
	s_or_b64 s[4:5], vcc, s[4:5]
	s_andn2_b64 exec, exec, s[4:5]
	s_cbranch_execnz .LBB91_14
; %bb.15:
	s_or_b64 exec, exec, s[4:5]
.LBB91_16:
	v_add_u32_e32 v0, v6, v5
	v_mov_b32_e32 v1, 0
	v_lshl_add_u64 v[6:7], v[0:1], 2, s[10:11]
	v_lshl_add_u64 v[0:1], v[0:1], 3, s[14:15]
	s_waitcnt vmcnt(0)
	global_store_dword v[6:7], v4, off
	global_store_dwordx2 v[0:1], v[2:3], off
.LBB91_17:
	s_or_b64 exec, exec, s[2:3]
	s_mov_b64 s[2:3], 0
.LBB91_18:
	s_andn2_b64 vcc, exec, s[2:3]
	s_cbranch_vccnz .LBB91_24
; %bb.19:
	s_cmp_ge_u32 s12, s16
	v_mov_b32_e32 v6, s13
	s_cbranch_scc1 .LBB91_23
; %bb.20:
	s_mov_b64 s[2:3], 0
	v_mov_b32_e32 v7, s16
	v_mov_b32_e32 v6, s13
	;; [unrolled: 1-line block ×3, first 2 shown]
.LBB91_21:                              ; =>This Inner Loop Header: Depth=1
	v_add_u32_e32 v0, v6, v7
	v_lshrrev_b32_e32 v0, 1, v0
	v_lshl_add_u64 v[8:9], v[0:1], 2, s[8:9]
	global_load_dword v8, v[8:9], off
	v_add_u32_e32 v9, 1, v0
	s_waitcnt vmcnt(0)
	v_cmp_gt_i32_e32 vcc, v4, v8
	s_nop 1
	v_cndmask_b32_e64 v10, 0, 1, vcc
	v_cmp_le_i32_e32 vcc, v8, v4
	s_nop 1
	v_cndmask_b32_e64 v8, 0, 1, vcc
	v_cndmask_b32_e64 v8, v8, v10, s[0:1]
	v_and_b32_e32 v8, 1, v8
	v_cmp_eq_u32_e32 vcc, 1, v8
	s_nop 1
	v_cndmask_b32_e32 v7, v0, v7, vcc
	v_cndmask_b32_e32 v6, v6, v9, vcc
	v_cmp_ge_u32_e32 vcc, v6, v7
	s_or_b64 s[2:3], vcc, s[2:3]
	s_andn2_b64 exec, exec, s[2:3]
	s_cbranch_execnz .LBB91_21
; %bb.22:
	s_or_b64 exec, exec, s[2:3]
.LBB91_23:
	v_add_u32_e32 v0, v6, v5
	v_mov_b32_e32 v1, 0
	v_lshl_add_u64 v[6:7], v[0:1], 2, s[10:11]
	v_lshl_add_u64 v[0:1], v[0:1], 3, s[14:15]
	s_waitcnt vmcnt(0)
	global_store_dword v[6:7], v4, off
	global_store_dwordx2 v[0:1], v[2:3], off
.LBB91_24:
	s_endpgm
	.section	.rodata,"a",@progbits
	.p2align	6, 0x0
	.amdhsa_kernel _ZN7rocprim17ROCPRIM_304000_NS6detail33device_block_merge_oddeven_kernelINS1_37wrapped_merge_sort_block_merge_configINS0_14default_configEiN2at4cuda3cub6detail10OpaqueTypeILi8EEEEEPiSC_PSA_SD_jNS1_19radix_merge_compareILb0ELb0EiNS0_19identity_decomposerEEEEEvT0_T1_T2_T3_T4_SL_T5_
		.amdhsa_group_segment_fixed_size 0
		.amdhsa_private_segment_fixed_size 0
		.amdhsa_kernarg_size 44
		.amdhsa_user_sgpr_count 2
		.amdhsa_user_sgpr_dispatch_ptr 0
		.amdhsa_user_sgpr_queue_ptr 0
		.amdhsa_user_sgpr_kernarg_segment_ptr 1
		.amdhsa_user_sgpr_dispatch_id 0
		.amdhsa_user_sgpr_kernarg_preload_length 0
		.amdhsa_user_sgpr_kernarg_preload_offset 0
		.amdhsa_user_sgpr_private_segment_size 0
		.amdhsa_uses_dynamic_stack 0
		.amdhsa_enable_private_segment 0
		.amdhsa_system_sgpr_workgroup_id_x 1
		.amdhsa_system_sgpr_workgroup_id_y 0
		.amdhsa_system_sgpr_workgroup_id_z 0
		.amdhsa_system_sgpr_workgroup_info 0
		.amdhsa_system_vgpr_workitem_id 0
		.amdhsa_next_free_vgpr 11
		.amdhsa_next_free_sgpr 22
		.amdhsa_accum_offset 12
		.amdhsa_reserve_vcc 1
		.amdhsa_float_round_mode_32 0
		.amdhsa_float_round_mode_16_64 0
		.amdhsa_float_denorm_mode_32 3
		.amdhsa_float_denorm_mode_16_64 3
		.amdhsa_dx10_clamp 1
		.amdhsa_ieee_mode 1
		.amdhsa_fp16_overflow 0
		.amdhsa_tg_split 0
		.amdhsa_exception_fp_ieee_invalid_op 0
		.amdhsa_exception_fp_denorm_src 0
		.amdhsa_exception_fp_ieee_div_zero 0
		.amdhsa_exception_fp_ieee_overflow 0
		.amdhsa_exception_fp_ieee_underflow 0
		.amdhsa_exception_fp_ieee_inexact 0
		.amdhsa_exception_int_div_zero 0
	.end_amdhsa_kernel
	.section	.text._ZN7rocprim17ROCPRIM_304000_NS6detail33device_block_merge_oddeven_kernelINS1_37wrapped_merge_sort_block_merge_configINS0_14default_configEiN2at4cuda3cub6detail10OpaqueTypeILi8EEEEEPiSC_PSA_SD_jNS1_19radix_merge_compareILb0ELb0EiNS0_19identity_decomposerEEEEEvT0_T1_T2_T3_T4_SL_T5_,"axG",@progbits,_ZN7rocprim17ROCPRIM_304000_NS6detail33device_block_merge_oddeven_kernelINS1_37wrapped_merge_sort_block_merge_configINS0_14default_configEiN2at4cuda3cub6detail10OpaqueTypeILi8EEEEEPiSC_PSA_SD_jNS1_19radix_merge_compareILb0ELb0EiNS0_19identity_decomposerEEEEEvT0_T1_T2_T3_T4_SL_T5_,comdat
.Lfunc_end91:
	.size	_ZN7rocprim17ROCPRIM_304000_NS6detail33device_block_merge_oddeven_kernelINS1_37wrapped_merge_sort_block_merge_configINS0_14default_configEiN2at4cuda3cub6detail10OpaqueTypeILi8EEEEEPiSC_PSA_SD_jNS1_19radix_merge_compareILb0ELb0EiNS0_19identity_decomposerEEEEEvT0_T1_T2_T3_T4_SL_T5_, .Lfunc_end91-_ZN7rocprim17ROCPRIM_304000_NS6detail33device_block_merge_oddeven_kernelINS1_37wrapped_merge_sort_block_merge_configINS0_14default_configEiN2at4cuda3cub6detail10OpaqueTypeILi8EEEEEPiSC_PSA_SD_jNS1_19radix_merge_compareILb0ELb0EiNS0_19identity_decomposerEEEEEvT0_T1_T2_T3_T4_SL_T5_
                                        ; -- End function
	.set _ZN7rocprim17ROCPRIM_304000_NS6detail33device_block_merge_oddeven_kernelINS1_37wrapped_merge_sort_block_merge_configINS0_14default_configEiN2at4cuda3cub6detail10OpaqueTypeILi8EEEEEPiSC_PSA_SD_jNS1_19radix_merge_compareILb0ELb0EiNS0_19identity_decomposerEEEEEvT0_T1_T2_T3_T4_SL_T5_.num_vgpr, 11
	.set _ZN7rocprim17ROCPRIM_304000_NS6detail33device_block_merge_oddeven_kernelINS1_37wrapped_merge_sort_block_merge_configINS0_14default_configEiN2at4cuda3cub6detail10OpaqueTypeILi8EEEEEPiSC_PSA_SD_jNS1_19radix_merge_compareILb0ELb0EiNS0_19identity_decomposerEEEEEvT0_T1_T2_T3_T4_SL_T5_.num_agpr, 0
	.set _ZN7rocprim17ROCPRIM_304000_NS6detail33device_block_merge_oddeven_kernelINS1_37wrapped_merge_sort_block_merge_configINS0_14default_configEiN2at4cuda3cub6detail10OpaqueTypeILi8EEEEEPiSC_PSA_SD_jNS1_19radix_merge_compareILb0ELb0EiNS0_19identity_decomposerEEEEEvT0_T1_T2_T3_T4_SL_T5_.numbered_sgpr, 22
	.set _ZN7rocprim17ROCPRIM_304000_NS6detail33device_block_merge_oddeven_kernelINS1_37wrapped_merge_sort_block_merge_configINS0_14default_configEiN2at4cuda3cub6detail10OpaqueTypeILi8EEEEEPiSC_PSA_SD_jNS1_19radix_merge_compareILb0ELb0EiNS0_19identity_decomposerEEEEEvT0_T1_T2_T3_T4_SL_T5_.num_named_barrier, 0
	.set _ZN7rocprim17ROCPRIM_304000_NS6detail33device_block_merge_oddeven_kernelINS1_37wrapped_merge_sort_block_merge_configINS0_14default_configEiN2at4cuda3cub6detail10OpaqueTypeILi8EEEEEPiSC_PSA_SD_jNS1_19radix_merge_compareILb0ELb0EiNS0_19identity_decomposerEEEEEvT0_T1_T2_T3_T4_SL_T5_.private_seg_size, 0
	.set _ZN7rocprim17ROCPRIM_304000_NS6detail33device_block_merge_oddeven_kernelINS1_37wrapped_merge_sort_block_merge_configINS0_14default_configEiN2at4cuda3cub6detail10OpaqueTypeILi8EEEEEPiSC_PSA_SD_jNS1_19radix_merge_compareILb0ELb0EiNS0_19identity_decomposerEEEEEvT0_T1_T2_T3_T4_SL_T5_.uses_vcc, 1
	.set _ZN7rocprim17ROCPRIM_304000_NS6detail33device_block_merge_oddeven_kernelINS1_37wrapped_merge_sort_block_merge_configINS0_14default_configEiN2at4cuda3cub6detail10OpaqueTypeILi8EEEEEPiSC_PSA_SD_jNS1_19radix_merge_compareILb0ELb0EiNS0_19identity_decomposerEEEEEvT0_T1_T2_T3_T4_SL_T5_.uses_flat_scratch, 0
	.set _ZN7rocprim17ROCPRIM_304000_NS6detail33device_block_merge_oddeven_kernelINS1_37wrapped_merge_sort_block_merge_configINS0_14default_configEiN2at4cuda3cub6detail10OpaqueTypeILi8EEEEEPiSC_PSA_SD_jNS1_19radix_merge_compareILb0ELb0EiNS0_19identity_decomposerEEEEEvT0_T1_T2_T3_T4_SL_T5_.has_dyn_sized_stack, 0
	.set _ZN7rocprim17ROCPRIM_304000_NS6detail33device_block_merge_oddeven_kernelINS1_37wrapped_merge_sort_block_merge_configINS0_14default_configEiN2at4cuda3cub6detail10OpaqueTypeILi8EEEEEPiSC_PSA_SD_jNS1_19radix_merge_compareILb0ELb0EiNS0_19identity_decomposerEEEEEvT0_T1_T2_T3_T4_SL_T5_.has_recursion, 0
	.set _ZN7rocprim17ROCPRIM_304000_NS6detail33device_block_merge_oddeven_kernelINS1_37wrapped_merge_sort_block_merge_configINS0_14default_configEiN2at4cuda3cub6detail10OpaqueTypeILi8EEEEEPiSC_PSA_SD_jNS1_19radix_merge_compareILb0ELb0EiNS0_19identity_decomposerEEEEEvT0_T1_T2_T3_T4_SL_T5_.has_indirect_call, 0
	.section	.AMDGPU.csdata,"",@progbits
; Kernel info:
; codeLenInByte = 748
; TotalNumSgprs: 28
; NumVgprs: 11
; NumAgprs: 0
; TotalNumVgprs: 11
; ScratchSize: 0
; MemoryBound: 0
; FloatMode: 240
; IeeeMode: 1
; LDSByteSize: 0 bytes/workgroup (compile time only)
; SGPRBlocks: 3
; VGPRBlocks: 1
; NumSGPRsForWavesPerEU: 28
; NumVGPRsForWavesPerEU: 11
; AccumOffset: 12
; Occupancy: 8
; WaveLimiterHint : 0
; COMPUTE_PGM_RSRC2:SCRATCH_EN: 0
; COMPUTE_PGM_RSRC2:USER_SGPR: 2
; COMPUTE_PGM_RSRC2:TRAP_HANDLER: 0
; COMPUTE_PGM_RSRC2:TGID_X_EN: 1
; COMPUTE_PGM_RSRC2:TGID_Y_EN: 0
; COMPUTE_PGM_RSRC2:TGID_Z_EN: 0
; COMPUTE_PGM_RSRC2:TIDIG_COMP_CNT: 0
; COMPUTE_PGM_RSRC3_GFX90A:ACCUM_OFFSET: 2
; COMPUTE_PGM_RSRC3_GFX90A:TG_SPLIT: 0
	.section	.text._ZN7rocprim17ROCPRIM_304000_NS6detail45device_block_merge_mergepath_partition_kernelINS1_37wrapped_merge_sort_block_merge_configINS0_14default_configEiN2at4cuda3cub6detail10OpaqueTypeILi8EEEEEPijNS1_19radix_merge_compareILb0ELb1EiNS0_19identity_decomposerEEEEEvT0_T1_jPSH_T2_SH_,"axG",@progbits,_ZN7rocprim17ROCPRIM_304000_NS6detail45device_block_merge_mergepath_partition_kernelINS1_37wrapped_merge_sort_block_merge_configINS0_14default_configEiN2at4cuda3cub6detail10OpaqueTypeILi8EEEEEPijNS1_19radix_merge_compareILb0ELb1EiNS0_19identity_decomposerEEEEEvT0_T1_jPSH_T2_SH_,comdat
	.protected	_ZN7rocprim17ROCPRIM_304000_NS6detail45device_block_merge_mergepath_partition_kernelINS1_37wrapped_merge_sort_block_merge_configINS0_14default_configEiN2at4cuda3cub6detail10OpaqueTypeILi8EEEEEPijNS1_19radix_merge_compareILb0ELb1EiNS0_19identity_decomposerEEEEEvT0_T1_jPSH_T2_SH_ ; -- Begin function _ZN7rocprim17ROCPRIM_304000_NS6detail45device_block_merge_mergepath_partition_kernelINS1_37wrapped_merge_sort_block_merge_configINS0_14default_configEiN2at4cuda3cub6detail10OpaqueTypeILi8EEEEEPijNS1_19radix_merge_compareILb0ELb1EiNS0_19identity_decomposerEEEEEvT0_T1_jPSH_T2_SH_
	.globl	_ZN7rocprim17ROCPRIM_304000_NS6detail45device_block_merge_mergepath_partition_kernelINS1_37wrapped_merge_sort_block_merge_configINS0_14default_configEiN2at4cuda3cub6detail10OpaqueTypeILi8EEEEEPijNS1_19radix_merge_compareILb0ELb1EiNS0_19identity_decomposerEEEEEvT0_T1_jPSH_T2_SH_
	.p2align	8
	.type	_ZN7rocprim17ROCPRIM_304000_NS6detail45device_block_merge_mergepath_partition_kernelINS1_37wrapped_merge_sort_block_merge_configINS0_14default_configEiN2at4cuda3cub6detail10OpaqueTypeILi8EEEEEPijNS1_19radix_merge_compareILb0ELb1EiNS0_19identity_decomposerEEEEEvT0_T1_jPSH_T2_SH_,@function
_ZN7rocprim17ROCPRIM_304000_NS6detail45device_block_merge_mergepath_partition_kernelINS1_37wrapped_merge_sort_block_merge_configINS0_14default_configEiN2at4cuda3cub6detail10OpaqueTypeILi8EEEEEPijNS1_19radix_merge_compareILb0ELb1EiNS0_19identity_decomposerEEEEEvT0_T1_jPSH_T2_SH_: ; @_ZN7rocprim17ROCPRIM_304000_NS6detail45device_block_merge_mergepath_partition_kernelINS1_37wrapped_merge_sort_block_merge_configINS0_14default_configEiN2at4cuda3cub6detail10OpaqueTypeILi8EEEEEPijNS1_19radix_merge_compareILb0ELb1EiNS0_19identity_decomposerEEEEEvT0_T1_jPSH_T2_SH_
; %bb.0:
	s_load_dwordx2 s[4:5], s[0:1], 0x8
	v_lshl_or_b32 v0, s2, 7, v0
	s_waitcnt lgkmcnt(0)
	v_cmp_gt_u32_e32 vcc, s5, v0
	s_and_saveexec_b64 s[2:3], vcc
	s_cbranch_execz .LBB92_6
; %bb.1:
	s_load_dwordx2 s[2:3], s[0:1], 0x18
	s_waitcnt lgkmcnt(0)
	s_lshr_b32 s5, s3, 9
	s_and_b32 s5, s5, 0x7ffffe
	s_add_i32 s6, s5, -1
	s_sub_i32 s5, 0, s5
	v_and_b32_e32 v1, s5, v0
	v_and_b32_e32 v2, s6, v0
	v_lshlrev_b32_e32 v1, 10, v1
	v_lshlrev_b32_e32 v3, 10, v2
	v_min_u32_e32 v2, s4, v1
	v_add_u32_e32 v1, s3, v1
	v_min_u32_e32 v4, s4, v1
	v_add_u32_e32 v1, s3, v4
	v_min_u32_e32 v1, s4, v1
	v_sub_u32_e32 v5, v1, v2
	v_min_u32_e32 v10, v5, v3
	v_sub_u32_e32 v3, v4, v2
	v_sub_u32_e32 v1, v1, v4
	v_sub_u32_e64 v1, v10, v1 clamp
	v_min_u32_e32 v11, v10, v3
	v_cmp_lt_u32_e32 vcc, v1, v11
	s_and_saveexec_b64 s[4:5], vcc
	s_cbranch_execz .LBB92_5
; %bb.2:
	s_load_dwordx2 s[6:7], s[0:1], 0x0
	v_mov_b32_e32 v5, 0
	v_mov_b32_e32 v3, v5
	s_waitcnt lgkmcnt(0)
	v_lshl_add_u64 v[6:7], v[2:3], 2, s[6:7]
	v_lshl_add_u64 v[8:9], v[4:5], 2, s[6:7]
	s_mov_b64 s[6:7], 0
.LBB92_3:                               ; =>This Inner Loop Header: Depth=1
	v_add_u32_e32 v3, v11, v1
	v_lshrrev_b32_e32 v4, 1, v3
	v_mov_b32_e32 v13, v5
	v_xad_u32 v12, v4, -1, v10
	v_lshl_add_u64 v[14:15], v[4:5], 2, v[6:7]
	v_lshl_add_u64 v[12:13], v[12:13], 2, v[8:9]
	global_load_dword v3, v[14:15], off
	global_load_dword v16, v[12:13], off
	v_add_u32_e32 v12, 1, v4
	s_waitcnt vmcnt(1)
	v_and_b32_e32 v3, s2, v3
	s_waitcnt vmcnt(0)
	v_and_b32_e32 v13, s2, v16
	v_cmp_gt_i32_e32 vcc, v3, v13
	s_nop 1
	v_cndmask_b32_e32 v11, v11, v4, vcc
	v_cndmask_b32_e32 v1, v12, v1, vcc
	v_cmp_ge_u32_e32 vcc, v1, v11
	s_or_b64 s[6:7], vcc, s[6:7]
	s_andn2_b64 exec, exec, s[6:7]
	s_cbranch_execnz .LBB92_3
; %bb.4:
	s_or_b64 exec, exec, s[6:7]
.LBB92_5:
	s_or_b64 exec, exec, s[4:5]
	s_load_dwordx2 s[0:1], s[0:1], 0x10
	v_add_u32_e32 v2, v1, v2
	v_mov_b32_e32 v1, 0
	s_waitcnt lgkmcnt(0)
	v_lshl_add_u64 v[0:1], v[0:1], 2, s[0:1]
	global_store_dword v[0:1], v2, off
.LBB92_6:
	s_endpgm
	.section	.rodata,"a",@progbits
	.p2align	6, 0x0
	.amdhsa_kernel _ZN7rocprim17ROCPRIM_304000_NS6detail45device_block_merge_mergepath_partition_kernelINS1_37wrapped_merge_sort_block_merge_configINS0_14default_configEiN2at4cuda3cub6detail10OpaqueTypeILi8EEEEEPijNS1_19radix_merge_compareILb0ELb1EiNS0_19identity_decomposerEEEEEvT0_T1_jPSH_T2_SH_
		.amdhsa_group_segment_fixed_size 0
		.amdhsa_private_segment_fixed_size 0
		.amdhsa_kernarg_size 32
		.amdhsa_user_sgpr_count 2
		.amdhsa_user_sgpr_dispatch_ptr 0
		.amdhsa_user_sgpr_queue_ptr 0
		.amdhsa_user_sgpr_kernarg_segment_ptr 1
		.amdhsa_user_sgpr_dispatch_id 0
		.amdhsa_user_sgpr_kernarg_preload_length 0
		.amdhsa_user_sgpr_kernarg_preload_offset 0
		.amdhsa_user_sgpr_private_segment_size 0
		.amdhsa_uses_dynamic_stack 0
		.amdhsa_enable_private_segment 0
		.amdhsa_system_sgpr_workgroup_id_x 1
		.amdhsa_system_sgpr_workgroup_id_y 0
		.amdhsa_system_sgpr_workgroup_id_z 0
		.amdhsa_system_sgpr_workgroup_info 0
		.amdhsa_system_vgpr_workitem_id 0
		.amdhsa_next_free_vgpr 17
		.amdhsa_next_free_sgpr 8
		.amdhsa_accum_offset 20
		.amdhsa_reserve_vcc 1
		.amdhsa_float_round_mode_32 0
		.amdhsa_float_round_mode_16_64 0
		.amdhsa_float_denorm_mode_32 3
		.amdhsa_float_denorm_mode_16_64 3
		.amdhsa_dx10_clamp 1
		.amdhsa_ieee_mode 1
		.amdhsa_fp16_overflow 0
		.amdhsa_tg_split 0
		.amdhsa_exception_fp_ieee_invalid_op 0
		.amdhsa_exception_fp_denorm_src 0
		.amdhsa_exception_fp_ieee_div_zero 0
		.amdhsa_exception_fp_ieee_overflow 0
		.amdhsa_exception_fp_ieee_underflow 0
		.amdhsa_exception_fp_ieee_inexact 0
		.amdhsa_exception_int_div_zero 0
	.end_amdhsa_kernel
	.section	.text._ZN7rocprim17ROCPRIM_304000_NS6detail45device_block_merge_mergepath_partition_kernelINS1_37wrapped_merge_sort_block_merge_configINS0_14default_configEiN2at4cuda3cub6detail10OpaqueTypeILi8EEEEEPijNS1_19radix_merge_compareILb0ELb1EiNS0_19identity_decomposerEEEEEvT0_T1_jPSH_T2_SH_,"axG",@progbits,_ZN7rocprim17ROCPRIM_304000_NS6detail45device_block_merge_mergepath_partition_kernelINS1_37wrapped_merge_sort_block_merge_configINS0_14default_configEiN2at4cuda3cub6detail10OpaqueTypeILi8EEEEEPijNS1_19radix_merge_compareILb0ELb1EiNS0_19identity_decomposerEEEEEvT0_T1_jPSH_T2_SH_,comdat
.Lfunc_end92:
	.size	_ZN7rocprim17ROCPRIM_304000_NS6detail45device_block_merge_mergepath_partition_kernelINS1_37wrapped_merge_sort_block_merge_configINS0_14default_configEiN2at4cuda3cub6detail10OpaqueTypeILi8EEEEEPijNS1_19radix_merge_compareILb0ELb1EiNS0_19identity_decomposerEEEEEvT0_T1_jPSH_T2_SH_, .Lfunc_end92-_ZN7rocprim17ROCPRIM_304000_NS6detail45device_block_merge_mergepath_partition_kernelINS1_37wrapped_merge_sort_block_merge_configINS0_14default_configEiN2at4cuda3cub6detail10OpaqueTypeILi8EEEEEPijNS1_19radix_merge_compareILb0ELb1EiNS0_19identity_decomposerEEEEEvT0_T1_jPSH_T2_SH_
                                        ; -- End function
	.set _ZN7rocprim17ROCPRIM_304000_NS6detail45device_block_merge_mergepath_partition_kernelINS1_37wrapped_merge_sort_block_merge_configINS0_14default_configEiN2at4cuda3cub6detail10OpaqueTypeILi8EEEEEPijNS1_19radix_merge_compareILb0ELb1EiNS0_19identity_decomposerEEEEEvT0_T1_jPSH_T2_SH_.num_vgpr, 17
	.set _ZN7rocprim17ROCPRIM_304000_NS6detail45device_block_merge_mergepath_partition_kernelINS1_37wrapped_merge_sort_block_merge_configINS0_14default_configEiN2at4cuda3cub6detail10OpaqueTypeILi8EEEEEPijNS1_19radix_merge_compareILb0ELb1EiNS0_19identity_decomposerEEEEEvT0_T1_jPSH_T2_SH_.num_agpr, 0
	.set _ZN7rocprim17ROCPRIM_304000_NS6detail45device_block_merge_mergepath_partition_kernelINS1_37wrapped_merge_sort_block_merge_configINS0_14default_configEiN2at4cuda3cub6detail10OpaqueTypeILi8EEEEEPijNS1_19radix_merge_compareILb0ELb1EiNS0_19identity_decomposerEEEEEvT0_T1_jPSH_T2_SH_.numbered_sgpr, 8
	.set _ZN7rocprim17ROCPRIM_304000_NS6detail45device_block_merge_mergepath_partition_kernelINS1_37wrapped_merge_sort_block_merge_configINS0_14default_configEiN2at4cuda3cub6detail10OpaqueTypeILi8EEEEEPijNS1_19radix_merge_compareILb0ELb1EiNS0_19identity_decomposerEEEEEvT0_T1_jPSH_T2_SH_.num_named_barrier, 0
	.set _ZN7rocprim17ROCPRIM_304000_NS6detail45device_block_merge_mergepath_partition_kernelINS1_37wrapped_merge_sort_block_merge_configINS0_14default_configEiN2at4cuda3cub6detail10OpaqueTypeILi8EEEEEPijNS1_19radix_merge_compareILb0ELb1EiNS0_19identity_decomposerEEEEEvT0_T1_jPSH_T2_SH_.private_seg_size, 0
	.set _ZN7rocprim17ROCPRIM_304000_NS6detail45device_block_merge_mergepath_partition_kernelINS1_37wrapped_merge_sort_block_merge_configINS0_14default_configEiN2at4cuda3cub6detail10OpaqueTypeILi8EEEEEPijNS1_19radix_merge_compareILb0ELb1EiNS0_19identity_decomposerEEEEEvT0_T1_jPSH_T2_SH_.uses_vcc, 1
	.set _ZN7rocprim17ROCPRIM_304000_NS6detail45device_block_merge_mergepath_partition_kernelINS1_37wrapped_merge_sort_block_merge_configINS0_14default_configEiN2at4cuda3cub6detail10OpaqueTypeILi8EEEEEPijNS1_19radix_merge_compareILb0ELb1EiNS0_19identity_decomposerEEEEEvT0_T1_jPSH_T2_SH_.uses_flat_scratch, 0
	.set _ZN7rocprim17ROCPRIM_304000_NS6detail45device_block_merge_mergepath_partition_kernelINS1_37wrapped_merge_sort_block_merge_configINS0_14default_configEiN2at4cuda3cub6detail10OpaqueTypeILi8EEEEEPijNS1_19radix_merge_compareILb0ELb1EiNS0_19identity_decomposerEEEEEvT0_T1_jPSH_T2_SH_.has_dyn_sized_stack, 0
	.set _ZN7rocprim17ROCPRIM_304000_NS6detail45device_block_merge_mergepath_partition_kernelINS1_37wrapped_merge_sort_block_merge_configINS0_14default_configEiN2at4cuda3cub6detail10OpaqueTypeILi8EEEEEPijNS1_19radix_merge_compareILb0ELb1EiNS0_19identity_decomposerEEEEEvT0_T1_jPSH_T2_SH_.has_recursion, 0
	.set _ZN7rocprim17ROCPRIM_304000_NS6detail45device_block_merge_mergepath_partition_kernelINS1_37wrapped_merge_sort_block_merge_configINS0_14default_configEiN2at4cuda3cub6detail10OpaqueTypeILi8EEEEEPijNS1_19radix_merge_compareILb0ELb1EiNS0_19identity_decomposerEEEEEvT0_T1_jPSH_T2_SH_.has_indirect_call, 0
	.section	.AMDGPU.csdata,"",@progbits
; Kernel info:
; codeLenInByte = 332
; TotalNumSgprs: 14
; NumVgprs: 17
; NumAgprs: 0
; TotalNumVgprs: 17
; ScratchSize: 0
; MemoryBound: 0
; FloatMode: 240
; IeeeMode: 1
; LDSByteSize: 0 bytes/workgroup (compile time only)
; SGPRBlocks: 1
; VGPRBlocks: 2
; NumSGPRsForWavesPerEU: 14
; NumVGPRsForWavesPerEU: 17
; AccumOffset: 20
; Occupancy: 8
; WaveLimiterHint : 0
; COMPUTE_PGM_RSRC2:SCRATCH_EN: 0
; COMPUTE_PGM_RSRC2:USER_SGPR: 2
; COMPUTE_PGM_RSRC2:TRAP_HANDLER: 0
; COMPUTE_PGM_RSRC2:TGID_X_EN: 1
; COMPUTE_PGM_RSRC2:TGID_Y_EN: 0
; COMPUTE_PGM_RSRC2:TGID_Z_EN: 0
; COMPUTE_PGM_RSRC2:TIDIG_COMP_CNT: 0
; COMPUTE_PGM_RSRC3_GFX90A:ACCUM_OFFSET: 4
; COMPUTE_PGM_RSRC3_GFX90A:TG_SPLIT: 0
	.section	.text._ZN7rocprim17ROCPRIM_304000_NS6detail35device_block_merge_mergepath_kernelINS1_37wrapped_merge_sort_block_merge_configINS0_14default_configEiN2at4cuda3cub6detail10OpaqueTypeILi8EEEEEPiSC_PSA_SD_jNS1_19radix_merge_compareILb0ELb1EiNS0_19identity_decomposerEEEEEvT0_T1_T2_T3_T4_SL_jT5_PKSL_NS1_7vsmem_tE,"axG",@progbits,_ZN7rocprim17ROCPRIM_304000_NS6detail35device_block_merge_mergepath_kernelINS1_37wrapped_merge_sort_block_merge_configINS0_14default_configEiN2at4cuda3cub6detail10OpaqueTypeILi8EEEEEPiSC_PSA_SD_jNS1_19radix_merge_compareILb0ELb1EiNS0_19identity_decomposerEEEEEvT0_T1_T2_T3_T4_SL_jT5_PKSL_NS1_7vsmem_tE,comdat
	.protected	_ZN7rocprim17ROCPRIM_304000_NS6detail35device_block_merge_mergepath_kernelINS1_37wrapped_merge_sort_block_merge_configINS0_14default_configEiN2at4cuda3cub6detail10OpaqueTypeILi8EEEEEPiSC_PSA_SD_jNS1_19radix_merge_compareILb0ELb1EiNS0_19identity_decomposerEEEEEvT0_T1_T2_T3_T4_SL_jT5_PKSL_NS1_7vsmem_tE ; -- Begin function _ZN7rocprim17ROCPRIM_304000_NS6detail35device_block_merge_mergepath_kernelINS1_37wrapped_merge_sort_block_merge_configINS0_14default_configEiN2at4cuda3cub6detail10OpaqueTypeILi8EEEEEPiSC_PSA_SD_jNS1_19radix_merge_compareILb0ELb1EiNS0_19identity_decomposerEEEEEvT0_T1_T2_T3_T4_SL_jT5_PKSL_NS1_7vsmem_tE
	.globl	_ZN7rocprim17ROCPRIM_304000_NS6detail35device_block_merge_mergepath_kernelINS1_37wrapped_merge_sort_block_merge_configINS0_14default_configEiN2at4cuda3cub6detail10OpaqueTypeILi8EEEEEPiSC_PSA_SD_jNS1_19radix_merge_compareILb0ELb1EiNS0_19identity_decomposerEEEEEvT0_T1_T2_T3_T4_SL_jT5_PKSL_NS1_7vsmem_tE
	.p2align	8
	.type	_ZN7rocprim17ROCPRIM_304000_NS6detail35device_block_merge_mergepath_kernelINS1_37wrapped_merge_sort_block_merge_configINS0_14default_configEiN2at4cuda3cub6detail10OpaqueTypeILi8EEEEEPiSC_PSA_SD_jNS1_19radix_merge_compareILb0ELb1EiNS0_19identity_decomposerEEEEEvT0_T1_T2_T3_T4_SL_jT5_PKSL_NS1_7vsmem_tE,@function
_ZN7rocprim17ROCPRIM_304000_NS6detail35device_block_merge_mergepath_kernelINS1_37wrapped_merge_sort_block_merge_configINS0_14default_configEiN2at4cuda3cub6detail10OpaqueTypeILi8EEEEEPiSC_PSA_SD_jNS1_19radix_merge_compareILb0ELb1EiNS0_19identity_decomposerEEEEEvT0_T1_T2_T3_T4_SL_jT5_PKSL_NS1_7vsmem_tE: ; @_ZN7rocprim17ROCPRIM_304000_NS6detail35device_block_merge_mergepath_kernelINS1_37wrapped_merge_sort_block_merge_configINS0_14default_configEiN2at4cuda3cub6detail10OpaqueTypeILi8EEEEEPiSC_PSA_SD_jNS1_19radix_merge_compareILb0ELb1EiNS0_19identity_decomposerEEEEEvT0_T1_T2_T3_T4_SL_jT5_PKSL_NS1_7vsmem_tE
; %bb.0:
	s_load_dwordx2 s[26:27], s[0:1], 0x40
	s_load_dwordx4 s[12:15], s[0:1], 0x20
	s_add_u32 s24, s0, 64
	s_addc_u32 s25, s1, 0
	s_waitcnt lgkmcnt(0)
	s_mul_i32 s4, s27, s4
	s_add_i32 s3, s4, s3
	s_mul_i32 s3, s3, s26
	s_add_i32 s22, s3, s2
	s_cmp_ge_u32 s22, s14
	s_cbranch_scc1 .LBB93_51
; %bb.1:
	s_load_dwordx8 s[4:11], s[0:1], 0x0
	s_load_dwordx2 s[18:19], s[0:1], 0x30
	s_lshr_b32 s30, s12, 10
	s_cmp_lg_u32 s22, s30
	s_mov_b32 s23, 0
	s_cselect_b64 s[16:17], -1, 0
	s_lshl_b64 s[0:1], s[22:23], 2
	s_waitcnt lgkmcnt(0)
	s_add_u32 s0, s18, s0
	s_addc_u32 s1, s19, s1
	s_load_dwordx2 s[18:19], s[0:1], 0x0
	s_lshr_b32 s0, s13, 9
	s_and_b32 s0, s0, 0x7ffffe
	s_sub_i32 s0, 0, s0
	s_and_b32 s1, s22, s0
	s_lshl_b32 s3, s1, 10
	s_lshl_b32 s14, s22, 10
	;; [unrolled: 1-line block ×3, first 2 shown]
	s_sub_i32 s20, s14, s3
	s_add_i32 s1, s1, s13
	s_add_i32 s21, s1, s20
	s_waitcnt lgkmcnt(0)
	s_sub_i32 s20, s21, s18
	s_sub_i32 s21, s21, s19
	;; [unrolled: 1-line block ×3, first 2 shown]
	s_min_u32 s20, s12, s20
	s_addk_i32 s21, 0x400
	s_or_b32 s0, s22, s0
	s_min_u32 s3, s12, s1
	s_add_i32 s1, s1, s13
	s_cmp_eq_u32 s0, -1
	s_cselect_b32 s0, s1, s21
	s_cselect_b32 s1, s3, s19
	s_min_u32 s0, s0, s12
	s_mov_b32 s19, s23
	s_sub_i32 s13, s1, s18
	s_sub_i32 s27, s0, s20
	s_lshl_b64 s[0:1], s[18:19], 2
	s_add_u32 s0, s4, s0
	s_mov_b32 s21, s23
	s_addc_u32 s1, s5, s1
	s_lshl_b64 s[28:29], s[20:21], 2
	s_add_u32 s4, s4, s28
	s_addc_u32 s5, s5, s29
	s_cmp_lt_u32 s2, s26
	v_mov_b32_e32 v3, 0
	s_cselect_b32 s2, 12, 18
	global_load_dword v1, v3, s[24:25] offset:14
	s_add_u32 s2, s24, s2
	s_addc_u32 s3, s25, 0
	global_load_ushort v2, v3, s[2:3]
	v_cmp_gt_u32_e32 vcc, s13, v0
	s_cmp_eq_u32 s22, s30
	s_waitcnt vmcnt(1)
	v_lshrrev_b32_e32 v4, 16, v1
	v_and_b32_e32 v1, 0xffff, v1
	v_mul_lo_u32 v1, v1, v4
	s_waitcnt vmcnt(0)
	v_mul_lo_u32 v1, v1, v2
	v_lshlrev_b32_e32 v2, 2, v0
	v_add_u32_e32 v6, v1, v0
	s_cbranch_scc1 .LBB93_3
; %bb.2:
	v_subrev_u32_e32 v1, s13, v0
	v_lshlrev_b32_e32 v8, 2, v1
	v_mov_b32_e32 v9, v3
	v_lshl_add_u64 v[4:5], s[0:1], 0, v[2:3]
	v_lshl_add_u64 v[8:9], s[4:5], 0, v[8:9]
	v_cndmask_b32_e32 v5, v9, v5, vcc
	v_cndmask_b32_e32 v4, v8, v4, vcc
	v_mov_b32_e32 v7, v3
	v_subrev_co_u32_e32 v10, vcc, s13, v6
	v_mov_b32_e32 v11, v3
	v_lshl_add_u64 v[8:9], v[6:7], 2, s[0:1]
	v_lshl_add_u64 v[10:11], v[10:11], 2, s[4:5]
	v_cndmask_b32_e32 v9, v11, v9, vcc
	v_cndmask_b32_e32 v8, v10, v8, vcc
	global_load_dword v4, v[4:5], off
	s_add_i32 s22, s27, s13
	global_load_dword v1, v[8:9], off
	v_mov_b32_e32 v5, s22
	s_cbranch_execz .LBB93_4
	s_branch .LBB93_9
.LBB93_3:
                                        ; implicit-def: $vgpr1
                                        ; implicit-def: $vgpr5
                                        ; implicit-def: $vgpr4
.LBB93_4:
	s_add_i32 s22, s27, s13
	v_cmp_gt_u32_e32 vcc, s22, v0
	s_waitcnt vmcnt(0)
	v_mov_b32_e32 v1, 0
	v_mov_b32_e32 v4, 0
	s_and_saveexec_b64 s[2:3], vcc
	s_cbranch_execz .LBB93_6
; %bb.5:
	v_mov_b32_e32 v3, 0
	v_subrev_u32_e32 v7, s13, v0
	v_lshlrev_b32_e32 v8, 2, v7
	v_mov_b32_e32 v9, v3
	v_lshl_add_u64 v[4:5], s[0:1], 0, v[2:3]
	v_lshl_add_u64 v[8:9], s[4:5], 0, v[8:9]
	v_cmp_gt_u32_e32 vcc, s13, v0
	s_nop 1
	v_cndmask_b32_e32 v5, v9, v5, vcc
	v_cndmask_b32_e32 v4, v8, v4, vcc
	global_load_dword v4, v[4:5], off
.LBB93_6:
	s_or_b64 exec, exec, s[2:3]
	v_cmp_gt_u32_e32 vcc, s22, v6
	s_and_saveexec_b64 s[2:3], vcc
	s_cbranch_execz .LBB93_8
; %bb.7:
	v_mov_b32_e32 v7, 0
	v_lshl_add_u64 v[8:9], v[6:7], 2, s[0:1]
	v_subrev_co_u32_e32 v6, vcc, s13, v6
	v_lshl_add_u64 v[6:7], v[6:7], 2, s[4:5]
	s_nop 0
	v_cndmask_b32_e32 v7, v7, v9, vcc
	v_cndmask_b32_e32 v6, v6, v8, vcc
	global_load_dword v1, v[6:7], off
.LBB93_8:
	s_or_b64 exec, exec, s[2:3]
	v_mov_b32_e32 v5, s22
.LBB93_9:
	v_lshlrev_b32_e32 v3, 1, v0
	v_min_u32_e32 v7, v5, v3
	v_sub_u32_e64 v6, v7, s27 clamp
	v_min_u32_e32 v8, s13, v7
	v_cmp_lt_u32_e32 vcc, v6, v8
	s_waitcnt vmcnt(0)
	ds_write2st64_b32 v2, v4, v1 offset1:8
	s_waitcnt lgkmcnt(0)
	s_barrier
	s_and_saveexec_b64 s[0:1], vcc
	s_cbranch_execz .LBB93_13
; %bb.10:
	v_lshlrev_b32_e32 v9, 2, v7
	v_lshl_add_u32 v9, s13, 2, v9
	s_mov_b64 s[2:3], 0
.LBB93_11:                              ; =>This Inner Loop Header: Depth=1
	v_add_u32_e32 v10, v8, v6
	v_lshrrev_b32_e32 v10, 1, v10
	v_not_b32_e32 v11, v10
	v_lshlrev_b32_e32 v12, 2, v10
	v_lshl_add_u32 v11, v11, 2, v9
	ds_read_b32 v12, v12
	ds_read_b32 v11, v11
	v_add_u32_e32 v13, 1, v10
	s_waitcnt lgkmcnt(1)
	v_and_b32_e32 v12, s15, v12
	s_waitcnt lgkmcnt(0)
	v_and_b32_e32 v11, s15, v11
	v_cmp_gt_i32_e32 vcc, v12, v11
	s_nop 1
	v_cndmask_b32_e32 v8, v8, v10, vcc
	v_cndmask_b32_e32 v6, v13, v6, vcc
	v_cmp_ge_u32_e32 vcc, v6, v8
	s_or_b64 s[2:3], vcc, s[2:3]
	s_andn2_b64 exec, exec, s[2:3]
	s_cbranch_execnz .LBB93_11
; %bb.12:
	s_or_b64 exec, exec, s[2:3]
.LBB93_13:
	s_or_b64 exec, exec, s[0:1]
	v_sub_u32_e32 v7, v7, v6
	v_add_u32_e32 v7, s13, v7
	v_cmp_ge_u32_e32 vcc, s13, v6
	v_cmp_le_u32_e64 s[0:1], v7, v5
	s_or_b64 s[0:1], vcc, s[0:1]
	v_mov_b32_e32 v10, 0
	v_mov_b32_e32 v11, 0
	s_and_saveexec_b64 s[4:5], s[0:1]
	s_cbranch_execz .LBB93_19
; %bb.14:
	v_cmp_gt_u32_e32 vcc, s13, v6
                                        ; implicit-def: $vgpr1
	s_and_saveexec_b64 s[0:1], vcc
; %bb.15:
	v_lshlrev_b32_e32 v1, 2, v6
	ds_read_b32 v1, v1
; %bb.16:
	s_or_b64 exec, exec, s[0:1]
	v_cmp_ge_u32_e64 s[0:1], v7, v5
	v_cmp_lt_u32_e64 s[2:3], v7, v5
                                        ; implicit-def: $vgpr8
	s_and_saveexec_b64 s[22:23], s[2:3]
; %bb.17:
	v_lshlrev_b32_e32 v4, 2, v7
	ds_read_b32 v8, v4
; %bb.18:
	s_or_b64 exec, exec, s[22:23]
	s_waitcnt lgkmcnt(0)
	v_and_b32_e32 v4, s15, v8
	v_and_b32_e32 v9, s15, v1
	v_cmp_le_i32_e64 s[2:3], v9, v4
	s_and_b64 s[2:3], vcc, s[2:3]
	s_or_b64 vcc, s[0:1], s[2:3]
	v_mov_b32_e32 v4, s13
	v_cndmask_b32_e32 v11, v7, v6, vcc
	v_cndmask_b32_e32 v4, v5, v4, vcc
	v_add_u32_e32 v9, 1, v11
	v_add_u32_e32 v4, -1, v4
	v_min_u32_e32 v4, v9, v4
	v_lshlrev_b32_e32 v4, 2, v4
	ds_read_b32 v10, v4
	v_cndmask_b32_e32 v4, v8, v1, vcc
	v_cndmask_b32_e32 v7, v9, v7, vcc
	;; [unrolled: 1-line block ×3, first 2 shown]
	v_cmp_gt_u32_e64 s[0:1], s13, v6
	s_waitcnt lgkmcnt(0)
	v_cndmask_b32_e32 v8, v10, v8, vcc
	v_cndmask_b32_e32 v1, v1, v10, vcc
	v_and_b32_e32 v9, s15, v8
	v_and_b32_e32 v10, s15, v1
	v_cmp_le_i32_e64 s[2:3], v10, v9
	v_cmp_ge_u32_e32 vcc, v7, v5
	s_and_b64 s[0:1], s[0:1], s[2:3]
	s_or_b64 vcc, vcc, s[0:1]
	v_cndmask_b32_e32 v10, v7, v6, vcc
	v_cndmask_b32_e32 v1, v8, v1, vcc
.LBB93_19:
	s_or_b64 exec, exec, s[4:5]
	s_lshl_b64 s[0:1], s[18:19], 3
	s_add_u32 s18, s8, s0
	s_addc_u32 s19, s9, s1
	s_lshl_b64 s[0:1], s[20:21], 3
	s_add_u32 s8, s8, s0
	v_cndmask_b32_e64 v6, 0, 1, s[16:17]
	v_mov_b32_e32 v7, 0
	s_addc_u32 s9, s9, s1
	v_cmp_gt_u32_e64 s[4:5], s13, v0
	v_cmp_ne_u32_e64 s[0:1], 1, v6
	s_andn2_b64 vcc, exec, s[16:17]
	v_cmp_le_u32_e64 s[2:3], s13, v0
	s_barrier
	s_cbranch_vccnz .LBB93_21
; %bb.20:
	v_lshlrev_b32_e32 v6, 3, v0
	v_lshl_add_u64 v[8:9], s[18:19], 0, v[6:7]
	v_subrev_u32_e32 v6, s13, v0
	v_lshlrev_b32_e32 v6, 3, v6
	v_lshl_add_u64 v[6:7], s[8:9], 0, v[6:7]
	v_cndmask_b32_e64 v7, v7, v9, s[4:5]
	v_cndmask_b32_e64 v6, v6, v8, s[4:5]
	global_load_dwordx2 v[14:15], v[6:7], off
	v_or_b32_e32 v12, 0x200, v0
	v_mov_b32_e32 v6, s9
	v_mov_b32_e32 v7, s19
	;; [unrolled: 1-line block ×4, first 2 shown]
	v_subrev_u32_e32 v8, s13, v12
	v_cmp_gt_u32_e32 vcc, s13, v12
	v_lshl_add_u32 v9, v0, 2, v2
	s_nop 0
	v_cndmask_b32_e32 v7, v6, v7, vcc
	v_min_u32_e32 v8, v12, v8
	v_cndmask_b32_e32 v6, v13, v16, vcc
	s_mov_b64 s[4:5], -1
	s_waitcnt vmcnt(0)
	ds_write_b64 v9, v[14:15]
	s_cbranch_execz .LBB93_22
	s_branch .LBB93_31
.LBB93_21:
	s_mov_b64 s[4:5], 0
                                        ; implicit-def: $vgpr12
                                        ; implicit-def: $vgpr6_vgpr7
                                        ; implicit-def: $vgpr8
.LBB93_22:
	s_and_saveexec_b64 s[4:5], s[2:3]
	s_xor_b64 s[2:3], exec, s[4:5]
	s_cbranch_execz .LBB93_26
; %bb.23:
	v_subrev_u32_e32 v6, s13, v0
	v_cmp_gt_u32_e32 vcc, s27, v6
	s_and_saveexec_b64 s[4:5], vcc
	s_cbranch_execz .LBB93_25
; %bb.24:
	v_lshlrev_b32_e32 v6, 3, v6
	global_load_dwordx2 v[6:7], v6, s[8:9]
	v_lshl_add_u32 v8, v0, 2, v2
	s_waitcnt vmcnt(0)
	ds_write_b64 v8, v[6:7]
.LBB93_25:
	s_or_b64 exec, exec, s[4:5]
.LBB93_26:
	s_andn2_saveexec_b64 s[2:3], s[2:3]
	s_cbranch_execz .LBB93_28
; %bb.27:
	v_lshlrev_b32_e32 v6, 3, v0
	global_load_dwordx2 v[6:7], v6, s[18:19]
	v_lshl_add_u32 v8, v0, 2, v2
	s_waitcnt vmcnt(0)
	ds_write_b64 v8, v[6:7]
.LBB93_28:
	s_or_b64 exec, exec, s[2:3]
	v_or_b32_e32 v12, 0x200, v0
	v_cmp_le_u32_e32 vcc, s13, v12
	s_mov_b64 s[4:5], -1
	v_mov_b64_e32 v[6:7], s[18:19]
	v_mov_b32_e32 v8, v12
	s_and_saveexec_b64 s[2:3], vcc
; %bb.29:
	v_subrev_u32_e32 v8, s13, v12
	v_cmp_gt_u32_e32 vcc, s27, v8
	v_mov_b64_e32 v[6:7], s[8:9]
	s_orn2_b64 s[4:5], vcc, exec
; %bb.30:
	s_or_b64 exec, exec, s[2:3]
.LBB93_31:
	s_and_saveexec_b64 s[2:3], s[4:5]
	s_cbranch_execz .LBB93_33
; %bb.32:
	v_mov_b32_e32 v9, 0
	v_lshl_add_u64 v[6:7], v[8:9], 3, v[6:7]
	global_load_dwordx2 v[6:7], v[6:7], off
	v_lshlrev_b32_e32 v8, 3, v12
	s_waitcnt vmcnt(0)
	ds_write_b64 v8, v[6:7]
.LBB93_33:
	s_or_b64 exec, exec, s[2:3]
	s_and_b64 vcc, exec, s[0:1]
	v_add_u32_e32 v6, s14, v3
	s_waitcnt lgkmcnt(0)
	s_barrier
	s_cbranch_vccnz .LBB93_35
; %bb.34:
	v_lshlrev_b32_e32 v7, 3, v11
	ds_read_b64 v[8:9], v7
	v_mov_b32_e32 v7, 0
	v_lshl_add_u64 v[12:13], v[6:7], 3, s[10:11]
	s_mov_b64 s[0:1], -1
	s_waitcnt lgkmcnt(0)
	global_store_dwordx2 v[12:13], v[8:9], off
	s_cbranch_execz .LBB93_36
	s_branch .LBB93_41
.LBB93_35:
	s_mov_b64 s[0:1], 0
.LBB93_36:
	v_cmp_lt_u32_e32 vcc, v3, v5
	s_and_saveexec_b64 s[2:3], vcc
	s_cbranch_execz .LBB93_38
; %bb.37:
	v_lshlrev_b32_e32 v7, 3, v11
	ds_read_b64 v[8:9], v7
	v_mov_b32_e32 v7, 0
	v_lshl_add_u64 v[12:13], v[6:7], 3, s[10:11]
	s_waitcnt lgkmcnt(0)
	global_store_dwordx2 v[12:13], v[8:9], off
.LBB93_38:
	s_or_b64 exec, exec, s[2:3]
	v_or_b32_e32 v7, 1, v3
	v_cmp_lt_u32_e32 vcc, v7, v5
	s_and_saveexec_b64 s[2:3], vcc
; %bb.39:
	v_mov_b32_e32 v7, 0
	s_or_b64 s[0:1], s[0:1], exec
; %bb.40:
	s_or_b64 exec, exec, s[2:3]
.LBB93_41:
	s_and_saveexec_b64 s[2:3], s[0:1]
	s_cbranch_execz .LBB93_43
; %bb.42:
	v_lshlrev_b32_e32 v5, 3, v10
	ds_read_b64 v[8:9], v5
	v_lshl_add_u64 v[6:7], v[6:7], 3, s[10:11]
	s_waitcnt lgkmcnt(0)
	global_store_dwordx2 v[6:7], v[8:9], off offset:8
.LBB93_43:
	s_or_b64 exec, exec, s[2:3]
	v_lshrrev_b32_e32 v5, 2, v0
	v_and_b32_e32 v5, 0x7c, v5
	v_lshl_add_u32 v3, v3, 2, v5
	s_barrier
	s_barrier
	ds_write2_b32 v3, v4, v1 offset1:1
	v_lshrrev_b32_e32 v1, 3, v0
	v_and_b32_e32 v1, 60, v1
	s_mov_b32 s15, 0
	v_add_u32_e32 v4, v1, v2
	v_or_b32_e32 v1, 0x200, v0
	s_lshl_b64 s[0:1], s[14:15], 2
	v_lshrrev_b32_e32 v3, 3, v1
	s_add_u32 s0, s6, s0
	v_and_b32_e32 v3, 0x7c, v3
	s_addc_u32 s1, s7, s1
	v_add_u32_e32 v6, v3, v2
	v_mov_b32_e32 v3, 0
	v_lshl_add_u64 v[2:3], s[0:1], 0, v[2:3]
	s_and_b64 vcc, exec, s[16:17]
	s_waitcnt lgkmcnt(0)
	s_cbranch_vccz .LBB93_45
; %bb.44:
	s_barrier
	ds_read_b32 v7, v4
	ds_read_b32 v5, v6 offset:2048
	s_mov_b64 s[0:1], -1
	s_waitcnt lgkmcnt(1)
	global_store_dword v[2:3], v7, off
	s_cbranch_execz .LBB93_46
	s_branch .LBB93_49
.LBB93_45:
	s_mov_b64 s[0:1], 0
                                        ; implicit-def: $vgpr5
.LBB93_46:
	s_barrier
	s_waitcnt lgkmcnt(0)
	ds_read_b32 v5, v6 offset:2048
	s_sub_i32 s2, s12, s14
	v_cmp_gt_u32_e32 vcc, s2, v0
	s_and_saveexec_b64 s[0:1], vcc
	s_cbranch_execz .LBB93_48
; %bb.47:
	ds_read_b32 v0, v4
	s_waitcnt lgkmcnt(0)
	global_store_dword v[2:3], v0, off
.LBB93_48:
	s_or_b64 exec, exec, s[0:1]
	v_cmp_gt_u32_e64 s[0:1], s2, v1
.LBB93_49:
	s_and_saveexec_b64 s[2:3], s[0:1]
	s_cbranch_execz .LBB93_51
; %bb.50:
	s_waitcnt lgkmcnt(0)
	global_store_dword v[2:3], v5, off offset:2048
.LBB93_51:
	s_endpgm
	.section	.rodata,"a",@progbits
	.p2align	6, 0x0
	.amdhsa_kernel _ZN7rocprim17ROCPRIM_304000_NS6detail35device_block_merge_mergepath_kernelINS1_37wrapped_merge_sort_block_merge_configINS0_14default_configEiN2at4cuda3cub6detail10OpaqueTypeILi8EEEEEPiSC_PSA_SD_jNS1_19radix_merge_compareILb0ELb1EiNS0_19identity_decomposerEEEEEvT0_T1_T2_T3_T4_SL_jT5_PKSL_NS1_7vsmem_tE
		.amdhsa_group_segment_fixed_size 8208
		.amdhsa_private_segment_fixed_size 0
		.amdhsa_kernarg_size 320
		.amdhsa_user_sgpr_count 2
		.amdhsa_user_sgpr_dispatch_ptr 0
		.amdhsa_user_sgpr_queue_ptr 0
		.amdhsa_user_sgpr_kernarg_segment_ptr 1
		.amdhsa_user_sgpr_dispatch_id 0
		.amdhsa_user_sgpr_kernarg_preload_length 0
		.amdhsa_user_sgpr_kernarg_preload_offset 0
		.amdhsa_user_sgpr_private_segment_size 0
		.amdhsa_uses_dynamic_stack 0
		.amdhsa_enable_private_segment 0
		.amdhsa_system_sgpr_workgroup_id_x 1
		.amdhsa_system_sgpr_workgroup_id_y 1
		.amdhsa_system_sgpr_workgroup_id_z 1
		.amdhsa_system_sgpr_workgroup_info 0
		.amdhsa_system_vgpr_workitem_id 0
		.amdhsa_next_free_vgpr 17
		.amdhsa_next_free_sgpr 31
		.amdhsa_accum_offset 20
		.amdhsa_reserve_vcc 1
		.amdhsa_float_round_mode_32 0
		.amdhsa_float_round_mode_16_64 0
		.amdhsa_float_denorm_mode_32 3
		.amdhsa_float_denorm_mode_16_64 3
		.amdhsa_dx10_clamp 1
		.amdhsa_ieee_mode 1
		.amdhsa_fp16_overflow 0
		.amdhsa_tg_split 0
		.amdhsa_exception_fp_ieee_invalid_op 0
		.amdhsa_exception_fp_denorm_src 0
		.amdhsa_exception_fp_ieee_div_zero 0
		.amdhsa_exception_fp_ieee_overflow 0
		.amdhsa_exception_fp_ieee_underflow 0
		.amdhsa_exception_fp_ieee_inexact 0
		.amdhsa_exception_int_div_zero 0
	.end_amdhsa_kernel
	.section	.text._ZN7rocprim17ROCPRIM_304000_NS6detail35device_block_merge_mergepath_kernelINS1_37wrapped_merge_sort_block_merge_configINS0_14default_configEiN2at4cuda3cub6detail10OpaqueTypeILi8EEEEEPiSC_PSA_SD_jNS1_19radix_merge_compareILb0ELb1EiNS0_19identity_decomposerEEEEEvT0_T1_T2_T3_T4_SL_jT5_PKSL_NS1_7vsmem_tE,"axG",@progbits,_ZN7rocprim17ROCPRIM_304000_NS6detail35device_block_merge_mergepath_kernelINS1_37wrapped_merge_sort_block_merge_configINS0_14default_configEiN2at4cuda3cub6detail10OpaqueTypeILi8EEEEEPiSC_PSA_SD_jNS1_19radix_merge_compareILb0ELb1EiNS0_19identity_decomposerEEEEEvT0_T1_T2_T3_T4_SL_jT5_PKSL_NS1_7vsmem_tE,comdat
.Lfunc_end93:
	.size	_ZN7rocprim17ROCPRIM_304000_NS6detail35device_block_merge_mergepath_kernelINS1_37wrapped_merge_sort_block_merge_configINS0_14default_configEiN2at4cuda3cub6detail10OpaqueTypeILi8EEEEEPiSC_PSA_SD_jNS1_19radix_merge_compareILb0ELb1EiNS0_19identity_decomposerEEEEEvT0_T1_T2_T3_T4_SL_jT5_PKSL_NS1_7vsmem_tE, .Lfunc_end93-_ZN7rocprim17ROCPRIM_304000_NS6detail35device_block_merge_mergepath_kernelINS1_37wrapped_merge_sort_block_merge_configINS0_14default_configEiN2at4cuda3cub6detail10OpaqueTypeILi8EEEEEPiSC_PSA_SD_jNS1_19radix_merge_compareILb0ELb1EiNS0_19identity_decomposerEEEEEvT0_T1_T2_T3_T4_SL_jT5_PKSL_NS1_7vsmem_tE
                                        ; -- End function
	.set _ZN7rocprim17ROCPRIM_304000_NS6detail35device_block_merge_mergepath_kernelINS1_37wrapped_merge_sort_block_merge_configINS0_14default_configEiN2at4cuda3cub6detail10OpaqueTypeILi8EEEEEPiSC_PSA_SD_jNS1_19radix_merge_compareILb0ELb1EiNS0_19identity_decomposerEEEEEvT0_T1_T2_T3_T4_SL_jT5_PKSL_NS1_7vsmem_tE.num_vgpr, 17
	.set _ZN7rocprim17ROCPRIM_304000_NS6detail35device_block_merge_mergepath_kernelINS1_37wrapped_merge_sort_block_merge_configINS0_14default_configEiN2at4cuda3cub6detail10OpaqueTypeILi8EEEEEPiSC_PSA_SD_jNS1_19radix_merge_compareILb0ELb1EiNS0_19identity_decomposerEEEEEvT0_T1_T2_T3_T4_SL_jT5_PKSL_NS1_7vsmem_tE.num_agpr, 0
	.set _ZN7rocprim17ROCPRIM_304000_NS6detail35device_block_merge_mergepath_kernelINS1_37wrapped_merge_sort_block_merge_configINS0_14default_configEiN2at4cuda3cub6detail10OpaqueTypeILi8EEEEEPiSC_PSA_SD_jNS1_19radix_merge_compareILb0ELb1EiNS0_19identity_decomposerEEEEEvT0_T1_T2_T3_T4_SL_jT5_PKSL_NS1_7vsmem_tE.numbered_sgpr, 31
	.set _ZN7rocprim17ROCPRIM_304000_NS6detail35device_block_merge_mergepath_kernelINS1_37wrapped_merge_sort_block_merge_configINS0_14default_configEiN2at4cuda3cub6detail10OpaqueTypeILi8EEEEEPiSC_PSA_SD_jNS1_19radix_merge_compareILb0ELb1EiNS0_19identity_decomposerEEEEEvT0_T1_T2_T3_T4_SL_jT5_PKSL_NS1_7vsmem_tE.num_named_barrier, 0
	.set _ZN7rocprim17ROCPRIM_304000_NS6detail35device_block_merge_mergepath_kernelINS1_37wrapped_merge_sort_block_merge_configINS0_14default_configEiN2at4cuda3cub6detail10OpaqueTypeILi8EEEEEPiSC_PSA_SD_jNS1_19radix_merge_compareILb0ELb1EiNS0_19identity_decomposerEEEEEvT0_T1_T2_T3_T4_SL_jT5_PKSL_NS1_7vsmem_tE.private_seg_size, 0
	.set _ZN7rocprim17ROCPRIM_304000_NS6detail35device_block_merge_mergepath_kernelINS1_37wrapped_merge_sort_block_merge_configINS0_14default_configEiN2at4cuda3cub6detail10OpaqueTypeILi8EEEEEPiSC_PSA_SD_jNS1_19radix_merge_compareILb0ELb1EiNS0_19identity_decomposerEEEEEvT0_T1_T2_T3_T4_SL_jT5_PKSL_NS1_7vsmem_tE.uses_vcc, 1
	.set _ZN7rocprim17ROCPRIM_304000_NS6detail35device_block_merge_mergepath_kernelINS1_37wrapped_merge_sort_block_merge_configINS0_14default_configEiN2at4cuda3cub6detail10OpaqueTypeILi8EEEEEPiSC_PSA_SD_jNS1_19radix_merge_compareILb0ELb1EiNS0_19identity_decomposerEEEEEvT0_T1_T2_T3_T4_SL_jT5_PKSL_NS1_7vsmem_tE.uses_flat_scratch, 0
	.set _ZN7rocprim17ROCPRIM_304000_NS6detail35device_block_merge_mergepath_kernelINS1_37wrapped_merge_sort_block_merge_configINS0_14default_configEiN2at4cuda3cub6detail10OpaqueTypeILi8EEEEEPiSC_PSA_SD_jNS1_19radix_merge_compareILb0ELb1EiNS0_19identity_decomposerEEEEEvT0_T1_T2_T3_T4_SL_jT5_PKSL_NS1_7vsmem_tE.has_dyn_sized_stack, 0
	.set _ZN7rocprim17ROCPRIM_304000_NS6detail35device_block_merge_mergepath_kernelINS1_37wrapped_merge_sort_block_merge_configINS0_14default_configEiN2at4cuda3cub6detail10OpaqueTypeILi8EEEEEPiSC_PSA_SD_jNS1_19radix_merge_compareILb0ELb1EiNS0_19identity_decomposerEEEEEvT0_T1_T2_T3_T4_SL_jT5_PKSL_NS1_7vsmem_tE.has_recursion, 0
	.set _ZN7rocprim17ROCPRIM_304000_NS6detail35device_block_merge_mergepath_kernelINS1_37wrapped_merge_sort_block_merge_configINS0_14default_configEiN2at4cuda3cub6detail10OpaqueTypeILi8EEEEEPiSC_PSA_SD_jNS1_19radix_merge_compareILb0ELb1EiNS0_19identity_decomposerEEEEEvT0_T1_T2_T3_T4_SL_jT5_PKSL_NS1_7vsmem_tE.has_indirect_call, 0
	.section	.AMDGPU.csdata,"",@progbits
; Kernel info:
; codeLenInByte = 1848
; TotalNumSgprs: 37
; NumVgprs: 17
; NumAgprs: 0
; TotalNumVgprs: 17
; ScratchSize: 0
; MemoryBound: 0
; FloatMode: 240
; IeeeMode: 1
; LDSByteSize: 8208 bytes/workgroup (compile time only)
; SGPRBlocks: 4
; VGPRBlocks: 2
; NumSGPRsForWavesPerEU: 37
; NumVGPRsForWavesPerEU: 17
; AccumOffset: 20
; Occupancy: 8
; WaveLimiterHint : 1
; COMPUTE_PGM_RSRC2:SCRATCH_EN: 0
; COMPUTE_PGM_RSRC2:USER_SGPR: 2
; COMPUTE_PGM_RSRC2:TRAP_HANDLER: 0
; COMPUTE_PGM_RSRC2:TGID_X_EN: 1
; COMPUTE_PGM_RSRC2:TGID_Y_EN: 1
; COMPUTE_PGM_RSRC2:TGID_Z_EN: 1
; COMPUTE_PGM_RSRC2:TIDIG_COMP_CNT: 0
; COMPUTE_PGM_RSRC3_GFX90A:ACCUM_OFFSET: 4
; COMPUTE_PGM_RSRC3_GFX90A:TG_SPLIT: 0
	.section	.text._ZN7rocprim17ROCPRIM_304000_NS6detail33device_block_merge_oddeven_kernelINS1_37wrapped_merge_sort_block_merge_configINS0_14default_configEiN2at4cuda3cub6detail10OpaqueTypeILi8EEEEEPiSC_PSA_SD_jNS1_19radix_merge_compareILb0ELb1EiNS0_19identity_decomposerEEEEEvT0_T1_T2_T3_T4_SL_T5_,"axG",@progbits,_ZN7rocprim17ROCPRIM_304000_NS6detail33device_block_merge_oddeven_kernelINS1_37wrapped_merge_sort_block_merge_configINS0_14default_configEiN2at4cuda3cub6detail10OpaqueTypeILi8EEEEEPiSC_PSA_SD_jNS1_19radix_merge_compareILb0ELb1EiNS0_19identity_decomposerEEEEEvT0_T1_T2_T3_T4_SL_T5_,comdat
	.protected	_ZN7rocprim17ROCPRIM_304000_NS6detail33device_block_merge_oddeven_kernelINS1_37wrapped_merge_sort_block_merge_configINS0_14default_configEiN2at4cuda3cub6detail10OpaqueTypeILi8EEEEEPiSC_PSA_SD_jNS1_19radix_merge_compareILb0ELb1EiNS0_19identity_decomposerEEEEEvT0_T1_T2_T3_T4_SL_T5_ ; -- Begin function _ZN7rocprim17ROCPRIM_304000_NS6detail33device_block_merge_oddeven_kernelINS1_37wrapped_merge_sort_block_merge_configINS0_14default_configEiN2at4cuda3cub6detail10OpaqueTypeILi8EEEEEPiSC_PSA_SD_jNS1_19radix_merge_compareILb0ELb1EiNS0_19identity_decomposerEEEEEvT0_T1_T2_T3_T4_SL_T5_
	.globl	_ZN7rocprim17ROCPRIM_304000_NS6detail33device_block_merge_oddeven_kernelINS1_37wrapped_merge_sort_block_merge_configINS0_14default_configEiN2at4cuda3cub6detail10OpaqueTypeILi8EEEEEPiSC_PSA_SD_jNS1_19radix_merge_compareILb0ELb1EiNS0_19identity_decomposerEEEEEvT0_T1_T2_T3_T4_SL_T5_
	.p2align	8
	.type	_ZN7rocprim17ROCPRIM_304000_NS6detail33device_block_merge_oddeven_kernelINS1_37wrapped_merge_sort_block_merge_configINS0_14default_configEiN2at4cuda3cub6detail10OpaqueTypeILi8EEEEEPiSC_PSA_SD_jNS1_19radix_merge_compareILb0ELb1EiNS0_19identity_decomposerEEEEEvT0_T1_T2_T3_T4_SL_T5_,@function
_ZN7rocprim17ROCPRIM_304000_NS6detail33device_block_merge_oddeven_kernelINS1_37wrapped_merge_sort_block_merge_configINS0_14default_configEiN2at4cuda3cub6detail10OpaqueTypeILi8EEEEEPiSC_PSA_SD_jNS1_19radix_merge_compareILb0ELb1EiNS0_19identity_decomposerEEEEEvT0_T1_T2_T3_T4_SL_T5_: ; @_ZN7rocprim17ROCPRIM_304000_NS6detail33device_block_merge_oddeven_kernelINS1_37wrapped_merge_sort_block_merge_configINS0_14default_configEiN2at4cuda3cub6detail10OpaqueTypeILi8EEEEEPiSC_PSA_SD_jNS1_19radix_merge_compareILb0ELb1EiNS0_19identity_decomposerEEEEEvT0_T1_T2_T3_T4_SL_T5_
; %bb.0:
	s_load_dwordx4 s[16:19], s[0:1], 0x20
	s_waitcnt lgkmcnt(0)
	s_lshr_b32 s3, s16, 8
	s_cmp_eq_u32 s2, s3
	s_cselect_b64 s[6:7], -1, 0
	s_cmp_lg_u32 s2, s3
	s_cselect_b64 s[8:9], -1, 0
	s_lshl_b32 s20, s2, 8
	s_sub_i32 s3, s16, s20
	v_cmp_gt_u32_e64 s[4:5], s3, v0
	s_or_b64 s[8:9], s[8:9], s[4:5]
	s_and_saveexec_b64 s[10:11], s[8:9]
	s_cbranch_execz .LBB94_24
; %bb.1:
	s_load_dwordx8 s[8:15], s[0:1], 0x0
	s_mov_b32 s21, 0
	s_lshl_b64 s[0:1], s[20:21], 2
	v_lshlrev_b32_e32 v5, 3, v0
	v_lshlrev_b32_e32 v1, 2, v0
	s_waitcnt lgkmcnt(0)
	s_add_u32 s0, s8, s0
	s_addc_u32 s1, s9, s1
	s_lshl_b64 s[22:23], s[20:21], 3
	s_add_u32 s12, s12, s22
	s_addc_u32 s13, s13, s23
	global_load_dwordx2 v[2:3], v5, s[12:13]
	global_load_dword v4, v1, s[0:1]
	s_lshr_b32 s0, s17, 8
	s_sub_i32 s1, 0, s0
	s_and_b32 s1, s2, s1
	s_and_b32 s0, s1, s0
	s_lshl_b32 s19, s1, 8
	s_sub_i32 s12, 0, s17
	s_cmp_eq_u32 s0, 0
	s_cselect_b64 s[0:1], -1, 0
	s_and_b64 s[2:3], s[0:1], exec
	s_cselect_b32 s12, s17, s12
	s_add_i32 s12, s12, s19
	s_mov_b64 s[2:3], -1
	s_cmp_gt_u32 s16, s12
	v_add_u32_e32 v0, s20, v0
	s_cbranch_scc1 .LBB94_9
; %bb.2:
	s_and_b64 vcc, exec, s[6:7]
	s_cbranch_vccz .LBB94_6
; %bb.3:
	v_cmp_gt_u32_e32 vcc, s16, v0
	s_and_saveexec_b64 s[2:3], vcc
	s_cbranch_execz .LBB94_5
; %bb.4:
	v_mov_b32_e32 v1, 0
	v_lshl_add_u64 v[8:9], v[0:1], 2, s[10:11]
	v_lshl_add_u64 v[6:7], v[0:1], 3, s[14:15]
	s_waitcnt vmcnt(0)
	global_store_dword v[8:9], v4, off
	global_store_dwordx2 v[6:7], v[2:3], off
.LBB94_5:
	s_or_b64 exec, exec, s[2:3]
	s_mov_b64 s[2:3], 0
.LBB94_6:
	s_andn2_b64 vcc, exec, s[2:3]
	s_cbranch_vccnz .LBB94_8
; %bb.7:
	v_mov_b32_e32 v1, 0
	v_lshl_add_u64 v[6:7], v[0:1], 2, s[10:11]
	v_lshl_add_u64 v[8:9], v[0:1], 3, s[14:15]
	s_waitcnt vmcnt(0)
	global_store_dword v[6:7], v4, off
	global_store_dwordx2 v[8:9], v[2:3], off
.LBB94_8:
	s_mov_b64 s[2:3], 0
.LBB94_9:
	s_andn2_b64 vcc, exec, s[2:3]
	s_cbranch_vccnz .LBB94_24
; %bb.10:
	s_min_u32 s13, s12, s16
	s_add_i32 s2, s13, s17
	s_min_u32 s16, s2, s16
	s_min_u32 s2, s19, s13
	s_add_i32 s19, s19, s13
	v_subrev_u32_e32 v0, s19, v0
	v_add_u32_e32 v5, s2, v0
	s_waitcnt vmcnt(0)
	v_and_b32_e32 v6, s18, v4
	s_mov_b64 s[2:3], -1
	s_and_b64 vcc, exec, s[6:7]
	s_cbranch_vccz .LBB94_18
; %bb.11:
	s_and_saveexec_b64 s[2:3], s[4:5]
	s_cbranch_execz .LBB94_17
; %bb.12:
	s_cmp_ge_u32 s12, s16
	v_mov_b32_e32 v7, s13
	s_cbranch_scc1 .LBB94_16
; %bb.13:
	s_mov_b64 s[4:5], 0
	v_mov_b32_e32 v8, s16
	v_mov_b32_e32 v7, s13
	;; [unrolled: 1-line block ×3, first 2 shown]
.LBB94_14:                              ; =>This Inner Loop Header: Depth=1
	v_add_u32_e32 v0, v7, v8
	v_lshrrev_b32_e32 v0, 1, v0
	v_lshl_add_u64 v[10:11], v[0:1], 2, s[8:9]
	global_load_dword v9, v[10:11], off
	v_add_u32_e32 v10, 1, v0
	s_waitcnt vmcnt(0)
	v_and_b32_e32 v9, s18, v9
	v_cmp_gt_i32_e32 vcc, v6, v9
	s_nop 1
	v_cndmask_b32_e64 v11, 0, 1, vcc
	v_cmp_le_i32_e32 vcc, v9, v6
	s_nop 1
	v_cndmask_b32_e64 v9, 0, 1, vcc
	v_cndmask_b32_e64 v9, v9, v11, s[0:1]
	v_and_b32_e32 v9, 1, v9
	v_cmp_eq_u32_e32 vcc, 1, v9
	s_nop 1
	v_cndmask_b32_e32 v8, v0, v8, vcc
	v_cndmask_b32_e32 v7, v7, v10, vcc
	v_cmp_ge_u32_e32 vcc, v7, v8
	s_or_b64 s[4:5], vcc, s[4:5]
	s_andn2_b64 exec, exec, s[4:5]
	s_cbranch_execnz .LBB94_14
; %bb.15:
	s_or_b64 exec, exec, s[4:5]
.LBB94_16:
	v_add_u32_e32 v0, v7, v5
	v_mov_b32_e32 v1, 0
	v_lshl_add_u64 v[8:9], v[0:1], 2, s[10:11]
	v_lshl_add_u64 v[0:1], v[0:1], 3, s[14:15]
	global_store_dword v[8:9], v4, off
	global_store_dwordx2 v[0:1], v[2:3], off
.LBB94_17:
	s_or_b64 exec, exec, s[2:3]
	s_mov_b64 s[2:3], 0
.LBB94_18:
	s_andn2_b64 vcc, exec, s[2:3]
	s_cbranch_vccnz .LBB94_24
; %bb.19:
	s_cmp_ge_u32 s12, s16
	v_mov_b32_e32 v7, s13
	s_cbranch_scc1 .LBB94_23
; %bb.20:
	s_mov_b64 s[2:3], 0
	v_mov_b32_e32 v8, s16
	v_mov_b32_e32 v7, s13
	;; [unrolled: 1-line block ×3, first 2 shown]
.LBB94_21:                              ; =>This Inner Loop Header: Depth=1
	v_add_u32_e32 v0, v7, v8
	v_lshrrev_b32_e32 v0, 1, v0
	v_lshl_add_u64 v[10:11], v[0:1], 2, s[8:9]
	global_load_dword v9, v[10:11], off
	v_add_u32_e32 v10, 1, v0
	s_waitcnt vmcnt(0)
	v_and_b32_e32 v9, s18, v9
	v_cmp_gt_i32_e32 vcc, v6, v9
	s_nop 1
	v_cndmask_b32_e64 v11, 0, 1, vcc
	v_cmp_le_i32_e32 vcc, v9, v6
	s_nop 1
	v_cndmask_b32_e64 v9, 0, 1, vcc
	v_cndmask_b32_e64 v9, v9, v11, s[0:1]
	v_and_b32_e32 v9, 1, v9
	v_cmp_eq_u32_e32 vcc, 1, v9
	s_nop 1
	v_cndmask_b32_e32 v8, v0, v8, vcc
	v_cndmask_b32_e32 v7, v7, v10, vcc
	v_cmp_ge_u32_e32 vcc, v7, v8
	s_or_b64 s[2:3], vcc, s[2:3]
	s_andn2_b64 exec, exec, s[2:3]
	s_cbranch_execnz .LBB94_21
; %bb.22:
	s_or_b64 exec, exec, s[2:3]
.LBB94_23:
	v_add_u32_e32 v0, v7, v5
	v_mov_b32_e32 v1, 0
	v_lshl_add_u64 v[6:7], v[0:1], 2, s[10:11]
	v_lshl_add_u64 v[0:1], v[0:1], 3, s[14:15]
	global_store_dword v[6:7], v4, off
	global_store_dwordx2 v[0:1], v[2:3], off
.LBB94_24:
	s_endpgm
	.section	.rodata,"a",@progbits
	.p2align	6, 0x0
	.amdhsa_kernel _ZN7rocprim17ROCPRIM_304000_NS6detail33device_block_merge_oddeven_kernelINS1_37wrapped_merge_sort_block_merge_configINS0_14default_configEiN2at4cuda3cub6detail10OpaqueTypeILi8EEEEEPiSC_PSA_SD_jNS1_19radix_merge_compareILb0ELb1EiNS0_19identity_decomposerEEEEEvT0_T1_T2_T3_T4_SL_T5_
		.amdhsa_group_segment_fixed_size 0
		.amdhsa_private_segment_fixed_size 0
		.amdhsa_kernarg_size 44
		.amdhsa_user_sgpr_count 2
		.amdhsa_user_sgpr_dispatch_ptr 0
		.amdhsa_user_sgpr_queue_ptr 0
		.amdhsa_user_sgpr_kernarg_segment_ptr 1
		.amdhsa_user_sgpr_dispatch_id 0
		.amdhsa_user_sgpr_kernarg_preload_length 0
		.amdhsa_user_sgpr_kernarg_preload_offset 0
		.amdhsa_user_sgpr_private_segment_size 0
		.amdhsa_uses_dynamic_stack 0
		.amdhsa_enable_private_segment 0
		.amdhsa_system_sgpr_workgroup_id_x 1
		.amdhsa_system_sgpr_workgroup_id_y 0
		.amdhsa_system_sgpr_workgroup_id_z 0
		.amdhsa_system_sgpr_workgroup_info 0
		.amdhsa_system_vgpr_workitem_id 0
		.amdhsa_next_free_vgpr 12
		.amdhsa_next_free_sgpr 24
		.amdhsa_accum_offset 12
		.amdhsa_reserve_vcc 1
		.amdhsa_float_round_mode_32 0
		.amdhsa_float_round_mode_16_64 0
		.amdhsa_float_denorm_mode_32 3
		.amdhsa_float_denorm_mode_16_64 3
		.amdhsa_dx10_clamp 1
		.amdhsa_ieee_mode 1
		.amdhsa_fp16_overflow 0
		.amdhsa_tg_split 0
		.amdhsa_exception_fp_ieee_invalid_op 0
		.amdhsa_exception_fp_denorm_src 0
		.amdhsa_exception_fp_ieee_div_zero 0
		.amdhsa_exception_fp_ieee_overflow 0
		.amdhsa_exception_fp_ieee_underflow 0
		.amdhsa_exception_fp_ieee_inexact 0
		.amdhsa_exception_int_div_zero 0
	.end_amdhsa_kernel
	.section	.text._ZN7rocprim17ROCPRIM_304000_NS6detail33device_block_merge_oddeven_kernelINS1_37wrapped_merge_sort_block_merge_configINS0_14default_configEiN2at4cuda3cub6detail10OpaqueTypeILi8EEEEEPiSC_PSA_SD_jNS1_19radix_merge_compareILb0ELb1EiNS0_19identity_decomposerEEEEEvT0_T1_T2_T3_T4_SL_T5_,"axG",@progbits,_ZN7rocprim17ROCPRIM_304000_NS6detail33device_block_merge_oddeven_kernelINS1_37wrapped_merge_sort_block_merge_configINS0_14default_configEiN2at4cuda3cub6detail10OpaqueTypeILi8EEEEEPiSC_PSA_SD_jNS1_19radix_merge_compareILb0ELb1EiNS0_19identity_decomposerEEEEEvT0_T1_T2_T3_T4_SL_T5_,comdat
.Lfunc_end94:
	.size	_ZN7rocprim17ROCPRIM_304000_NS6detail33device_block_merge_oddeven_kernelINS1_37wrapped_merge_sort_block_merge_configINS0_14default_configEiN2at4cuda3cub6detail10OpaqueTypeILi8EEEEEPiSC_PSA_SD_jNS1_19radix_merge_compareILb0ELb1EiNS0_19identity_decomposerEEEEEvT0_T1_T2_T3_T4_SL_T5_, .Lfunc_end94-_ZN7rocprim17ROCPRIM_304000_NS6detail33device_block_merge_oddeven_kernelINS1_37wrapped_merge_sort_block_merge_configINS0_14default_configEiN2at4cuda3cub6detail10OpaqueTypeILi8EEEEEPiSC_PSA_SD_jNS1_19radix_merge_compareILb0ELb1EiNS0_19identity_decomposerEEEEEvT0_T1_T2_T3_T4_SL_T5_
                                        ; -- End function
	.set _ZN7rocprim17ROCPRIM_304000_NS6detail33device_block_merge_oddeven_kernelINS1_37wrapped_merge_sort_block_merge_configINS0_14default_configEiN2at4cuda3cub6detail10OpaqueTypeILi8EEEEEPiSC_PSA_SD_jNS1_19radix_merge_compareILb0ELb1EiNS0_19identity_decomposerEEEEEvT0_T1_T2_T3_T4_SL_T5_.num_vgpr, 12
	.set _ZN7rocprim17ROCPRIM_304000_NS6detail33device_block_merge_oddeven_kernelINS1_37wrapped_merge_sort_block_merge_configINS0_14default_configEiN2at4cuda3cub6detail10OpaqueTypeILi8EEEEEPiSC_PSA_SD_jNS1_19radix_merge_compareILb0ELb1EiNS0_19identity_decomposerEEEEEvT0_T1_T2_T3_T4_SL_T5_.num_agpr, 0
	.set _ZN7rocprim17ROCPRIM_304000_NS6detail33device_block_merge_oddeven_kernelINS1_37wrapped_merge_sort_block_merge_configINS0_14default_configEiN2at4cuda3cub6detail10OpaqueTypeILi8EEEEEPiSC_PSA_SD_jNS1_19radix_merge_compareILb0ELb1EiNS0_19identity_decomposerEEEEEvT0_T1_T2_T3_T4_SL_T5_.numbered_sgpr, 24
	.set _ZN7rocprim17ROCPRIM_304000_NS6detail33device_block_merge_oddeven_kernelINS1_37wrapped_merge_sort_block_merge_configINS0_14default_configEiN2at4cuda3cub6detail10OpaqueTypeILi8EEEEEPiSC_PSA_SD_jNS1_19radix_merge_compareILb0ELb1EiNS0_19identity_decomposerEEEEEvT0_T1_T2_T3_T4_SL_T5_.num_named_barrier, 0
	.set _ZN7rocprim17ROCPRIM_304000_NS6detail33device_block_merge_oddeven_kernelINS1_37wrapped_merge_sort_block_merge_configINS0_14default_configEiN2at4cuda3cub6detail10OpaqueTypeILi8EEEEEPiSC_PSA_SD_jNS1_19radix_merge_compareILb0ELb1EiNS0_19identity_decomposerEEEEEvT0_T1_T2_T3_T4_SL_T5_.private_seg_size, 0
	.set _ZN7rocprim17ROCPRIM_304000_NS6detail33device_block_merge_oddeven_kernelINS1_37wrapped_merge_sort_block_merge_configINS0_14default_configEiN2at4cuda3cub6detail10OpaqueTypeILi8EEEEEPiSC_PSA_SD_jNS1_19radix_merge_compareILb0ELb1EiNS0_19identity_decomposerEEEEEvT0_T1_T2_T3_T4_SL_T5_.uses_vcc, 1
	.set _ZN7rocprim17ROCPRIM_304000_NS6detail33device_block_merge_oddeven_kernelINS1_37wrapped_merge_sort_block_merge_configINS0_14default_configEiN2at4cuda3cub6detail10OpaqueTypeILi8EEEEEPiSC_PSA_SD_jNS1_19radix_merge_compareILb0ELb1EiNS0_19identity_decomposerEEEEEvT0_T1_T2_T3_T4_SL_T5_.uses_flat_scratch, 0
	.set _ZN7rocprim17ROCPRIM_304000_NS6detail33device_block_merge_oddeven_kernelINS1_37wrapped_merge_sort_block_merge_configINS0_14default_configEiN2at4cuda3cub6detail10OpaqueTypeILi8EEEEEPiSC_PSA_SD_jNS1_19radix_merge_compareILb0ELb1EiNS0_19identity_decomposerEEEEEvT0_T1_T2_T3_T4_SL_T5_.has_dyn_sized_stack, 0
	.set _ZN7rocprim17ROCPRIM_304000_NS6detail33device_block_merge_oddeven_kernelINS1_37wrapped_merge_sort_block_merge_configINS0_14default_configEiN2at4cuda3cub6detail10OpaqueTypeILi8EEEEEPiSC_PSA_SD_jNS1_19radix_merge_compareILb0ELb1EiNS0_19identity_decomposerEEEEEvT0_T1_T2_T3_T4_SL_T5_.has_recursion, 0
	.set _ZN7rocprim17ROCPRIM_304000_NS6detail33device_block_merge_oddeven_kernelINS1_37wrapped_merge_sort_block_merge_configINS0_14default_configEiN2at4cuda3cub6detail10OpaqueTypeILi8EEEEEPiSC_PSA_SD_jNS1_19radix_merge_compareILb0ELb1EiNS0_19identity_decomposerEEEEEvT0_T1_T2_T3_T4_SL_T5_.has_indirect_call, 0
	.section	.AMDGPU.csdata,"",@progbits
; Kernel info:
; codeLenInByte = 756
; TotalNumSgprs: 30
; NumVgprs: 12
; NumAgprs: 0
; TotalNumVgprs: 12
; ScratchSize: 0
; MemoryBound: 0
; FloatMode: 240
; IeeeMode: 1
; LDSByteSize: 0 bytes/workgroup (compile time only)
; SGPRBlocks: 3
; VGPRBlocks: 1
; NumSGPRsForWavesPerEU: 30
; NumVGPRsForWavesPerEU: 12
; AccumOffset: 12
; Occupancy: 8
; WaveLimiterHint : 0
; COMPUTE_PGM_RSRC2:SCRATCH_EN: 0
; COMPUTE_PGM_RSRC2:USER_SGPR: 2
; COMPUTE_PGM_RSRC2:TRAP_HANDLER: 0
; COMPUTE_PGM_RSRC2:TGID_X_EN: 1
; COMPUTE_PGM_RSRC2:TGID_Y_EN: 0
; COMPUTE_PGM_RSRC2:TGID_Z_EN: 0
; COMPUTE_PGM_RSRC2:TIDIG_COMP_CNT: 0
; COMPUTE_PGM_RSRC3_GFX90A:ACCUM_OFFSET: 2
; COMPUTE_PGM_RSRC3_GFX90A:TG_SPLIT: 0
	.section	.text._ZN7rocprim17ROCPRIM_304000_NS6detail26onesweep_histograms_kernelINS1_34wrapped_radix_sort_onesweep_configINS0_14default_configEiN2at4cuda3cub6detail10OpaqueTypeILi8EEEEELb0EPKimNS0_19identity_decomposerEEEvT1_PT2_SG_SG_T3_jj,"axG",@progbits,_ZN7rocprim17ROCPRIM_304000_NS6detail26onesweep_histograms_kernelINS1_34wrapped_radix_sort_onesweep_configINS0_14default_configEiN2at4cuda3cub6detail10OpaqueTypeILi8EEEEELb0EPKimNS0_19identity_decomposerEEEvT1_PT2_SG_SG_T3_jj,comdat
	.protected	_ZN7rocprim17ROCPRIM_304000_NS6detail26onesweep_histograms_kernelINS1_34wrapped_radix_sort_onesweep_configINS0_14default_configEiN2at4cuda3cub6detail10OpaqueTypeILi8EEEEELb0EPKimNS0_19identity_decomposerEEEvT1_PT2_SG_SG_T3_jj ; -- Begin function _ZN7rocprim17ROCPRIM_304000_NS6detail26onesweep_histograms_kernelINS1_34wrapped_radix_sort_onesweep_configINS0_14default_configEiN2at4cuda3cub6detail10OpaqueTypeILi8EEEEELb0EPKimNS0_19identity_decomposerEEEvT1_PT2_SG_SG_T3_jj
	.globl	_ZN7rocprim17ROCPRIM_304000_NS6detail26onesweep_histograms_kernelINS1_34wrapped_radix_sort_onesweep_configINS0_14default_configEiN2at4cuda3cub6detail10OpaqueTypeILi8EEEEELb0EPKimNS0_19identity_decomposerEEEvT1_PT2_SG_SG_T3_jj
	.p2align	8
	.type	_ZN7rocprim17ROCPRIM_304000_NS6detail26onesweep_histograms_kernelINS1_34wrapped_radix_sort_onesweep_configINS0_14default_configEiN2at4cuda3cub6detail10OpaqueTypeILi8EEEEELb0EPKimNS0_19identity_decomposerEEEvT1_PT2_SG_SG_T3_jj,@function
_ZN7rocprim17ROCPRIM_304000_NS6detail26onesweep_histograms_kernelINS1_34wrapped_radix_sort_onesweep_configINS0_14default_configEiN2at4cuda3cub6detail10OpaqueTypeILi8EEEEELb0EPKimNS0_19identity_decomposerEEEvT1_PT2_SG_SG_T3_jj: ; @_ZN7rocprim17ROCPRIM_304000_NS6detail26onesweep_histograms_kernelINS1_34wrapped_radix_sort_onesweep_configINS0_14default_configEiN2at4cuda3cub6detail10OpaqueTypeILi8EEEEELb0EPKimNS0_19identity_decomposerEEEvT1_PT2_SG_SG_T3_jj
; %bb.0:
	s_load_dwordx8 s[24:31], s[0:1], 0x0
	s_load_dwordx2 s[34:35], s[0:1], 0x24
	v_mov_b32_e32 v4, s2
	v_mov_b32_e32 v5, 0
	s_mul_hi_u32 s0, s2, 0x3000
	s_mulk_i32 s2, 0x3000
	s_waitcnt lgkmcnt(0)
	v_cmp_le_u64_e32 vcc, s[30:31], v[4:5]
	s_add_u32 s24, s24, s2
	s_addc_u32 s25, s25, s0
	s_mov_b64 s[0:1], -1
	v_lshlrev_b32_e32 v2, 2, v0
	s_cbranch_vccz .LBB95_82
; %bb.1:
	s_mul_i32 s0, s30, 0xfffff400
	s_add_i32 s28, s0, s28
	v_lshlrev_b32_e32 v4, 2, v0
	v_lshl_add_u64 v[6:7], s[24:25], 0, v[4:5]
	v_cmp_gt_u32_e64 s[22:23], s28, v0
                                        ; implicit-def: $vgpr16
	s_and_saveexec_b64 s[0:1], s[22:23]
	s_cbranch_execz .LBB95_3
; %bb.2:
	global_load_dword v1, v[6:7], off
	s_waitcnt vmcnt(0)
	v_xor_b32_e32 v16, 0x80000000, v1
.LBB95_3:
	s_or_b64 exec, exec, s[0:1]
	v_or_b32_e32 v1, 0x100, v0
	v_cmp_gt_u32_e64 s[20:21], s28, v1
                                        ; implicit-def: $vgpr15
	s_and_saveexec_b64 s[0:1], s[20:21]
	s_cbranch_execz .LBB95_5
; %bb.4:
	global_load_dword v1, v[6:7], off offset:1024
	s_waitcnt vmcnt(0)
	v_xor_b32_e32 v15, 0x80000000, v1
.LBB95_5:
	s_or_b64 exec, exec, s[0:1]
	v_or_b32_e32 v1, 0x200, v0
	v_cmp_gt_u32_e64 s[18:19], s28, v1
                                        ; implicit-def: $vgpr14
	s_and_saveexec_b64 s[0:1], s[18:19]
	s_cbranch_execz .LBB95_7
; %bb.6:
	global_load_dword v1, v[6:7], off offset:2048
	s_waitcnt vmcnt(0)
	v_xor_b32_e32 v14, 0x80000000, v1
.LBB95_7:
	s_or_b64 exec, exec, s[0:1]
	v_or_b32_e32 v1, 0x300, v0
	v_cmp_gt_u32_e64 s[16:17], s28, v1
                                        ; implicit-def: $vgpr13
	s_and_saveexec_b64 s[0:1], s[16:17]
	s_cbranch_execz .LBB95_9
; %bb.8:
	global_load_dword v1, v[6:7], off offset:3072
	s_waitcnt vmcnt(0)
	v_xor_b32_e32 v13, 0x80000000, v1
.LBB95_9:
	s_or_b64 exec, exec, s[0:1]
	v_or_b32_e32 v1, 0x400, v0
	v_cmp_gt_u32_e64 s[14:15], s28, v1
                                        ; implicit-def: $vgpr12
	s_and_saveexec_b64 s[0:1], s[14:15]
	s_cbranch_execz .LBB95_11
; %bb.10:
	v_add_co_u32_e32 v8, vcc, 0x1000, v6
	s_nop 1
	v_addc_co_u32_e32 v9, vcc, 0, v7, vcc
	global_load_dword v1, v[8:9], off
	s_waitcnt vmcnt(0)
	v_xor_b32_e32 v12, 0x80000000, v1
.LBB95_11:
	s_or_b64 exec, exec, s[0:1]
	v_or_b32_e32 v1, 0x500, v0
	v_cmp_gt_u32_e64 s[12:13], s28, v1
                                        ; implicit-def: $vgpr11
	s_and_saveexec_b64 s[0:1], s[12:13]
	s_cbranch_execz .LBB95_13
; %bb.12:
	v_add_co_u32_e32 v8, vcc, 0x1000, v6
	s_nop 1
	v_addc_co_u32_e32 v9, vcc, 0, v7, vcc
	global_load_dword v1, v[8:9], off offset:1024
	s_waitcnt vmcnt(0)
	v_xor_b32_e32 v11, 0x80000000, v1
.LBB95_13:
	s_or_b64 exec, exec, s[0:1]
	v_or_b32_e32 v1, 0x600, v0
	v_cmp_gt_u32_e64 s[10:11], s28, v1
                                        ; implicit-def: $vgpr10
	s_and_saveexec_b64 s[0:1], s[10:11]
	s_cbranch_execz .LBB95_15
; %bb.14:
	v_add_co_u32_e32 v8, vcc, 0x1000, v6
	s_nop 1
	v_addc_co_u32_e32 v9, vcc, 0, v7, vcc
	global_load_dword v1, v[8:9], off offset:2048
	s_waitcnt vmcnt(0)
	v_xor_b32_e32 v10, 0x80000000, v1
.LBB95_15:
	s_or_b64 exec, exec, s[0:1]
	v_or_b32_e32 v1, 0x700, v0
	v_cmp_gt_u32_e64 s[8:9], s28, v1
                                        ; implicit-def: $vgpr9
	s_and_saveexec_b64 s[0:1], s[8:9]
	s_cbranch_execz .LBB95_17
; %bb.16:
	v_add_co_u32_e32 v8, vcc, 0x1000, v6
	s_nop 1
	v_addc_co_u32_e32 v9, vcc, 0, v7, vcc
	global_load_dword v1, v[8:9], off offset:3072
	s_waitcnt vmcnt(0)
	v_xor_b32_e32 v9, 0x80000000, v1
.LBB95_17:
	s_or_b64 exec, exec, s[0:1]
	v_or_b32_e32 v1, 0x800, v0
	v_cmp_gt_u32_e64 s[6:7], s28, v1
                                        ; implicit-def: $vgpr8
	s_and_saveexec_b64 s[0:1], s[6:7]
	s_cbranch_execz .LBB95_19
; %bb.18:
	v_add_co_u32_e32 v18, vcc, 0x2000, v6
	s_nop 1
	v_addc_co_u32_e32 v19, vcc, 0, v7, vcc
	global_load_dword v1, v[18:19], off
	s_waitcnt vmcnt(0)
	v_xor_b32_e32 v8, 0x80000000, v1
.LBB95_19:
	s_or_b64 exec, exec, s[0:1]
	v_or_b32_e32 v1, 0x900, v0
	v_cmp_gt_u32_e64 s[4:5], s28, v1
                                        ; implicit-def: $vgpr5
	s_and_saveexec_b64 s[0:1], s[4:5]
	s_cbranch_execz .LBB95_21
; %bb.20:
	v_add_co_u32_e32 v18, vcc, 0x2000, v6
	s_nop 1
	v_addc_co_u32_e32 v19, vcc, 0, v7, vcc
	global_load_dword v1, v[18:19], off offset:1024
	s_waitcnt vmcnt(0)
	v_xor_b32_e32 v5, 0x80000000, v1
.LBB95_21:
	s_or_b64 exec, exec, s[0:1]
	v_or_b32_e32 v1, 0xa00, v0
	v_cmp_gt_u32_e64 s[2:3], s28, v1
                                        ; implicit-def: $vgpr3
	s_and_saveexec_b64 s[0:1], s[2:3]
	s_cbranch_execz .LBB95_23
; %bb.22:
	v_add_co_u32_e32 v18, vcc, 0x2000, v6
	s_nop 1
	v_addc_co_u32_e32 v19, vcc, 0, v7, vcc
	global_load_dword v1, v[18:19], off offset:2048
	s_waitcnt vmcnt(0)
	v_xor_b32_e32 v3, 0x80000000, v1
.LBB95_23:
	s_or_b64 exec, exec, s[0:1]
	v_or_b32_e32 v1, 0xb00, v0
	v_cmp_gt_u32_e64 s[0:1], s28, v1
                                        ; implicit-def: $vgpr1
	s_and_saveexec_b64 s[28:29], s[0:1]
	s_cbranch_execz .LBB95_25
; %bb.24:
	v_add_co_u32_e32 v6, vcc, 0x2000, v6
	s_nop 1
	v_addc_co_u32_e32 v7, vcc, 0, v7, vcc
	global_load_dword v1, v[6:7], off offset:3072
	s_waitcnt vmcnt(0)
	v_xor_b32_e32 v1, 0x80000000, v1
.LBB95_25:
	s_or_b64 exec, exec, s[28:29]
	v_or_b32_e32 v6, 0xffffff00, v0
	s_mov_b64 s[28:29], 0
	v_mov_b32_e32 v7, 0
	s_movk_i32 s30, 0xeff
.LBB95_26:                              ; =>This Inner Loop Header: Depth=1
	v_add_u32_e32 v6, 0x100, v6
	v_cmp_lt_u32_e32 vcc, s30, v6
	ds_write_b32 v4, v7
	s_or_b64 s[28:29], vcc, s[28:29]
	v_add_u32_e32 v4, 0x400, v4
	s_andn2_b64 exec, exec, s[28:29]
	s_cbranch_execnz .LBB95_26
; %bb.27:
	s_or_b64 exec, exec, s[28:29]
	s_cmp_gt_u32 s35, s34
	s_cselect_b64 s[28:29], -1, 0
	s_cmp_le_u32 s35, s34
	s_waitcnt lgkmcnt(0)
	s_barrier
	s_cbranch_scc1 .LBB95_76
; %bb.28:
	v_and_b32_e32 v4, 3, v0
	v_lshlrev_b32_e32 v4, 2, v4
	s_sub_i32 s33, s35, s34
	v_mov_b32_e32 v6, 1
	s_mov_b32 s36, s33
	v_mov_b32_e32 v7, v4
	s_mov_b32 s37, s34
	s_branch .LBB95_30
.LBB95_29:                              ;   in Loop: Header=BB95_30 Depth=1
	s_or_b64 exec, exec, s[30:31]
	s_add_i32 s37, s37, 8
	s_add_i32 s36, s36, -8
	s_cmp_lt_u32 s37, s35
	v_add_u32_e32 v7, 0x1000, v7
	s_cbranch_scc0 .LBB95_32
.LBB95_30:                              ; =>This Inner Loop Header: Depth=1
	s_and_saveexec_b64 s[30:31], s[22:23]
	s_cbranch_execz .LBB95_29
; %bb.31:                               ;   in Loop: Header=BB95_30 Depth=1
	s_min_u32 s38, s36, 8
	v_lshrrev_b32_e32 v17, s37, v16
	v_bfe_u32 v17, v17, 0, s38
	v_lshl_add_u32 v17, v17, 4, v7
	ds_add_u32 v17, v6
	s_branch .LBB95_29
.LBB95_32:
	v_mov_b32_e32 v6, 1
	s_mov_b32 s30, s33
	v_mov_b32_e32 v7, v4
	s_mov_b32 s31, s34
	s_branch .LBB95_34
.LBB95_33:                              ;   in Loop: Header=BB95_34 Depth=1
	s_or_b64 exec, exec, s[22:23]
	s_add_i32 s31, s31, 8
	s_add_i32 s30, s30, -8
	s_cmp_lt_u32 s31, s35
	v_add_u32_e32 v7, 0x1000, v7
	s_cbranch_scc0 .LBB95_36
.LBB95_34:                              ; =>This Inner Loop Header: Depth=1
	s_and_saveexec_b64 s[22:23], s[20:21]
	s_cbranch_execz .LBB95_33
; %bb.35:                               ;   in Loop: Header=BB95_34 Depth=1
	s_min_u32 s36, s30, 8
	v_lshrrev_b32_e32 v16, s31, v15
	v_bfe_u32 v16, v16, 0, s36
	v_lshl_add_u32 v16, v16, 4, v7
	ds_add_u32 v16, v6
	s_branch .LBB95_33
.LBB95_36:
	;; [unrolled: 23-line block ×11, first 2 shown]
	v_mov_b32_e32 v3, 1
	s_mov_b32 s4, s34
	s_branch .LBB95_74
.LBB95_73:                              ;   in Loop: Header=BB95_74 Depth=1
	s_or_b64 exec, exec, s[2:3]
	s_add_i32 s4, s4, 8
	s_add_i32 s33, s33, -8
	s_cmp_lt_u32 s4, s35
	v_add_u32_e32 v4, 0x1000, v4
	s_cbranch_scc0 .LBB95_76
.LBB95_74:                              ; =>This Inner Loop Header: Depth=1
	s_and_saveexec_b64 s[2:3], s[0:1]
	s_cbranch_execz .LBB95_73
; %bb.75:                               ;   in Loop: Header=BB95_74 Depth=1
	s_min_u32 s5, s33, 8
	v_lshrrev_b32_e32 v5, s4, v1
	v_bfe_u32 v5, v5, 0, s5
	v_lshl_add_u32 v5, v5, 4, v4
	ds_add_u32 v5, v3
	s_branch .LBB95_73
.LBB95_76:
	s_and_b64 vcc, exec, s[28:29]
	s_waitcnt lgkmcnt(0)
	s_barrier
	s_cbranch_vccz .LBB95_81
; %bb.77:
	s_movk_i32 s0, 0x100
	v_cmp_gt_u32_e32 vcc, s0, v0
	v_lshlrev_b32_e32 v1, 4, v0
	v_mov_b32_e32 v5, 0
	v_mov_b32_e32 v4, v0
	s_mov_b32 s2, s34
	s_branch .LBB95_79
.LBB95_78:                              ;   in Loop: Header=BB95_79 Depth=1
	s_or_b64 exec, exec, s[0:1]
	s_add_i32 s2, s2, 8
	v_add_u32_e32 v4, 0x100, v4
	s_cmp_lt_u32 s2, s35
	v_add_u32_e32 v1, 0x1000, v1
	s_cbranch_scc0 .LBB95_81
.LBB95_79:                              ; =>This Inner Loop Header: Depth=1
	s_and_saveexec_b64 s[0:1], vcc
	s_cbranch_execz .LBB95_78
; %bb.80:                               ;   in Loop: Header=BB95_79 Depth=1
	ds_read2_b32 v[6:7], v1 offset1:1
	ds_read2_b32 v[8:9], v1 offset0:2 offset1:3
	v_lshl_add_u64 v[10:11], v[4:5], 3, s[26:27]
	s_waitcnt lgkmcnt(1)
	v_add_u32_e32 v3, v7, v6
	s_waitcnt lgkmcnt(0)
	v_add3_u32 v6, v3, v8, v9
	v_mov_b32_e32 v7, v5
	global_atomic_add_x2 v[10:11], v[6:7], off
	s_branch .LBB95_78
.LBB95_81:
	s_mov_b64 s[0:1], 0
.LBB95_82:
	s_and_b64 vcc, exec, s[0:1]
	s_cbranch_vccz .LBB95_122
; %bb.83:
	v_mov_b32_e32 v3, 0
	v_lshl_add_u64 v[4:5], s[24:25], 0, v[2:3]
	v_add_co_u32_e32 v16, vcc, 0x1000, v4
	global_load_dword v14, v2, s[24:25]
	global_load_dword v13, v2, s[24:25] offset:1024
	global_load_dword v12, v2, s[24:25] offset:2048
	;; [unrolled: 1-line block ×3, first 2 shown]
	v_addc_co_u32_e32 v17, vcc, 0, v5, vcc
	v_add_co_u32_e32 v18, vcc, 0x2000, v4
	s_cmp_eq_u32 s34, 0
	s_nop 0
	v_addc_co_u32_e32 v19, vcc, 0, v5, vcc
	global_load_dword v11, v[16:17], off
	global_load_dword v9, v[16:17], off offset:1024
	global_load_dword v8, v[16:17], off offset:2048
	;; [unrolled: 1-line block ×3, first 2 shown]
	global_load_dword v6, v[18:19], off
	global_load_dword v5, v[18:19], off offset:1024
	global_load_dword v4, v[18:19], off offset:2048
	;; [unrolled: 1-line block ×3, first 2 shown]
	s_cselect_b64 s[0:1], -1, 0
	s_cmp_eq_u32 s35, 32
	s_cselect_b64 s[2:3], -1, 0
	s_and_b64 s[2:3], s[0:1], s[2:3]
	s_mov_b64 s[0:1], -1
	s_and_b64 vcc, exec, s[2:3]
	s_cbranch_vccnz .LBB95_117
; %bb.84:
	v_or_b32_e32 v15, 0xffffff00, v0
	s_mov_b64 s[0:1], 0
	s_movk_i32 s2, 0xeff
.LBB95_85:                              ; =>This Inner Loop Header: Depth=1
	v_add_u32_e32 v15, 0x100, v15
	v_cmp_lt_u32_e32 vcc, s2, v15
	ds_write_b32 v2, v3
	s_or_b64 s[0:1], vcc, s[0:1]
	v_add_u32_e32 v2, 0x400, v2
	s_andn2_b64 exec, exec, s[0:1]
	s_cbranch_execnz .LBB95_85
; %bb.86:
	s_or_b64 exec, exec, s[0:1]
	s_cmp_gt_u32 s35, s34
	s_cselect_b64 s[0:1], -1, 0
	s_cmp_le_u32 s35, s34
	s_waitcnt lgkmcnt(0)
	s_barrier
	s_cbranch_scc1 .LBB95_111
; %bb.87:
	v_and_b32_e32 v2, 3, v0
	v_lshlrev_b32_e32 v2, 2, v2
	s_sub_i32 s2, s35, s34
	s_waitcnt vmcnt(11)
	v_xor_b32_e32 v3, 0x80000000, v14
	v_mov_b32_e32 v15, 1
	s_mov_b32 s3, s2
	v_mov_b32_e32 v16, v2
	s_mov_b32 s4, s34
.LBB95_88:                              ; =>This Inner Loop Header: Depth=1
	s_min_u32 s5, s3, 8
	v_lshrrev_b32_e32 v17, s4, v3
	v_bfe_u32 v17, v17, 0, s5
	v_lshl_add_u32 v17, v17, 4, v16
	ds_add_u32 v17, v15
	s_add_i32 s4, s4, 8
	s_add_i32 s3, s3, -8
	s_cmp_lt_u32 s4, s35
	v_add_u32_e32 v16, 0x1000, v16
	s_cbranch_scc1 .LBB95_88
; %bb.89:
	s_waitcnt vmcnt(10)
	v_xor_b32_e32 v3, 0x80000000, v13
	v_mov_b32_e32 v15, 1
	s_mov_b32 s3, s2
	v_mov_b32_e32 v16, v2
	s_mov_b32 s4, s34
.LBB95_90:                              ; =>This Inner Loop Header: Depth=1
	s_min_u32 s5, s3, 8
	v_lshrrev_b32_e32 v17, s4, v3
	v_bfe_u32 v17, v17, 0, s5
	v_lshl_add_u32 v17, v17, 4, v16
	ds_add_u32 v17, v15
	s_add_i32 s4, s4, 8
	s_add_i32 s3, s3, -8
	s_cmp_lt_u32 s4, s35
	v_add_u32_e32 v16, 0x1000, v16
	s_cbranch_scc1 .LBB95_90
; %bb.91:
	;; [unrolled: 18-line block ×6, first 2 shown]
	s_waitcnt vmcnt(5)
	v_xor_b32_e32 v3, 0x80000000, v8
	v_mov_b32_e32 v15, 1
	s_mov_b32 s3, s2
	v_mov_b32_e32 v16, v2
	s_mov_b32 s4, s34
.LBB95_100:                             ; =>This Inner Loop Header: Depth=1
	s_min_u32 s5, s3, 8
	v_lshrrev_b32_e32 v17, s4, v3
	v_bfe_u32 v17, v17, 0, s5
	v_lshl_add_u32 v17, v17, 4, v16
	ds_add_u32 v17, v15
	s_add_i32 s4, s4, 8
	s_add_i32 s3, s3, -8
	s_cmp_lt_u32 s4, s35
	v_add_u32_e32 v16, 0x1000, v16
	s_cbranch_scc1 .LBB95_100
; %bb.101:
	s_waitcnt vmcnt(4)
	v_xor_b32_e32 v3, 0x80000000, v7
	v_mov_b32_e32 v15, 1
	s_mov_b32 s3, s2
	v_mov_b32_e32 v16, v2
	s_mov_b32 s4, s34
.LBB95_102:                             ; =>This Inner Loop Header: Depth=1
	s_min_u32 s5, s3, 8
	v_lshrrev_b32_e32 v17, s4, v3
	v_bfe_u32 v17, v17, 0, s5
	v_lshl_add_u32 v17, v17, 4, v16
	ds_add_u32 v17, v15
	s_add_i32 s4, s4, 8
	s_add_i32 s3, s3, -8
	s_cmp_lt_u32 s4, s35
	v_add_u32_e32 v16, 0x1000, v16
	s_cbranch_scc1 .LBB95_102
; %bb.103:
	;; [unrolled: 18-line block ×5, first 2 shown]
	s_waitcnt vmcnt(0)
	v_xor_b32_e32 v3, 0x80000000, v1
	v_mov_b32_e32 v15, 1
	s_mov_b32 s3, s34
.LBB95_110:                             ; =>This Inner Loop Header: Depth=1
	s_min_u32 s4, s2, 8
	v_lshrrev_b32_e32 v16, s3, v3
	v_bfe_u32 v16, v16, 0, s4
	v_lshl_add_u32 v16, v16, 4, v2
	ds_add_u32 v16, v15
	s_add_i32 s3, s3, 8
	s_add_i32 s2, s2, -8
	s_cmp_lt_u32 s3, s35
	v_add_u32_e32 v2, 0x1000, v2
	s_cbranch_scc1 .LBB95_110
.LBB95_111:
	s_and_b64 vcc, exec, s[0:1]
	s_waitcnt lgkmcnt(0)
	s_barrier
	s_cbranch_vccz .LBB95_116
; %bb.112:
	s_movk_i32 s0, 0x100
	v_cmp_gt_u32_e32 vcc, s0, v0
	v_lshlrev_b32_e32 v15, 4, v0
	v_mov_b32_e32 v3, 0
	v_mov_b32_e32 v2, v0
	s_branch .LBB95_114
.LBB95_113:                             ;   in Loop: Header=BB95_114 Depth=1
	s_or_b64 exec, exec, s[0:1]
	s_add_i32 s34, s34, 8
	v_add_u32_e32 v2, 0x100, v2
	s_cmp_ge_u32 s34, s35
	v_add_u32_e32 v15, 0x1000, v15
	s_cbranch_scc1 .LBB95_116
.LBB95_114:                             ; =>This Inner Loop Header: Depth=1
	s_and_saveexec_b64 s[0:1], vcc
	s_cbranch_execz .LBB95_113
; %bb.115:                              ;   in Loop: Header=BB95_114 Depth=1
	ds_read2_b32 v[16:17], v15 offset1:1
	ds_read2_b32 v[18:19], v15 offset0:2 offset1:3
	v_lshl_add_u64 v[20:21], v[2:3], 3, s[26:27]
	s_waitcnt lgkmcnt(1)
	v_add_u32_e32 v16, v17, v16
	s_waitcnt lgkmcnt(0)
	v_add3_u32 v16, v16, v18, v19
	v_mov_b32_e32 v17, v3
	global_atomic_add_x2 v[20:21], v[16:17], off
	s_branch .LBB95_113
.LBB95_116:
	s_mov_b64 s[0:1], 0
.LBB95_117:
	s_and_b64 vcc, exec, s[0:1]
	s_cbranch_vccz .LBB95_122
; %bb.118:
	v_or_b32_e32 v2, 0xffffff00, v0
	v_lshlrev_b32_e32 v3, 2, v0
	s_mov_b64 s[0:1], 0
	v_mov_b32_e32 v15, 0
	s_movk_i32 s2, 0xeff
.LBB95_119:                             ; =>This Inner Loop Header: Depth=1
	v_add_u32_e32 v2, 0x100, v2
	v_cmp_lt_u32_e32 vcc, s2, v2
	ds_write_b32 v3, v15
	s_or_b64 s[0:1], vcc, s[0:1]
	v_add_u32_e32 v3, 0x400, v3
	s_andn2_b64 exec, exec, s[0:1]
	s_cbranch_execnz .LBB95_119
; %bb.120:
	s_or_b64 exec, exec, s[0:1]
	v_and_b32_e32 v2, 3, v0
	s_waitcnt vmcnt(11)
	v_lshlrev_b32_e32 v3, 4, v14
	v_lshlrev_b32_e32 v2, 2, v2
	s_movk_i32 s0, 0xff0
	v_and_or_b32 v3, v3, s0, v2
	v_mov_b32_e32 v15, 1
	s_waitcnt lgkmcnt(0)
	s_barrier
	ds_add_u32 v3, v15
	v_bfe_u32 v3, v14, 8, 8
	v_lshl_or_b32 v3, v3, 4, v2
	ds_add_u32 v3, v15 offset:4096
	v_bfe_u32 v3, v14, 16, 8
	v_lshl_or_b32 v3, v3, 4, v2
	ds_add_u32 v3, v15 offset:8192
	v_mov_b32_e32 v3, 2
	v_lshlrev_b32_sdwa v14, v3, v14 dst_sel:DWORD dst_unused:UNUSED_PAD src0_sel:DWORD src1_sel:BYTE_3
	v_xor_b32_e32 v14, 0x200, v14
	v_lshl_or_b32 v14, v14, 2, v2
	ds_add_u32 v14, v15 offset:12288
	s_waitcnt vmcnt(10)
	v_lshlrev_b32_e32 v14, 4, v13
	v_and_or_b32 v14, v14, s0, v2
	ds_add_u32 v14, v15
	v_bfe_u32 v14, v13, 8, 8
	v_lshl_or_b32 v14, v14, 4, v2
	ds_add_u32 v14, v15 offset:4096
	v_bfe_u32 v14, v13, 16, 8
	v_lshlrev_b32_sdwa v13, v3, v13 dst_sel:DWORD dst_unused:UNUSED_PAD src0_sel:DWORD src1_sel:BYTE_3
	v_lshl_or_b32 v14, v14, 4, v2
	v_xor_b32_e32 v13, 0x200, v13
	ds_add_u32 v14, v15 offset:8192
	v_lshl_or_b32 v13, v13, 2, v2
	ds_add_u32 v13, v15 offset:12288
	s_waitcnt vmcnt(9)
	v_lshlrev_b32_e32 v13, 4, v12
	v_and_or_b32 v13, v13, s0, v2
	ds_add_u32 v13, v15
	v_bfe_u32 v13, v12, 8, 8
	v_lshl_or_b32 v13, v13, 4, v2
	ds_add_u32 v13, v15 offset:4096
	v_bfe_u32 v13, v12, 16, 8
	v_lshlrev_b32_sdwa v12, v3, v12 dst_sel:DWORD dst_unused:UNUSED_PAD src0_sel:DWORD src1_sel:BYTE_3
	v_lshl_or_b32 v13, v13, 4, v2
	v_xor_b32_e32 v12, 0x200, v12
	ds_add_u32 v13, v15 offset:8192
	;; [unrolled: 14-line block ×3, first 2 shown]
	v_lshl_or_b32 v10, v10, 2, v2
	ds_add_u32 v10, v15 offset:12288
	s_waitcnt vmcnt(7)
	v_lshlrev_b32_e32 v10, 4, v11
	v_and_or_b32 v10, v10, s0, v2
	ds_add_u32 v10, v15
	v_bfe_u32 v10, v11, 8, 8
	v_lshl_or_b32 v10, v10, 4, v2
	ds_add_u32 v10, v15 offset:4096
	v_bfe_u32 v10, v11, 16, 8
	v_lshl_or_b32 v10, v10, 4, v2
	ds_add_u32 v10, v15 offset:8192
	v_lshlrev_b32_sdwa v10, v3, v11 dst_sel:DWORD dst_unused:UNUSED_PAD src0_sel:DWORD src1_sel:BYTE_3
	v_xor_b32_e32 v10, 0x200, v10
	v_lshl_or_b32 v10, v10, 2, v2
	ds_add_u32 v10, v15 offset:12288
	s_waitcnt vmcnt(6)
	v_lshlrev_b32_e32 v10, 4, v9
	v_and_or_b32 v10, v10, s0, v2
	ds_add_u32 v10, v15
	v_bfe_u32 v10, v9, 8, 8
	v_lshl_or_b32 v10, v10, 4, v2
	ds_add_u32 v10, v15 offset:4096
	v_bfe_u32 v10, v9, 16, 8
	v_lshlrev_b32_sdwa v9, v3, v9 dst_sel:DWORD dst_unused:UNUSED_PAD src0_sel:DWORD src1_sel:BYTE_3
	v_lshl_or_b32 v10, v10, 4, v2
	v_xor_b32_e32 v9, 0x200, v9
	ds_add_u32 v10, v15 offset:8192
	v_lshl_or_b32 v9, v9, 2, v2
	ds_add_u32 v9, v15 offset:12288
	s_waitcnt vmcnt(5)
	v_lshlrev_b32_e32 v9, 4, v8
	v_and_or_b32 v9, v9, s0, v2
	ds_add_u32 v9, v15
	v_bfe_u32 v9, v8, 8, 8
	v_lshl_or_b32 v9, v9, 4, v2
	ds_add_u32 v9, v15 offset:4096
	v_bfe_u32 v9, v8, 16, 8
	v_lshlrev_b32_sdwa v8, v3, v8 dst_sel:DWORD dst_unused:UNUSED_PAD src0_sel:DWORD src1_sel:BYTE_3
	v_lshl_or_b32 v9, v9, 4, v2
	v_xor_b32_e32 v8, 0x200, v8
	ds_add_u32 v9, v15 offset:8192
	;; [unrolled: 14-line block ×7, first 2 shown]
	v_lshl_or_b32 v1, v1, 2, v2
	ds_add_u32 v1, v15 offset:12288
	s_movk_i32 s0, 0x100
	v_cmp_gt_u32_e32 vcc, s0, v0
	s_waitcnt lgkmcnt(0)
	s_barrier
	s_and_saveexec_b64 s[0:1], vcc
	s_cbranch_execz .LBB95_122
; %bb.121:
	v_lshlrev_b32_e32 v8, 4, v0
	ds_read2_b32 v[2:3], v8 offset1:1
	ds_read2_b32 v[4:5], v8 offset0:2 offset1:3
	v_mov_b32_e32 v1, 0
	v_lshlrev_b32_e32 v0, 3, v0
	v_mov_b32_e32 v7, v1
	s_waitcnt lgkmcnt(1)
	v_add_u32_e32 v2, v3, v2
	s_waitcnt lgkmcnt(0)
	v_add3_u32 v6, v2, v4, v5
	global_atomic_add_x2 v0, v[6:7], s[26:27]
	v_or_b32_e32 v2, 0x1000, v8
	v_or_b32_e32 v4, 0x1008, v8
	ds_read2_b32 v[2:3], v2 offset1:1
	ds_read2_b32 v[4:5], v4 offset1:1
	s_movk_i32 s0, 0x1000
	s_waitcnt lgkmcnt(1)
	v_add_u32_e32 v2, v3, v2
	s_waitcnt lgkmcnt(0)
	v_add3_u32 v6, v2, v4, v5
	global_atomic_add_x2 v0, v[6:7], s[26:27] offset:2048
	v_or_b32_e32 v2, 0x2000, v8
	v_or_b32_e32 v4, 0x2008, v8
	ds_read2_b32 v[2:3], v2 offset1:1
	ds_read2_b32 v[4:5], v4 offset1:1
	v_lshl_add_u64 v[6:7], s[26:27], 0, v[0:1]
	s_waitcnt lgkmcnt(1)
	v_add_u32_e32 v0, v3, v2
	v_add_co_u32_e32 v2, vcc, s0, v6
	s_waitcnt lgkmcnt(0)
	v_add3_u32 v0, v0, v4, v5
	v_addc_co_u32_e32 v3, vcc, 0, v7, vcc
	global_atomic_add_x2 v[2:3], v[0:1], off
	v_or_b32_e32 v0, 0x3000, v8
	v_or_b32_e32 v6, 0x3008, v8
	ds_read2_b32 v[4:5], v0 offset1:1
	ds_read2_b32 v[6:7], v6 offset1:1
	s_waitcnt lgkmcnt(1)
	v_add_u32_e32 v0, v5, v4
	s_waitcnt lgkmcnt(0)
	v_add3_u32 v0, v0, v6, v7
	global_atomic_add_x2 v[2:3], v[0:1], off offset:2048
.LBB95_122:
	s_endpgm
	.section	.rodata,"a",@progbits
	.p2align	6, 0x0
	.amdhsa_kernel _ZN7rocprim17ROCPRIM_304000_NS6detail26onesweep_histograms_kernelINS1_34wrapped_radix_sort_onesweep_configINS0_14default_configEiN2at4cuda3cub6detail10OpaqueTypeILi8EEEEELb0EPKimNS0_19identity_decomposerEEEvT1_PT2_SG_SG_T3_jj
		.amdhsa_group_segment_fixed_size 16384
		.amdhsa_private_segment_fixed_size 0
		.amdhsa_kernarg_size 44
		.amdhsa_user_sgpr_count 2
		.amdhsa_user_sgpr_dispatch_ptr 0
		.amdhsa_user_sgpr_queue_ptr 0
		.amdhsa_user_sgpr_kernarg_segment_ptr 1
		.amdhsa_user_sgpr_dispatch_id 0
		.amdhsa_user_sgpr_kernarg_preload_length 0
		.amdhsa_user_sgpr_kernarg_preload_offset 0
		.amdhsa_user_sgpr_private_segment_size 0
		.amdhsa_uses_dynamic_stack 0
		.amdhsa_enable_private_segment 0
		.amdhsa_system_sgpr_workgroup_id_x 1
		.amdhsa_system_sgpr_workgroup_id_y 0
		.amdhsa_system_sgpr_workgroup_id_z 0
		.amdhsa_system_sgpr_workgroup_info 0
		.amdhsa_system_vgpr_workitem_id 0
		.amdhsa_next_free_vgpr 22
		.amdhsa_next_free_sgpr 39
		.amdhsa_accum_offset 24
		.amdhsa_reserve_vcc 1
		.amdhsa_float_round_mode_32 0
		.amdhsa_float_round_mode_16_64 0
		.amdhsa_float_denorm_mode_32 3
		.amdhsa_float_denorm_mode_16_64 3
		.amdhsa_dx10_clamp 1
		.amdhsa_ieee_mode 1
		.amdhsa_fp16_overflow 0
		.amdhsa_tg_split 0
		.amdhsa_exception_fp_ieee_invalid_op 0
		.amdhsa_exception_fp_denorm_src 0
		.amdhsa_exception_fp_ieee_div_zero 0
		.amdhsa_exception_fp_ieee_overflow 0
		.amdhsa_exception_fp_ieee_underflow 0
		.amdhsa_exception_fp_ieee_inexact 0
		.amdhsa_exception_int_div_zero 0
	.end_amdhsa_kernel
	.section	.text._ZN7rocprim17ROCPRIM_304000_NS6detail26onesweep_histograms_kernelINS1_34wrapped_radix_sort_onesweep_configINS0_14default_configEiN2at4cuda3cub6detail10OpaqueTypeILi8EEEEELb0EPKimNS0_19identity_decomposerEEEvT1_PT2_SG_SG_T3_jj,"axG",@progbits,_ZN7rocprim17ROCPRIM_304000_NS6detail26onesweep_histograms_kernelINS1_34wrapped_radix_sort_onesweep_configINS0_14default_configEiN2at4cuda3cub6detail10OpaqueTypeILi8EEEEELb0EPKimNS0_19identity_decomposerEEEvT1_PT2_SG_SG_T3_jj,comdat
.Lfunc_end95:
	.size	_ZN7rocprim17ROCPRIM_304000_NS6detail26onesweep_histograms_kernelINS1_34wrapped_radix_sort_onesweep_configINS0_14default_configEiN2at4cuda3cub6detail10OpaqueTypeILi8EEEEELb0EPKimNS0_19identity_decomposerEEEvT1_PT2_SG_SG_T3_jj, .Lfunc_end95-_ZN7rocprim17ROCPRIM_304000_NS6detail26onesweep_histograms_kernelINS1_34wrapped_radix_sort_onesweep_configINS0_14default_configEiN2at4cuda3cub6detail10OpaqueTypeILi8EEEEELb0EPKimNS0_19identity_decomposerEEEvT1_PT2_SG_SG_T3_jj
                                        ; -- End function
	.set _ZN7rocprim17ROCPRIM_304000_NS6detail26onesweep_histograms_kernelINS1_34wrapped_radix_sort_onesweep_configINS0_14default_configEiN2at4cuda3cub6detail10OpaqueTypeILi8EEEEELb0EPKimNS0_19identity_decomposerEEEvT1_PT2_SG_SG_T3_jj.num_vgpr, 22
	.set _ZN7rocprim17ROCPRIM_304000_NS6detail26onesweep_histograms_kernelINS1_34wrapped_radix_sort_onesweep_configINS0_14default_configEiN2at4cuda3cub6detail10OpaqueTypeILi8EEEEELb0EPKimNS0_19identity_decomposerEEEvT1_PT2_SG_SG_T3_jj.num_agpr, 0
	.set _ZN7rocprim17ROCPRIM_304000_NS6detail26onesweep_histograms_kernelINS1_34wrapped_radix_sort_onesweep_configINS0_14default_configEiN2at4cuda3cub6detail10OpaqueTypeILi8EEEEELb0EPKimNS0_19identity_decomposerEEEvT1_PT2_SG_SG_T3_jj.numbered_sgpr, 39
	.set _ZN7rocprim17ROCPRIM_304000_NS6detail26onesweep_histograms_kernelINS1_34wrapped_radix_sort_onesweep_configINS0_14default_configEiN2at4cuda3cub6detail10OpaqueTypeILi8EEEEELb0EPKimNS0_19identity_decomposerEEEvT1_PT2_SG_SG_T3_jj.num_named_barrier, 0
	.set _ZN7rocprim17ROCPRIM_304000_NS6detail26onesweep_histograms_kernelINS1_34wrapped_radix_sort_onesweep_configINS0_14default_configEiN2at4cuda3cub6detail10OpaqueTypeILi8EEEEELb0EPKimNS0_19identity_decomposerEEEvT1_PT2_SG_SG_T3_jj.private_seg_size, 0
	.set _ZN7rocprim17ROCPRIM_304000_NS6detail26onesweep_histograms_kernelINS1_34wrapped_radix_sort_onesweep_configINS0_14default_configEiN2at4cuda3cub6detail10OpaqueTypeILi8EEEEELb0EPKimNS0_19identity_decomposerEEEvT1_PT2_SG_SG_T3_jj.uses_vcc, 1
	.set _ZN7rocprim17ROCPRIM_304000_NS6detail26onesweep_histograms_kernelINS1_34wrapped_radix_sort_onesweep_configINS0_14default_configEiN2at4cuda3cub6detail10OpaqueTypeILi8EEEEELb0EPKimNS0_19identity_decomposerEEEvT1_PT2_SG_SG_T3_jj.uses_flat_scratch, 0
	.set _ZN7rocprim17ROCPRIM_304000_NS6detail26onesweep_histograms_kernelINS1_34wrapped_radix_sort_onesweep_configINS0_14default_configEiN2at4cuda3cub6detail10OpaqueTypeILi8EEEEELb0EPKimNS0_19identity_decomposerEEEvT1_PT2_SG_SG_T3_jj.has_dyn_sized_stack, 0
	.set _ZN7rocprim17ROCPRIM_304000_NS6detail26onesweep_histograms_kernelINS1_34wrapped_radix_sort_onesweep_configINS0_14default_configEiN2at4cuda3cub6detail10OpaqueTypeILi8EEEEELb0EPKimNS0_19identity_decomposerEEEvT1_PT2_SG_SG_T3_jj.has_recursion, 0
	.set _ZN7rocprim17ROCPRIM_304000_NS6detail26onesweep_histograms_kernelINS1_34wrapped_radix_sort_onesweep_configINS0_14default_configEiN2at4cuda3cub6detail10OpaqueTypeILi8EEEEELb0EPKimNS0_19identity_decomposerEEEvT1_PT2_SG_SG_T3_jj.has_indirect_call, 0
	.section	.AMDGPU.csdata,"",@progbits
; Kernel info:
; codeLenInByte = 5184
; TotalNumSgprs: 45
; NumVgprs: 22
; NumAgprs: 0
; TotalNumVgprs: 22
; ScratchSize: 0
; MemoryBound: 0
; FloatMode: 240
; IeeeMode: 1
; LDSByteSize: 16384 bytes/workgroup (compile time only)
; SGPRBlocks: 5
; VGPRBlocks: 2
; NumSGPRsForWavesPerEU: 45
; NumVGPRsForWavesPerEU: 22
; AccumOffset: 24
; Occupancy: 8
; WaveLimiterHint : 1
; COMPUTE_PGM_RSRC2:SCRATCH_EN: 0
; COMPUTE_PGM_RSRC2:USER_SGPR: 2
; COMPUTE_PGM_RSRC2:TRAP_HANDLER: 0
; COMPUTE_PGM_RSRC2:TGID_X_EN: 1
; COMPUTE_PGM_RSRC2:TGID_Y_EN: 0
; COMPUTE_PGM_RSRC2:TGID_Z_EN: 0
; COMPUTE_PGM_RSRC2:TIDIG_COMP_CNT: 0
; COMPUTE_PGM_RSRC3_GFX90A:ACCUM_OFFSET: 5
; COMPUTE_PGM_RSRC3_GFX90A:TG_SPLIT: 0
	.section	.text._ZN7rocprim17ROCPRIM_304000_NS6detail25onesweep_iteration_kernelINS1_34wrapped_radix_sort_onesweep_configINS0_14default_configEiN2at4cuda3cub6detail10OpaqueTypeILi8EEEEELb0EPKiPiPKSA_PSA_mNS0_19identity_decomposerEEEvT1_T2_T3_T4_jPT5_SO_PNS1_23onesweep_lookback_stateET6_jjj,"axG",@progbits,_ZN7rocprim17ROCPRIM_304000_NS6detail25onesweep_iteration_kernelINS1_34wrapped_radix_sort_onesweep_configINS0_14default_configEiN2at4cuda3cub6detail10OpaqueTypeILi8EEEEELb0EPKiPiPKSA_PSA_mNS0_19identity_decomposerEEEvT1_T2_T3_T4_jPT5_SO_PNS1_23onesweep_lookback_stateET6_jjj,comdat
	.protected	_ZN7rocprim17ROCPRIM_304000_NS6detail25onesweep_iteration_kernelINS1_34wrapped_radix_sort_onesweep_configINS0_14default_configEiN2at4cuda3cub6detail10OpaqueTypeILi8EEEEELb0EPKiPiPKSA_PSA_mNS0_19identity_decomposerEEEvT1_T2_T3_T4_jPT5_SO_PNS1_23onesweep_lookback_stateET6_jjj ; -- Begin function _ZN7rocprim17ROCPRIM_304000_NS6detail25onesweep_iteration_kernelINS1_34wrapped_radix_sort_onesweep_configINS0_14default_configEiN2at4cuda3cub6detail10OpaqueTypeILi8EEEEELb0EPKiPiPKSA_PSA_mNS0_19identity_decomposerEEEvT1_T2_T3_T4_jPT5_SO_PNS1_23onesweep_lookback_stateET6_jjj
	.globl	_ZN7rocprim17ROCPRIM_304000_NS6detail25onesweep_iteration_kernelINS1_34wrapped_radix_sort_onesweep_configINS0_14default_configEiN2at4cuda3cub6detail10OpaqueTypeILi8EEEEELb0EPKiPiPKSA_PSA_mNS0_19identity_decomposerEEEvT1_T2_T3_T4_jPT5_SO_PNS1_23onesweep_lookback_stateET6_jjj
	.p2align	8
	.type	_ZN7rocprim17ROCPRIM_304000_NS6detail25onesweep_iteration_kernelINS1_34wrapped_radix_sort_onesweep_configINS0_14default_configEiN2at4cuda3cub6detail10OpaqueTypeILi8EEEEELb0EPKiPiPKSA_PSA_mNS0_19identity_decomposerEEEvT1_T2_T3_T4_jPT5_SO_PNS1_23onesweep_lookback_stateET6_jjj,@function
_ZN7rocprim17ROCPRIM_304000_NS6detail25onesweep_iteration_kernelINS1_34wrapped_radix_sort_onesweep_configINS0_14default_configEiN2at4cuda3cub6detail10OpaqueTypeILi8EEEEELb0EPKiPiPKSA_PSA_mNS0_19identity_decomposerEEEvT1_T2_T3_T4_jPT5_SO_PNS1_23onesweep_lookback_stateET6_jjj: ; @_ZN7rocprim17ROCPRIM_304000_NS6detail25onesweep_iteration_kernelINS1_34wrapped_radix_sort_onesweep_configINS0_14default_configEiN2at4cuda3cub6detail10OpaqueTypeILi8EEEEELb0EPKiPiPKSA_PSA_mNS0_19identity_decomposerEEEvT1_T2_T3_T4_jPT5_SO_PNS1_23onesweep_lookback_stateET6_jjj
; %bb.0:
	s_load_dwordx8 s[52:59], s[0:1], 0x0
	s_load_dwordx4 s[64:67], s[0:1], 0x44
	s_load_dwordx4 s[60:63], s[0:1], 0x28
	s_load_dwordx2 s[70:71], s[0:1], 0x38
	s_mov_b32 s3, s2
	s_mov_b64 s[4:5], -1
	s_waitcnt lgkmcnt(0)
	s_cmp_ge_u32 s2, s66
	s_mul_i32 s68, s2, 0xc00
	v_mbcnt_lo_u32_b32 v1, -1, 0
	s_cbranch_scc0 .LBB96_152
; %bb.1:
	s_load_dword s6, s[0:1], 0x20
	s_mulk_i32 s66, 0xf400
	s_mov_b32 s69, 0
	s_lshl_b64 s[4:5], s[68:69], 2
	v_mbcnt_hi_u32_b32 v14, -1, v1
	s_waitcnt lgkmcnt(0)
	s_add_i32 s66, s66, s6
	s_add_u32 s4, s52, s4
	v_and_b32_e32 v19, 0xc0, v0
	s_addc_u32 s5, s53, s5
	v_mul_u32_u24_e32 v3, 12, v19
	v_mov_b32_e32 v5, 0
	v_lshlrev_b32_e32 v4, 2, v14
	v_lshl_add_u64 v[6:7], s[4:5], 0, v[4:5]
	v_lshlrev_b32_e32 v4, 2, v3
	v_lshl_add_u64 v[4:5], v[6:7], 0, v[4:5]
	v_or_b32_e32 v6, v14, v3
	v_mov_b32_e32 v8, -1
	v_cmp_gt_u32_e32 vcc, s66, v6
	v_mov_b32_e32 v9, -1
	s_and_saveexec_b64 s[4:5], vcc
	s_cbranch_execz .LBB96_3
; %bb.2:
	global_load_dword v2, v[4:5], off
	s_waitcnt vmcnt(0)
	v_xor_b32_e32 v9, 0x80000000, v2
.LBB96_3:
	s_or_b64 exec, exec, s[4:5]
	v_add_u32_e32 v2, 64, v6
	v_cmp_gt_u32_e64 s[50:51], s66, v2
	s_and_saveexec_b64 s[4:5], s[50:51]
	s_cbranch_execz .LBB96_5
; %bb.4:
	global_load_dword v2, v[4:5], off offset:256
	s_waitcnt vmcnt(0)
	v_xor_b32_e32 v8, 0x80000000, v2
.LBB96_5:
	s_or_b64 exec, exec, s[4:5]
	v_add_u32_e32 v2, 0x80, v6
	v_cmp_gt_u32_e64 s[4:5], s66, v2
	v_mov_b32_e32 v10, -1
	v_mov_b32_e32 v11, -1
	s_and_saveexec_b64 s[6:7], s[4:5]
	s_cbranch_execz .LBB96_7
; %bb.6:
	global_load_dword v2, v[4:5], off offset:512
	s_waitcnt vmcnt(0)
	v_xor_b32_e32 v11, 0x80000000, v2
.LBB96_7:
	s_or_b64 exec, exec, s[6:7]
	v_add_u32_e32 v2, 0xc0, v6
	v_cmp_gt_u32_e64 s[6:7], s66, v2
	s_and_saveexec_b64 s[8:9], s[6:7]
	s_cbranch_execz .LBB96_9
; %bb.8:
	global_load_dword v2, v[4:5], off offset:768
	s_waitcnt vmcnt(0)
	v_xor_b32_e32 v10, 0x80000000, v2
.LBB96_9:
	s_or_b64 exec, exec, s[8:9]
	v_add_u32_e32 v2, 0x100, v6
	v_cmp_gt_u32_e64 s[8:9], s66, v2
	v_mov_b32_e32 v12, -1
	v_mov_b32_e32 v13, -1
	s_and_saveexec_b64 s[10:11], s[8:9]
	s_cbranch_execz .LBB96_11
; %bb.10:
	global_load_dword v2, v[4:5], off offset:1024
	s_waitcnt vmcnt(0)
	v_xor_b32_e32 v13, 0x80000000, v2
.LBB96_11:
	;; [unrolled: 22-line block ×5, first 2 shown]
	s_or_b64 exec, exec, s[14:15]
	v_add_u32_e32 v6, 0x2c0, v6
	v_and_b32_e32 v2, 0x3ff, v0
	v_cmp_gt_u32_e64 s[14:15], s66, v6
	s_and_saveexec_b64 s[24:25], s[14:15]
	s_cbranch_execz .LBB96_25
; %bb.24:
	global_load_dword v4, v[4:5], off offset:2816
	s_waitcnt vmcnt(0)
	v_xor_b32_e32 v20, 0x80000000, v4
.LBB96_25:
	s_or_b64 exec, exec, s[24:25]
	s_load_dword s24, s[0:1], 0x5c
	s_load_dword s33, s[0:1], 0x50
	s_add_u32 s25, s0, 0x50
	s_addc_u32 s26, s1, 0
	v_mov_b32_e32 v5, 0
	s_waitcnt lgkmcnt(0)
	s_lshr_b32 s27, s24, 16
	s_cmp_lt_u32 s2, s33
	s_cselect_b32 s24, 12, 18
	s_add_u32 s24, s25, s24
	s_addc_u32 s25, s26, 0
	global_load_ushort v23, v5, s[24:25]
	v_lshrrev_b32_e32 v25, s64, v9
	s_lshl_b32 s24, -1, s65
	v_bfe_u32 v4, v0, 10, 10
	v_bfe_u32 v7, v0, 20, 10
	v_bitop3_b32 v35, v25, s24, v25 bitop3:0x30
	v_mad_u32_u24 v38, v7, s27, v4
	v_and_b32_e32 v4, 1, v35
	v_lshlrev_b32_e32 v7, 30, v35
	v_mov_b32_e32 v6, v5
	v_mov_b32_e32 v26, v5
	s_not_b32 s72, s24
	v_lshlrev_b32_e32 v25, 29, v35
	v_lshlrev_b32_e32 v27, 28, v35
	v_lshl_add_u64 v[36:37], v[4:5], 0, -1
	v_cmp_ne_u32_e64 s[24:25], 0, v4
	v_not_b32_e32 v4, v7
	v_mov_b32_e32 v24, v5
	v_mov_b32_e32 v28, v5
	v_lshlrev_b32_e32 v29, 27, v35
	v_cmp_gt_i64_e64 s[26:27], 0, v[6:7]
	v_not_b32_e32 v6, v25
	v_cmp_gt_i64_e64 s[30:31], 0, v[26:27]
	v_not_b32_e32 v7, v27
	v_xor_b32_e32 v27, s25, v37
	v_ashrrev_i32_e32 v4, 31, v4
	v_mov_b32_e32 v30, v5
	v_lshlrev_b32_e32 v31, 26, v35
	v_cmp_gt_i64_e64 s[28:29], 0, v[24:25]
	v_cmp_gt_i64_e64 s[34:35], 0, v[28:29]
	v_not_b32_e32 v24, v29
	v_xor_b32_e32 v28, s24, v36
	v_ashrrev_i32_e32 v6, 31, v6
	v_and_b32_e32 v27, exec_hi, v27
	v_xor_b32_e32 v29, s27, v4
	v_cmp_gt_i64_e64 s[36:37], 0, v[30:31]
	v_ashrrev_i32_e32 v7, 31, v7
	v_and_b32_e32 v28, exec_lo, v28
	v_xor_b32_e32 v4, s26, v4
	v_xor_b32_e32 v30, s29, v6
	v_and_b32_e32 v27, v27, v29
	v_mov_b32_e32 v32, v5
	v_lshlrev_b32_e32 v33, 25, v35
	v_not_b32_e32 v25, v31
	v_ashrrev_i32_e32 v24, 31, v24
	v_xor_b32_e32 v6, s28, v6
	v_xor_b32_e32 v31, s31, v7
	v_and_b32_e32 v4, v28, v4
	v_and_b32_e32 v27, v27, v30
	v_cmp_gt_i64_e64 s[38:39], 0, v[32:33]
	v_not_b32_e32 v26, v33
	v_ashrrev_i32_e32 v25, 31, v25
	v_xor_b32_e32 v7, s30, v7
	v_xor_b32_e32 v32, s35, v24
	v_and_b32_e32 v4, v4, v6
	v_and_b32_e32 v6, v27, v31
	v_ashrrev_i32_e32 v26, 31, v26
	v_xor_b32_e32 v24, s34, v24
	v_xor_b32_e32 v33, s37, v25
	v_and_b32_e32 v4, v4, v7
	v_and_b32_e32 v6, v6, v32
	v_xor_b32_e32 v25, s36, v25
	v_xor_b32_e32 v36, s39, v26
	v_and_b32_e32 v4, v4, v24
	v_and_b32_e32 v6, v6, v33
	v_mul_lo_u32 v39, v35, 20
	v_lshlrev_b32_e32 v35, 24, v35
	v_and_b32_e32 v4, v4, v25
	v_and_b32_e32 v25, v6, v36
	v_mov_b32_e32 v34, v5
	v_xor_b32_e32 v26, s38, v26
	v_and_b32_e32 v4, v4, v26
	v_mul_u32_u24_e32 v22, 20, v2
	ds_write2_b32 v22, v5, v5 offset0:4 offset1:5
	ds_write2_b32 v22, v5, v5 offset0:6 offset1:7
	ds_write_b32 v22, v5 offset:32
	s_waitcnt lgkmcnt(0)
	s_barrier
	s_waitcnt vmcnt(0)
	; wave barrier
	v_mad_u64_u32 v[6:7], s[24:25], v38, v23, v[2:3]
	v_lshrrev_b32_e32 v32, 6, v6
	v_not_b32_e32 v6, v35
	v_cmp_gt_i64_e64 s[24:25], 0, v[34:35]
	v_ashrrev_i32_e32 v6, 31, v6
	v_lshl_add_u32 v24, v32, 2, v39
	v_xor_b32_e32 v7, s25, v6
	v_xor_b32_e32 v6, s24, v6
	v_and_b32_e32 v6, v4, v6
	v_and_b32_e32 v7, v25, v7
	v_mbcnt_lo_u32_b32 v4, v6, 0
	v_mbcnt_hi_u32_b32 v23, v7, v4
	v_cmp_eq_u32_e64 s[24:25], 0, v23
	v_cmp_ne_u64_e64 s[26:27], 0, v[6:7]
	s_and_b64 s[26:27], s[26:27], s[24:25]
	s_and_saveexec_b64 s[24:25], s[26:27]
; %bb.26:
	v_bcnt_u32_b32 v4, v6, 0
	v_bcnt_u32_b32 v4, v7, v4
	ds_write_b32 v24, v4 offset:16
; %bb.27:
	s_or_b64 exec, exec, s[24:25]
	v_lshrrev_b32_e32 v4, s64, v8
	v_and_b32_e32 v27, s72, v4
	v_mul_lo_u32 v4, v27, 20
	v_lshl_add_u32 v26, v32, 2, v4
	v_and_b32_e32 v4, 1, v27
	v_lshl_add_u64 v[6:7], v[4:5], 0, -1
	v_cmp_ne_u32_e64 s[24:25], 0, v4
	; wave barrier
	s_nop 1
	v_xor_b32_e32 v6, s24, v6
	v_xor_b32_e32 v4, s25, v7
	v_and_b32_e32 v28, exec_lo, v6
	v_lshlrev_b32_e32 v7, 30, v27
	v_mov_b32_e32 v6, v5
	v_cmp_gt_i64_e64 s[24:25], 0, v[6:7]
	v_not_b32_e32 v6, v7
	v_ashrrev_i32_e32 v6, 31, v6
	v_and_b32_e32 v4, exec_hi, v4
	v_xor_b32_e32 v7, s25, v6
	v_xor_b32_e32 v6, s24, v6
	v_and_b32_e32 v4, v4, v7
	v_and_b32_e32 v28, v28, v6
	v_lshlrev_b32_e32 v7, 29, v27
	v_mov_b32_e32 v6, v5
	v_cmp_gt_i64_e64 s[24:25], 0, v[6:7]
	v_not_b32_e32 v6, v7
	v_ashrrev_i32_e32 v6, 31, v6
	v_xor_b32_e32 v7, s25, v6
	v_xor_b32_e32 v6, s24, v6
	v_and_b32_e32 v4, v4, v7
	v_and_b32_e32 v28, v28, v6
	v_lshlrev_b32_e32 v7, 28, v27
	v_mov_b32_e32 v6, v5
	v_cmp_gt_i64_e64 s[24:25], 0, v[6:7]
	v_not_b32_e32 v6, v7
	v_ashrrev_i32_e32 v6, 31, v6
	;; [unrolled: 9-line block ×5, first 2 shown]
	v_xor_b32_e32 v7, s25, v6
	v_xor_b32_e32 v6, s24, v6
	v_and_b32_e32 v4, v4, v7
	v_lshlrev_b32_e32 v7, 24, v27
	v_and_b32_e32 v28, v28, v6
	v_mov_b32_e32 v6, v5
	v_not_b32_e32 v5, v7
	v_cmp_gt_i64_e64 s[24:25], 0, v[6:7]
	v_ashrrev_i32_e32 v5, 31, v5
	ds_read_b32 v25, v26 offset:16
	v_xor_b32_e32 v6, s25, v5
	v_xor_b32_e32 v7, s24, v5
	v_and_b32_e32 v5, v4, v6
	v_and_b32_e32 v4, v28, v7
	v_mbcnt_lo_u32_b32 v6, v4, 0
	v_mbcnt_hi_u32_b32 v27, v5, v6
	v_cmp_eq_u32_e64 s[24:25], 0, v27
	v_cmp_ne_u64_e64 s[26:27], 0, v[4:5]
	s_and_b64 s[26:27], s[26:27], s[24:25]
	; wave barrier
	s_and_saveexec_b64 s[24:25], s[26:27]
	s_cbranch_execz .LBB96_29
; %bb.28:
	v_bcnt_u32_b32 v4, v4, 0
	v_bcnt_u32_b32 v4, v5, v4
	s_waitcnt lgkmcnt(0)
	v_add_u32_e32 v4, v25, v4
	ds_write_b32 v26, v4 offset:16
.LBB96_29:
	s_or_b64 exec, exec, s[24:25]
	v_lshrrev_b32_e32 v4, s64, v11
	v_and_b32_e32 v30, s72, v4
	v_mul_lo_u32 v4, v30, 20
	v_lshl_add_u32 v29, v32, 2, v4
	v_and_b32_e32 v4, 1, v30
	v_mov_b32_e32 v5, 0
	v_lshl_add_u64 v[6:7], v[4:5], 0, -1
	v_cmp_ne_u32_e64 s[24:25], 0, v4
	; wave barrier
	s_nop 1
	v_xor_b32_e32 v6, s24, v6
	v_xor_b32_e32 v4, s25, v7
	v_and_b32_e32 v31, exec_lo, v6
	v_lshlrev_b32_e32 v7, 30, v30
	v_mov_b32_e32 v6, v5
	v_cmp_gt_i64_e64 s[24:25], 0, v[6:7]
	v_not_b32_e32 v6, v7
	v_ashrrev_i32_e32 v6, 31, v6
	v_and_b32_e32 v4, exec_hi, v4
	v_xor_b32_e32 v7, s25, v6
	v_xor_b32_e32 v6, s24, v6
	v_and_b32_e32 v4, v4, v7
	v_and_b32_e32 v31, v31, v6
	v_lshlrev_b32_e32 v7, 29, v30
	v_mov_b32_e32 v6, v5
	v_cmp_gt_i64_e64 s[24:25], 0, v[6:7]
	v_not_b32_e32 v6, v7
	v_ashrrev_i32_e32 v6, 31, v6
	v_xor_b32_e32 v7, s25, v6
	v_xor_b32_e32 v6, s24, v6
	v_and_b32_e32 v4, v4, v7
	v_and_b32_e32 v31, v31, v6
	v_lshlrev_b32_e32 v7, 28, v30
	v_mov_b32_e32 v6, v5
	v_cmp_gt_i64_e64 s[24:25], 0, v[6:7]
	v_not_b32_e32 v6, v7
	v_ashrrev_i32_e32 v6, 31, v6
	;; [unrolled: 9-line block ×6, first 2 shown]
	v_xor_b32_e32 v7, s25, v6
	v_xor_b32_e32 v6, s24, v6
	ds_read_b32 v28, v29 offset:16
	v_and_b32_e32 v6, v31, v6
	v_and_b32_e32 v7, v4, v7
	v_mbcnt_lo_u32_b32 v4, v6, 0
	v_mbcnt_hi_u32_b32 v30, v7, v4
	v_cmp_eq_u32_e64 s[24:25], 0, v30
	v_cmp_ne_u64_e64 s[26:27], 0, v[6:7]
	s_and_b64 s[26:27], s[26:27], s[24:25]
	; wave barrier
	s_and_saveexec_b64 s[24:25], s[26:27]
	s_cbranch_execz .LBB96_31
; %bb.30:
	v_bcnt_u32_b32 v4, v6, 0
	v_bcnt_u32_b32 v4, v7, v4
	s_waitcnt lgkmcnt(0)
	v_add_u32_e32 v4, v28, v4
	ds_write_b32 v29, v4 offset:16
.LBB96_31:
	s_or_b64 exec, exec, s[24:25]
	v_lshrrev_b32_e32 v4, s64, v10
	v_and_b32_e32 v34, s72, v4
	v_mul_lo_u32 v4, v34, 20
	v_lshl_add_u32 v33, v32, 2, v4
	v_and_b32_e32 v4, 1, v34
	v_lshl_add_u64 v[6:7], v[4:5], 0, -1
	v_cmp_ne_u32_e64 s[24:25], 0, v4
	; wave barrier
	s_nop 1
	v_xor_b32_e32 v6, s24, v6
	v_xor_b32_e32 v4, s25, v7
	v_and_b32_e32 v35, exec_lo, v6
	v_lshlrev_b32_e32 v7, 30, v34
	v_mov_b32_e32 v6, v5
	v_cmp_gt_i64_e64 s[24:25], 0, v[6:7]
	v_not_b32_e32 v6, v7
	v_ashrrev_i32_e32 v6, 31, v6
	v_and_b32_e32 v4, exec_hi, v4
	v_xor_b32_e32 v7, s25, v6
	v_xor_b32_e32 v6, s24, v6
	v_and_b32_e32 v4, v4, v7
	v_and_b32_e32 v35, v35, v6
	v_lshlrev_b32_e32 v7, 29, v34
	v_mov_b32_e32 v6, v5
	v_cmp_gt_i64_e64 s[24:25], 0, v[6:7]
	v_not_b32_e32 v6, v7
	v_ashrrev_i32_e32 v6, 31, v6
	v_xor_b32_e32 v7, s25, v6
	v_xor_b32_e32 v6, s24, v6
	v_and_b32_e32 v4, v4, v7
	v_and_b32_e32 v35, v35, v6
	v_lshlrev_b32_e32 v7, 28, v34
	v_mov_b32_e32 v6, v5
	v_cmp_gt_i64_e64 s[24:25], 0, v[6:7]
	v_not_b32_e32 v6, v7
	v_ashrrev_i32_e32 v6, 31, v6
	;; [unrolled: 9-line block ×5, first 2 shown]
	v_xor_b32_e32 v7, s25, v6
	v_xor_b32_e32 v6, s24, v6
	v_and_b32_e32 v4, v4, v7
	v_lshlrev_b32_e32 v7, 24, v34
	v_and_b32_e32 v35, v35, v6
	v_mov_b32_e32 v6, v5
	v_not_b32_e32 v5, v7
	v_cmp_gt_i64_e64 s[24:25], 0, v[6:7]
	v_ashrrev_i32_e32 v5, 31, v5
	ds_read_b32 v31, v33 offset:16
	v_xor_b32_e32 v6, s25, v5
	v_xor_b32_e32 v7, s24, v5
	v_and_b32_e32 v5, v4, v6
	v_and_b32_e32 v4, v35, v7
	v_mbcnt_lo_u32_b32 v6, v4, 0
	v_mbcnt_hi_u32_b32 v34, v5, v6
	v_cmp_eq_u32_e64 s[24:25], 0, v34
	v_cmp_ne_u64_e64 s[26:27], 0, v[4:5]
	s_and_b64 s[26:27], s[26:27], s[24:25]
	; wave barrier
	s_and_saveexec_b64 s[24:25], s[26:27]
	s_cbranch_execz .LBB96_33
; %bb.32:
	v_bcnt_u32_b32 v4, v4, 0
	v_bcnt_u32_b32 v4, v5, v4
	s_waitcnt lgkmcnt(0)
	v_add_u32_e32 v4, v31, v4
	ds_write_b32 v33, v4 offset:16
.LBB96_33:
	s_or_b64 exec, exec, s[24:25]
	v_lshrrev_b32_e32 v4, s64, v13
	v_and_b32_e32 v37, s72, v4
	v_mul_lo_u32 v4, v37, 20
	v_lshl_add_u32 v36, v32, 2, v4
	v_and_b32_e32 v4, 1, v37
	v_mov_b32_e32 v5, 0
	v_lshl_add_u64 v[6:7], v[4:5], 0, -1
	v_cmp_ne_u32_e64 s[24:25], 0, v4
	; wave barrier
	s_nop 1
	v_xor_b32_e32 v6, s24, v6
	v_xor_b32_e32 v4, s25, v7
	v_and_b32_e32 v38, exec_lo, v6
	v_lshlrev_b32_e32 v7, 30, v37
	v_mov_b32_e32 v6, v5
	v_cmp_gt_i64_e64 s[24:25], 0, v[6:7]
	v_not_b32_e32 v6, v7
	v_ashrrev_i32_e32 v6, 31, v6
	v_and_b32_e32 v4, exec_hi, v4
	v_xor_b32_e32 v7, s25, v6
	v_xor_b32_e32 v6, s24, v6
	v_and_b32_e32 v4, v4, v7
	v_and_b32_e32 v38, v38, v6
	v_lshlrev_b32_e32 v7, 29, v37
	v_mov_b32_e32 v6, v5
	v_cmp_gt_i64_e64 s[24:25], 0, v[6:7]
	v_not_b32_e32 v6, v7
	v_ashrrev_i32_e32 v6, 31, v6
	v_xor_b32_e32 v7, s25, v6
	v_xor_b32_e32 v6, s24, v6
	v_and_b32_e32 v4, v4, v7
	v_and_b32_e32 v38, v38, v6
	v_lshlrev_b32_e32 v7, 28, v37
	v_mov_b32_e32 v6, v5
	v_cmp_gt_i64_e64 s[24:25], 0, v[6:7]
	v_not_b32_e32 v6, v7
	v_ashrrev_i32_e32 v6, 31, v6
	;; [unrolled: 9-line block ×6, first 2 shown]
	v_xor_b32_e32 v7, s25, v6
	v_xor_b32_e32 v6, s24, v6
	ds_read_b32 v35, v36 offset:16
	v_and_b32_e32 v6, v38, v6
	v_and_b32_e32 v7, v4, v7
	v_mbcnt_lo_u32_b32 v4, v6, 0
	v_mbcnt_hi_u32_b32 v37, v7, v4
	v_cmp_eq_u32_e64 s[24:25], 0, v37
	v_cmp_ne_u64_e64 s[26:27], 0, v[6:7]
	s_and_b64 s[26:27], s[26:27], s[24:25]
	; wave barrier
	s_and_saveexec_b64 s[24:25], s[26:27]
	s_cbranch_execz .LBB96_35
; %bb.34:
	v_bcnt_u32_b32 v4, v6, 0
	v_bcnt_u32_b32 v4, v7, v4
	s_waitcnt lgkmcnt(0)
	v_add_u32_e32 v4, v35, v4
	ds_write_b32 v36, v4 offset:16
.LBB96_35:
	s_or_b64 exec, exec, s[24:25]
	v_lshrrev_b32_e32 v4, s64, v12
	v_and_b32_e32 v40, s72, v4
	v_mul_lo_u32 v4, v40, 20
	v_lshl_add_u32 v39, v32, 2, v4
	v_and_b32_e32 v4, 1, v40
	v_lshl_add_u64 v[6:7], v[4:5], 0, -1
	v_cmp_ne_u32_e64 s[24:25], 0, v4
	; wave barrier
	s_nop 1
	v_xor_b32_e32 v6, s24, v6
	v_xor_b32_e32 v4, s25, v7
	v_and_b32_e32 v41, exec_lo, v6
	v_lshlrev_b32_e32 v7, 30, v40
	v_mov_b32_e32 v6, v5
	v_cmp_gt_i64_e64 s[24:25], 0, v[6:7]
	v_not_b32_e32 v6, v7
	v_ashrrev_i32_e32 v6, 31, v6
	v_and_b32_e32 v4, exec_hi, v4
	v_xor_b32_e32 v7, s25, v6
	v_xor_b32_e32 v6, s24, v6
	v_and_b32_e32 v4, v4, v7
	v_and_b32_e32 v41, v41, v6
	v_lshlrev_b32_e32 v7, 29, v40
	v_mov_b32_e32 v6, v5
	v_cmp_gt_i64_e64 s[24:25], 0, v[6:7]
	v_not_b32_e32 v6, v7
	v_ashrrev_i32_e32 v6, 31, v6
	v_xor_b32_e32 v7, s25, v6
	v_xor_b32_e32 v6, s24, v6
	v_and_b32_e32 v4, v4, v7
	v_and_b32_e32 v41, v41, v6
	v_lshlrev_b32_e32 v7, 28, v40
	v_mov_b32_e32 v6, v5
	v_cmp_gt_i64_e64 s[24:25], 0, v[6:7]
	v_not_b32_e32 v6, v7
	v_ashrrev_i32_e32 v6, 31, v6
	;; [unrolled: 9-line block ×5, first 2 shown]
	v_xor_b32_e32 v7, s25, v6
	v_xor_b32_e32 v6, s24, v6
	v_and_b32_e32 v4, v4, v7
	v_lshlrev_b32_e32 v7, 24, v40
	v_and_b32_e32 v41, v41, v6
	v_mov_b32_e32 v6, v5
	v_not_b32_e32 v5, v7
	v_cmp_gt_i64_e64 s[24:25], 0, v[6:7]
	v_ashrrev_i32_e32 v5, 31, v5
	ds_read_b32 v38, v39 offset:16
	v_xor_b32_e32 v6, s25, v5
	v_xor_b32_e32 v7, s24, v5
	v_and_b32_e32 v5, v4, v6
	v_and_b32_e32 v4, v41, v7
	v_mbcnt_lo_u32_b32 v6, v4, 0
	v_mbcnt_hi_u32_b32 v40, v5, v6
	v_cmp_eq_u32_e64 s[24:25], 0, v40
	v_cmp_ne_u64_e64 s[26:27], 0, v[4:5]
	s_and_b64 s[26:27], s[26:27], s[24:25]
	; wave barrier
	s_and_saveexec_b64 s[24:25], s[26:27]
	s_cbranch_execz .LBB96_37
; %bb.36:
	v_bcnt_u32_b32 v4, v4, 0
	v_bcnt_u32_b32 v4, v5, v4
	s_waitcnt lgkmcnt(0)
	v_add_u32_e32 v4, v38, v4
	ds_write_b32 v39, v4 offset:16
.LBB96_37:
	s_or_b64 exec, exec, s[24:25]
	v_lshrrev_b32_e32 v4, s64, v16
	v_and_b32_e32 v43, s72, v4
	v_mul_lo_u32 v4, v43, 20
	v_lshl_add_u32 v42, v32, 2, v4
	v_and_b32_e32 v4, 1, v43
	v_mov_b32_e32 v5, 0
	v_lshl_add_u64 v[6:7], v[4:5], 0, -1
	v_cmp_ne_u32_e64 s[24:25], 0, v4
	; wave barrier
	s_nop 1
	v_xor_b32_e32 v6, s24, v6
	v_xor_b32_e32 v4, s25, v7
	v_and_b32_e32 v44, exec_lo, v6
	v_lshlrev_b32_e32 v7, 30, v43
	v_mov_b32_e32 v6, v5
	v_cmp_gt_i64_e64 s[24:25], 0, v[6:7]
	v_not_b32_e32 v6, v7
	v_ashrrev_i32_e32 v6, 31, v6
	v_and_b32_e32 v4, exec_hi, v4
	v_xor_b32_e32 v7, s25, v6
	v_xor_b32_e32 v6, s24, v6
	v_and_b32_e32 v4, v4, v7
	v_and_b32_e32 v44, v44, v6
	v_lshlrev_b32_e32 v7, 29, v43
	v_mov_b32_e32 v6, v5
	v_cmp_gt_i64_e64 s[24:25], 0, v[6:7]
	v_not_b32_e32 v6, v7
	v_ashrrev_i32_e32 v6, 31, v6
	v_xor_b32_e32 v7, s25, v6
	v_xor_b32_e32 v6, s24, v6
	v_and_b32_e32 v4, v4, v7
	v_and_b32_e32 v44, v44, v6
	v_lshlrev_b32_e32 v7, 28, v43
	v_mov_b32_e32 v6, v5
	v_cmp_gt_i64_e64 s[24:25], 0, v[6:7]
	v_not_b32_e32 v6, v7
	v_ashrrev_i32_e32 v6, 31, v6
	;; [unrolled: 9-line block ×6, first 2 shown]
	v_xor_b32_e32 v7, s25, v6
	v_xor_b32_e32 v6, s24, v6
	ds_read_b32 v41, v42 offset:16
	v_and_b32_e32 v6, v44, v6
	v_and_b32_e32 v7, v4, v7
	v_mbcnt_lo_u32_b32 v4, v6, 0
	v_mbcnt_hi_u32_b32 v43, v7, v4
	v_cmp_eq_u32_e64 s[24:25], 0, v43
	v_cmp_ne_u64_e64 s[26:27], 0, v[6:7]
	s_and_b64 s[26:27], s[26:27], s[24:25]
	; wave barrier
	s_and_saveexec_b64 s[24:25], s[26:27]
	s_cbranch_execz .LBB96_39
; %bb.38:
	v_bcnt_u32_b32 v4, v6, 0
	v_bcnt_u32_b32 v4, v7, v4
	s_waitcnt lgkmcnt(0)
	v_add_u32_e32 v4, v41, v4
	ds_write_b32 v42, v4 offset:16
.LBB96_39:
	s_or_b64 exec, exec, s[24:25]
	v_lshrrev_b32_e32 v4, s64, v15
	v_and_b32_e32 v46, s72, v4
	v_mul_lo_u32 v4, v46, 20
	v_lshl_add_u32 v45, v32, 2, v4
	v_and_b32_e32 v4, 1, v46
	v_lshl_add_u64 v[6:7], v[4:5], 0, -1
	v_cmp_ne_u32_e64 s[24:25], 0, v4
	; wave barrier
	s_nop 1
	v_xor_b32_e32 v6, s24, v6
	v_xor_b32_e32 v4, s25, v7
	v_and_b32_e32 v47, exec_lo, v6
	v_lshlrev_b32_e32 v7, 30, v46
	v_mov_b32_e32 v6, v5
	v_cmp_gt_i64_e64 s[24:25], 0, v[6:7]
	v_not_b32_e32 v6, v7
	v_ashrrev_i32_e32 v6, 31, v6
	v_and_b32_e32 v4, exec_hi, v4
	v_xor_b32_e32 v7, s25, v6
	v_xor_b32_e32 v6, s24, v6
	v_and_b32_e32 v4, v4, v7
	v_and_b32_e32 v47, v47, v6
	v_lshlrev_b32_e32 v7, 29, v46
	v_mov_b32_e32 v6, v5
	v_cmp_gt_i64_e64 s[24:25], 0, v[6:7]
	v_not_b32_e32 v6, v7
	v_ashrrev_i32_e32 v6, 31, v6
	v_xor_b32_e32 v7, s25, v6
	v_xor_b32_e32 v6, s24, v6
	v_and_b32_e32 v4, v4, v7
	v_and_b32_e32 v47, v47, v6
	v_lshlrev_b32_e32 v7, 28, v46
	v_mov_b32_e32 v6, v5
	v_cmp_gt_i64_e64 s[24:25], 0, v[6:7]
	v_not_b32_e32 v6, v7
	v_ashrrev_i32_e32 v6, 31, v6
	;; [unrolled: 9-line block ×5, first 2 shown]
	v_xor_b32_e32 v7, s25, v6
	v_xor_b32_e32 v6, s24, v6
	v_and_b32_e32 v4, v4, v7
	v_lshlrev_b32_e32 v7, 24, v46
	v_and_b32_e32 v47, v47, v6
	v_mov_b32_e32 v6, v5
	v_not_b32_e32 v5, v7
	v_cmp_gt_i64_e64 s[24:25], 0, v[6:7]
	v_ashrrev_i32_e32 v5, 31, v5
	ds_read_b32 v44, v45 offset:16
	v_xor_b32_e32 v6, s25, v5
	v_xor_b32_e32 v7, s24, v5
	v_and_b32_e32 v5, v4, v6
	v_and_b32_e32 v4, v47, v7
	v_mbcnt_lo_u32_b32 v6, v4, 0
	v_mbcnt_hi_u32_b32 v46, v5, v6
	v_cmp_eq_u32_e64 s[24:25], 0, v46
	v_cmp_ne_u64_e64 s[26:27], 0, v[4:5]
	s_and_b64 s[26:27], s[26:27], s[24:25]
	; wave barrier
	s_and_saveexec_b64 s[24:25], s[26:27]
	s_cbranch_execz .LBB96_41
; %bb.40:
	v_bcnt_u32_b32 v4, v4, 0
	v_bcnt_u32_b32 v4, v5, v4
	s_waitcnt lgkmcnt(0)
	v_add_u32_e32 v4, v44, v4
	ds_write_b32 v45, v4 offset:16
.LBB96_41:
	s_or_b64 exec, exec, s[24:25]
	v_lshrrev_b32_e32 v4, s64, v18
	v_and_b32_e32 v49, s72, v4
	v_mul_lo_u32 v4, v49, 20
	v_lshl_add_u32 v48, v32, 2, v4
	v_and_b32_e32 v4, 1, v49
	v_mov_b32_e32 v5, 0
	v_lshl_add_u64 v[6:7], v[4:5], 0, -1
	v_cmp_ne_u32_e64 s[24:25], 0, v4
	; wave barrier
	s_nop 1
	v_xor_b32_e32 v6, s24, v6
	v_xor_b32_e32 v4, s25, v7
	v_and_b32_e32 v50, exec_lo, v6
	v_lshlrev_b32_e32 v7, 30, v49
	v_mov_b32_e32 v6, v5
	v_cmp_gt_i64_e64 s[24:25], 0, v[6:7]
	v_not_b32_e32 v6, v7
	v_ashrrev_i32_e32 v6, 31, v6
	v_and_b32_e32 v4, exec_hi, v4
	v_xor_b32_e32 v7, s25, v6
	v_xor_b32_e32 v6, s24, v6
	v_and_b32_e32 v4, v4, v7
	v_and_b32_e32 v50, v50, v6
	v_lshlrev_b32_e32 v7, 29, v49
	v_mov_b32_e32 v6, v5
	v_cmp_gt_i64_e64 s[24:25], 0, v[6:7]
	v_not_b32_e32 v6, v7
	v_ashrrev_i32_e32 v6, 31, v6
	v_xor_b32_e32 v7, s25, v6
	v_xor_b32_e32 v6, s24, v6
	v_and_b32_e32 v4, v4, v7
	v_and_b32_e32 v50, v50, v6
	v_lshlrev_b32_e32 v7, 28, v49
	v_mov_b32_e32 v6, v5
	v_cmp_gt_i64_e64 s[24:25], 0, v[6:7]
	v_not_b32_e32 v6, v7
	v_ashrrev_i32_e32 v6, 31, v6
	;; [unrolled: 9-line block ×6, first 2 shown]
	v_xor_b32_e32 v7, s25, v6
	v_xor_b32_e32 v6, s24, v6
	ds_read_b32 v47, v48 offset:16
	v_and_b32_e32 v6, v50, v6
	v_and_b32_e32 v7, v4, v7
	v_mbcnt_lo_u32_b32 v4, v6, 0
	v_mbcnt_hi_u32_b32 v49, v7, v4
	v_cmp_eq_u32_e64 s[24:25], 0, v49
	v_cmp_ne_u64_e64 s[26:27], 0, v[6:7]
	s_and_b64 s[26:27], s[26:27], s[24:25]
	; wave barrier
	s_and_saveexec_b64 s[24:25], s[26:27]
	s_cbranch_execz .LBB96_43
; %bb.42:
	v_bcnt_u32_b32 v4, v6, 0
	v_bcnt_u32_b32 v4, v7, v4
	s_waitcnt lgkmcnt(0)
	v_add_u32_e32 v4, v47, v4
	ds_write_b32 v48, v4 offset:16
.LBB96_43:
	s_or_b64 exec, exec, s[24:25]
	v_lshrrev_b32_e32 v4, s64, v17
	v_and_b32_e32 v52, s72, v4
	v_mul_lo_u32 v4, v52, 20
	v_lshl_add_u32 v51, v32, 2, v4
	v_and_b32_e32 v4, 1, v52
	v_lshl_add_u64 v[6:7], v[4:5], 0, -1
	v_cmp_ne_u32_e64 s[24:25], 0, v4
	; wave barrier
	s_nop 1
	v_xor_b32_e32 v6, s24, v6
	v_xor_b32_e32 v4, s25, v7
	v_and_b32_e32 v53, exec_lo, v6
	v_lshlrev_b32_e32 v7, 30, v52
	v_mov_b32_e32 v6, v5
	v_cmp_gt_i64_e64 s[24:25], 0, v[6:7]
	v_not_b32_e32 v6, v7
	v_ashrrev_i32_e32 v6, 31, v6
	v_and_b32_e32 v4, exec_hi, v4
	v_xor_b32_e32 v7, s25, v6
	v_xor_b32_e32 v6, s24, v6
	v_and_b32_e32 v4, v4, v7
	v_and_b32_e32 v53, v53, v6
	v_lshlrev_b32_e32 v7, 29, v52
	v_mov_b32_e32 v6, v5
	v_cmp_gt_i64_e64 s[24:25], 0, v[6:7]
	v_not_b32_e32 v6, v7
	v_ashrrev_i32_e32 v6, 31, v6
	v_xor_b32_e32 v7, s25, v6
	v_xor_b32_e32 v6, s24, v6
	v_and_b32_e32 v4, v4, v7
	v_and_b32_e32 v53, v53, v6
	v_lshlrev_b32_e32 v7, 28, v52
	v_mov_b32_e32 v6, v5
	v_cmp_gt_i64_e64 s[24:25], 0, v[6:7]
	v_not_b32_e32 v6, v7
	v_ashrrev_i32_e32 v6, 31, v6
	;; [unrolled: 9-line block ×5, first 2 shown]
	v_xor_b32_e32 v7, s25, v6
	v_xor_b32_e32 v6, s24, v6
	v_and_b32_e32 v4, v4, v7
	v_lshlrev_b32_e32 v7, 24, v52
	v_and_b32_e32 v53, v53, v6
	v_mov_b32_e32 v6, v5
	v_not_b32_e32 v5, v7
	v_cmp_gt_i64_e64 s[24:25], 0, v[6:7]
	v_ashrrev_i32_e32 v5, 31, v5
	ds_read_b32 v50, v51 offset:16
	v_xor_b32_e32 v6, s25, v5
	v_xor_b32_e32 v7, s24, v5
	v_and_b32_e32 v5, v4, v6
	v_and_b32_e32 v4, v53, v7
	v_mbcnt_lo_u32_b32 v6, v4, 0
	v_mbcnt_hi_u32_b32 v52, v5, v6
	v_cmp_eq_u32_e64 s[24:25], 0, v52
	v_cmp_ne_u64_e64 s[26:27], 0, v[4:5]
	s_and_b64 s[26:27], s[26:27], s[24:25]
	; wave barrier
	s_and_saveexec_b64 s[24:25], s[26:27]
	s_cbranch_execz .LBB96_45
; %bb.44:
	v_bcnt_u32_b32 v4, v4, 0
	v_bcnt_u32_b32 v4, v5, v4
	s_waitcnt lgkmcnt(0)
	v_add_u32_e32 v4, v50, v4
	ds_write_b32 v51, v4 offset:16
.LBB96_45:
	s_or_b64 exec, exec, s[24:25]
	v_lshrrev_b32_e32 v4, s64, v21
	v_and_b32_e32 v55, s72, v4
	v_mul_lo_u32 v4, v55, 20
	v_lshl_add_u32 v54, v32, 2, v4
	v_and_b32_e32 v4, 1, v55
	v_mov_b32_e32 v5, 0
	v_lshl_add_u64 v[6:7], v[4:5], 0, -1
	v_cmp_ne_u32_e64 s[24:25], 0, v4
	; wave barrier
	s_nop 1
	v_xor_b32_e32 v6, s24, v6
	v_xor_b32_e32 v4, s25, v7
	v_and_b32_e32 v56, exec_lo, v6
	v_lshlrev_b32_e32 v7, 30, v55
	v_mov_b32_e32 v6, v5
	v_cmp_gt_i64_e64 s[24:25], 0, v[6:7]
	v_not_b32_e32 v6, v7
	v_ashrrev_i32_e32 v6, 31, v6
	v_and_b32_e32 v4, exec_hi, v4
	v_xor_b32_e32 v7, s25, v6
	v_xor_b32_e32 v6, s24, v6
	v_and_b32_e32 v4, v4, v7
	v_and_b32_e32 v56, v56, v6
	v_lshlrev_b32_e32 v7, 29, v55
	v_mov_b32_e32 v6, v5
	v_cmp_gt_i64_e64 s[24:25], 0, v[6:7]
	v_not_b32_e32 v6, v7
	v_ashrrev_i32_e32 v6, 31, v6
	v_xor_b32_e32 v7, s25, v6
	v_xor_b32_e32 v6, s24, v6
	v_and_b32_e32 v4, v4, v7
	v_and_b32_e32 v56, v56, v6
	v_lshlrev_b32_e32 v7, 28, v55
	v_mov_b32_e32 v6, v5
	v_cmp_gt_i64_e64 s[24:25], 0, v[6:7]
	v_not_b32_e32 v6, v7
	v_ashrrev_i32_e32 v6, 31, v6
	;; [unrolled: 9-line block ×6, first 2 shown]
	v_xor_b32_e32 v7, s25, v6
	v_xor_b32_e32 v6, s24, v6
	ds_read_b32 v53, v54 offset:16
	v_and_b32_e32 v6, v56, v6
	v_and_b32_e32 v7, v4, v7
	v_mbcnt_lo_u32_b32 v4, v6, 0
	v_mbcnt_hi_u32_b32 v55, v7, v4
	v_cmp_eq_u32_e64 s[24:25], 0, v55
	v_cmp_ne_u64_e64 s[26:27], 0, v[6:7]
	s_and_b64 s[26:27], s[26:27], s[24:25]
	; wave barrier
	s_and_saveexec_b64 s[24:25], s[26:27]
	s_cbranch_execz .LBB96_47
; %bb.46:
	v_bcnt_u32_b32 v4, v6, 0
	v_bcnt_u32_b32 v4, v7, v4
	s_waitcnt lgkmcnt(0)
	v_add_u32_e32 v4, v53, v4
	ds_write_b32 v54, v4 offset:16
.LBB96_47:
	s_or_b64 exec, exec, s[24:25]
	v_lshrrev_b32_e32 v4, s64, v20
	v_and_b32_e32 v57, s72, v4
	v_mul_lo_u32 v4, v57, 20
	v_lshl_add_u32 v32, v32, 2, v4
	v_and_b32_e32 v4, 1, v57
	v_lshl_add_u64 v[6:7], v[4:5], 0, -1
	v_cmp_ne_u32_e64 s[24:25], 0, v4
	; wave barrier
	s_nop 1
	v_xor_b32_e32 v6, s24, v6
	v_xor_b32_e32 v4, s25, v7
	v_and_b32_e32 v58, exec_lo, v6
	v_lshlrev_b32_e32 v7, 30, v57
	v_mov_b32_e32 v6, v5
	v_cmp_gt_i64_e64 s[24:25], 0, v[6:7]
	v_not_b32_e32 v6, v7
	v_ashrrev_i32_e32 v6, 31, v6
	v_and_b32_e32 v4, exec_hi, v4
	v_xor_b32_e32 v7, s25, v6
	v_xor_b32_e32 v6, s24, v6
	v_and_b32_e32 v4, v4, v7
	v_and_b32_e32 v58, v58, v6
	v_lshlrev_b32_e32 v7, 29, v57
	v_mov_b32_e32 v6, v5
	v_cmp_gt_i64_e64 s[24:25], 0, v[6:7]
	v_not_b32_e32 v6, v7
	v_ashrrev_i32_e32 v6, 31, v6
	v_xor_b32_e32 v7, s25, v6
	v_xor_b32_e32 v6, s24, v6
	v_and_b32_e32 v4, v4, v7
	v_and_b32_e32 v58, v58, v6
	v_lshlrev_b32_e32 v7, 28, v57
	v_mov_b32_e32 v6, v5
	v_cmp_gt_i64_e64 s[24:25], 0, v[6:7]
	v_not_b32_e32 v6, v7
	v_ashrrev_i32_e32 v6, 31, v6
	v_xor_b32_e32 v7, s25, v6
	v_xor_b32_e32 v6, s24, v6
	v_and_b32_e32 v4, v4, v7
	v_and_b32_e32 v58, v58, v6
	v_lshlrev_b32_e32 v7, 27, v57
	v_mov_b32_e32 v6, v5
	v_cmp_gt_i64_e64 s[24:25], 0, v[6:7]
	v_not_b32_e32 v6, v7
	v_ashrrev_i32_e32 v6, 31, v6
	v_xor_b32_e32 v7, s25, v6
	v_xor_b32_e32 v6, s24, v6
	v_and_b32_e32 v4, v4, v7
	v_and_b32_e32 v58, v58, v6
	v_lshlrev_b32_e32 v7, 26, v57
	v_mov_b32_e32 v6, v5
	v_cmp_gt_i64_e64 s[24:25], 0, v[6:7]
	v_not_b32_e32 v6, v7
	v_ashrrev_i32_e32 v6, 31, v6
	v_xor_b32_e32 v7, s25, v6
	v_xor_b32_e32 v6, s24, v6
	v_and_b32_e32 v4, v4, v7
	v_and_b32_e32 v58, v58, v6
	v_lshlrev_b32_e32 v7, 25, v57
	v_mov_b32_e32 v6, v5
	v_cmp_gt_i64_e64 s[24:25], 0, v[6:7]
	v_not_b32_e32 v6, v7
	v_ashrrev_i32_e32 v6, 31, v6
	v_xor_b32_e32 v7, s25, v6
	v_xor_b32_e32 v6, s24, v6
	v_and_b32_e32 v4, v4, v7
	v_lshlrev_b32_e32 v7, 24, v57
	v_and_b32_e32 v58, v58, v6
	v_mov_b32_e32 v6, v5
	v_not_b32_e32 v5, v7
	v_cmp_gt_i64_e64 s[24:25], 0, v[6:7]
	v_ashrrev_i32_e32 v5, 31, v5
	ds_read_b32 v56, v32 offset:16
	v_xor_b32_e32 v6, s25, v5
	v_xor_b32_e32 v7, s24, v5
	v_and_b32_e32 v5, v4, v6
	v_and_b32_e32 v4, v58, v7
	v_mbcnt_lo_u32_b32 v6, v4, 0
	v_mbcnt_hi_u32_b32 v57, v5, v6
	v_cmp_eq_u32_e64 s[24:25], 0, v57
	v_cmp_ne_u64_e64 s[26:27], 0, v[4:5]
	s_and_b64 s[26:27], s[26:27], s[24:25]
	; wave barrier
	s_and_saveexec_b64 s[24:25], s[26:27]
	s_cbranch_execz .LBB96_49
; %bb.48:
	v_bcnt_u32_b32 v4, v4, 0
	v_bcnt_u32_b32 v4, v5, v4
	s_waitcnt lgkmcnt(0)
	v_add_u32_e32 v4, v56, v4
	ds_write_b32 v32, v4 offset:16
.LBB96_49:
	s_or_b64 exec, exec, s[24:25]
	; wave barrier
	s_waitcnt lgkmcnt(0)
	s_barrier
	ds_read2_b32 v[6:7], v22 offset0:4 offset1:5
	ds_read2_b32 v[4:5], v22 offset0:6 offset1:7
	ds_read_b32 v58, v22 offset:32
	v_min_u32_e32 v19, 0xc0, v19
	v_or_b32_e32 v19, 63, v19
	s_waitcnt lgkmcnt(1)
	v_add3_u32 v59, v7, v6, v4
	s_waitcnt lgkmcnt(0)
	v_add3_u32 v58, v59, v5, v58
	v_and_b32_e32 v59, 15, v14
	v_cmp_ne_u32_e64 s[24:25], 0, v59
	v_mov_b32_dpp v60, v58 row_shr:1 row_mask:0xf bank_mask:0xf
	s_nop 0
	v_cndmask_b32_e64 v60, 0, v60, s[24:25]
	v_add_u32_e32 v58, v60, v58
	v_cmp_lt_u32_e64 s[24:25], 1, v59
	s_nop 0
	v_mov_b32_dpp v60, v58 row_shr:2 row_mask:0xf bank_mask:0xf
	v_cndmask_b32_e64 v60, 0, v60, s[24:25]
	v_add_u32_e32 v58, v58, v60
	v_cmp_lt_u32_e64 s[24:25], 3, v59
	s_nop 0
	v_mov_b32_dpp v60, v58 row_shr:4 row_mask:0xf bank_mask:0xf
	;; [unrolled: 5-line block ×3, first 2 shown]
	v_cndmask_b32_e64 v59, 0, v60, s[24:25]
	v_add_u32_e32 v58, v58, v59
	v_bfe_i32 v60, v14, 4, 1
	v_cmp_lt_u32_e64 s[24:25], 31, v14
	v_mov_b32_dpp v59, v58 row_bcast:15 row_mask:0xf bank_mask:0xf
	v_and_b32_e32 v59, v60, v59
	v_add_u32_e32 v58, v58, v59
	s_nop 1
	v_mov_b32_dpp v59, v58 row_bcast:31 row_mask:0xf bank_mask:0xf
	v_cndmask_b32_e64 v59, 0, v59, s[24:25]
	v_add_u32_e32 v58, v58, v59
	v_lshrrev_b32_e32 v59, 6, v2
	v_cmp_eq_u32_e64 s[24:25], v2, v19
	s_and_saveexec_b64 s[26:27], s[24:25]
; %bb.50:
	v_lshlrev_b32_e32 v19, 2, v59
	ds_write_b32 v19, v58
; %bb.51:
	s_or_b64 exec, exec, s[26:27]
	v_cmp_gt_u32_e64 s[24:25], 4, v2
	s_waitcnt lgkmcnt(0)
	s_barrier
	s_and_saveexec_b64 s[26:27], s[24:25]
	s_cbranch_execz .LBB96_53
; %bb.52:
	v_lshlrev_b32_e32 v19, 2, v2
	ds_read_b32 v60, v19
	v_and_b32_e32 v61, 3, v14
	v_cmp_ne_u32_e64 s[24:25], 0, v61
	s_waitcnt lgkmcnt(0)
	v_mov_b32_dpp v62, v60 row_shr:1 row_mask:0xf bank_mask:0xf
	v_cndmask_b32_e64 v62, 0, v62, s[24:25]
	v_add_u32_e32 v60, v62, v60
	v_cmp_lt_u32_e64 s[24:25], 1, v61
	s_nop 0
	v_mov_b32_dpp v62, v60 row_shr:2 row_mask:0xf bank_mask:0xf
	v_cndmask_b32_e64 v61, 0, v62, s[24:25]
	v_add_u32_e32 v60, v60, v61
	ds_write_b32 v19, v60
.LBB96_53:
	s_or_b64 exec, exec, s[26:27]
	v_cmp_lt_u32_e64 s[24:25], 63, v2
	v_mov_b32_e32 v19, 0
	s_waitcnt lgkmcnt(0)
	s_barrier
	s_and_saveexec_b64 s[26:27], s[24:25]
; %bb.54:
	v_lshl_add_u32 v19, v59, 2, -4
	ds_read_b32 v19, v19
; %bb.55:
	s_or_b64 exec, exec, s[26:27]
	v_add_u32_e32 v59, -1, v14
	v_and_b32_e32 v60, 64, v14
	v_cmp_lt_i32_e64 s[24:25], v59, v60
	s_waitcnt lgkmcnt(0)
	v_add_u32_e32 v58, v19, v58
	v_cndmask_b32_e64 v59, v59, v14, s[24:25]
	v_lshlrev_b32_e32 v59, 2, v59
	ds_bpermute_b32 v58, v59, v58
	v_cmp_eq_u32_e64 s[24:25], 0, v14
	s_waitcnt lgkmcnt(0)
	s_nop 0
	v_cndmask_b32_e64 v19, v58, v19, s[24:25]
	v_cmp_ne_u32_e64 s[24:25], 0, v2
	s_nop 1
	v_cndmask_b32_e64 v19, 0, v19, s[24:25]
	v_add_u32_e32 v6, v19, v6
	v_add_u32_e32 v7, v6, v7
	;; [unrolled: 1-line block ×4, first 2 shown]
	ds_write2_b32 v22, v19, v6 offset0:4 offset1:5
	ds_write2_b32 v22, v7, v4 offset0:6 offset1:7
	ds_write_b32 v22, v5 offset:32
	s_waitcnt lgkmcnt(0)
	s_barrier
	ds_read_b32 v6, v45 offset:16
	ds_read_b32 v7, v48 offset:16
	;; [unrolled: 1-line block ×13, first 2 shown]
	v_add_u32_e32 v22, 1, v2
	s_movk_i32 s24, 0x100
	v_cmp_ne_u32_e64 s[24:25], s24, v22
	v_mov_b32_e32 v5, 0xc00
	s_and_saveexec_b64 s[26:27], s[24:25]
; %bb.56:
	v_mul_u32_u24_e32 v5, 20, v22
	ds_read_b32 v5, v5 offset:16
; %bb.57:
	s_or_b64 exec, exec, s[26:27]
	s_waitcnt lgkmcnt(7)
	v_add_u32_e32 v33, v24, v23
	s_waitcnt lgkmcnt(6)
	v_add3_u32 v32, v27, v25, v26
	v_add3_u32 v24, v46, v44, v6
	v_lshlrev_b32_e32 v6, 2, v33
	s_waitcnt lgkmcnt(5)
	v_add3_u32 v29, v30, v28, v29
	s_waitcnt lgkmcnt(0)
	s_barrier
	ds_write_b32 v6, v9 offset:2048
	v_lshlrev_b32_e32 v6, 2, v32
	v_add3_u32 v28, v34, v31, v51
	ds_write_b32 v6, v8 offset:2048
	v_lshlrev_b32_e32 v6, 2, v29
	v_add3_u32 v27, v37, v35, v36
	;; [unrolled: 3-line block ×4, first 2 shown]
	ds_write_b32 v6, v13 offset:2048
	v_lshlrev_b32_e32 v6, 2, v26
	ds_write_b32 v6, v12 offset:2048
	v_lshlrev_b32_e32 v6, 2, v25
	v_add3_u32 v23, v49, v47, v7
	ds_write_b32 v6, v16 offset:2048
	v_lshlrev_b32_e32 v6, 2, v24
	v_add3_u32 v22, v52, v50, v19
	;; [unrolled: 3-line block ×4, first 2 shown]
	ds_write_b32 v6, v17 offset:2048
	v_lshlrev_b32_e32 v6, 2, v19
	ds_write_b32 v6, v21 offset:2048
	v_lshlrev_b32_e32 v6, 2, v7
	ds_write_b32 v6, v20 offset:2048
	v_sub_u32_e32 v6, v5, v4
	v_lshl_add_u32 v8, s2, 8, v2
	v_mov_b32_e32 v9, 0
	v_lshl_add_u64 v[10:11], v[8:9], 2, s[70:71]
	v_or_b32_e32 v5, 2.0, v6
	s_mov_b64 s[26:27], 0
	s_brev_b32 s34, -4
	s_mov_b32 s35, s3
	v_mov_b32_e32 v15, 0
	s_waitcnt lgkmcnt(0)
	s_barrier
	global_store_dword v[10:11], v5, off sc1
                                        ; implicit-def: $sgpr24_sgpr25
	s_branch .LBB96_60
.LBB96_58:                              ;   in Loop: Header=BB96_60 Depth=1
	s_or_b64 exec, exec, s[30:31]
.LBB96_59:                              ;   in Loop: Header=BB96_60 Depth=1
	s_or_b64 exec, exec, s[28:29]
	v_and_b32_e32 v8, 0x3fffffff, v5
	v_add_u32_e32 v15, v8, v15
	v_cmp_gt_i32_e64 s[24:25], -2.0, v5
	s_and_b64 s[28:29], exec, s[24:25]
	s_or_b64 s[26:27], s[28:29], s[26:27]
	s_andn2_b64 exec, exec, s[26:27]
	s_cbranch_execz .LBB96_65
.LBB96_60:                              ; =>This Loop Header: Depth=1
                                        ;     Child Loop BB96_63 Depth 2
	s_or_b64 s[24:25], s[24:25], exec
	s_cmp_eq_u32 s35, 0
	s_cbranch_scc1 .LBB96_64
; %bb.61:                               ;   in Loop: Header=BB96_60 Depth=1
	s_add_i32 s35, s35, -1
	v_lshl_add_u32 v8, s35, 8, v2
	v_lshl_add_u64 v[12:13], v[8:9], 2, s[70:71]
	global_load_dword v5, v[12:13], off sc1
	s_waitcnt vmcnt(0)
	v_cmp_gt_u32_e64 s[24:25], 2.0, v5
	s_and_saveexec_b64 s[28:29], s[24:25]
	s_cbranch_execz .LBB96_59
; %bb.62:                               ;   in Loop: Header=BB96_60 Depth=1
	s_mov_b64 s[30:31], 0
.LBB96_63:                              ;   Parent Loop BB96_60 Depth=1
                                        ; =>  This Inner Loop Header: Depth=2
	global_load_dword v5, v[12:13], off sc1
	s_waitcnt vmcnt(0)
	v_cmp_lt_u32_e64 s[24:25], s34, v5
	s_or_b64 s[30:31], s[24:25], s[30:31]
	s_andn2_b64 exec, exec, s[30:31]
	s_cbranch_execnz .LBB96_63
	s_branch .LBB96_58
.LBB96_64:                              ;   in Loop: Header=BB96_60 Depth=1
                                        ; implicit-def: $sgpr35
	s_and_b64 s[28:29], exec, s[24:25]
	s_or_b64 s[26:27], s[28:29], s[26:27]
	s_andn2_b64 exec, exec, s[26:27]
	s_cbranch_execnz .LBB96_60
.LBB96_65:
	s_or_b64 exec, exec, s[26:27]
	v_add_u32_e32 v5, v15, v6
	v_or_b32_e32 v5, 0x80000000, v5
	v_lshlrev_b32_e32 v8, 3, v2
	global_store_dword v[10:11], v5, off sc1
	global_load_dwordx2 v[10:11], v8, s[60:61]
	v_sub_co_u32_e64 v12, s[24:25], v15, v4
	v_mov_b32_e32 v5, 0
	s_nop 0
	v_subb_co_u32_e64 v13, s[24:25], 0, 0, s[24:25]
	v_cmp_gt_u32_e64 s[24:25], s66, v2
	s_waitcnt vmcnt(0)
	v_lshl_add_u64 v[10:11], v[12:13], 0, v[10:11]
	ds_write_b64 v8, v[10:11]
	s_waitcnt lgkmcnt(0)
	s_barrier
	s_and_saveexec_b64 s[26:27], s[24:25]
	s_cbranch_execz .LBB96_67
; %bb.66:
	v_lshlrev_b32_e32 v10, 2, v2
	v_sub_u32_e32 v9, v8, v10
	ds_read_b32 v9, v9 offset:2048
	s_waitcnt lgkmcnt(0)
	v_lshrrev_b32_e32 v11, s64, v9
	v_and_b32_e32 v11, s72, v11
	v_lshlrev_b32_e32 v11, 3, v11
	ds_read_b64 v[12:13], v11
	v_mov_b32_e32 v11, v5
	v_xor_b32_e32 v9, 0x80000000, v9
	s_waitcnt lgkmcnt(0)
	v_lshl_add_u64 v[12:13], v[12:13], 2, s[54:55]
	v_lshl_add_u64 v[10:11], v[12:13], 0, v[10:11]
	global_store_dword v[10:11], v9, off
.LBB96_67:
	s_or_b64 exec, exec, s[26:27]
	v_add_u32_e32 v9, 0x100, v2
	v_cmp_gt_u32_e64 s[26:27], s66, v9
	s_and_saveexec_b64 s[28:29], s[26:27]
	s_cbranch_execz .LBB96_69
; %bb.68:
	v_lshlrev_b32_e32 v10, 2, v2
	v_sub_u32_e32 v9, v8, v10
	ds_read_b32 v9, v9 offset:3072
	s_waitcnt lgkmcnt(0)
	v_lshrrev_b32_e32 v11, s64, v9
	v_and_b32_e32 v11, s72, v11
	v_lshlrev_b32_e32 v11, 3, v11
	ds_read_b64 v[12:13], v11
	v_mov_b32_e32 v11, 0
	v_xor_b32_e32 v9, 0x80000000, v9
	s_waitcnt lgkmcnt(0)
	v_lshl_add_u64 v[12:13], v[12:13], 2, s[54:55]
	v_lshl_add_u64 v[10:11], v[12:13], 0, v[10:11]
	global_store_dword v[10:11], v9, off offset:1024
.LBB96_69:
	s_or_b64 exec, exec, s[28:29]
	v_add_u32_e32 v12, 0x200, v2
	v_cmp_gt_u32_e64 s[28:29], s66, v12
	s_and_saveexec_b64 s[30:31], s[28:29]
	s_cbranch_execz .LBB96_71
; %bb.70:
	v_lshlrev_b32_e32 v10, 2, v2
	v_sub_u32_e32 v9, v8, v10
	ds_read_b32 v9, v9 offset:4096
	s_waitcnt lgkmcnt(0)
	v_lshrrev_b32_e32 v11, s64, v9
	v_and_b32_e32 v11, s72, v11
	v_lshlrev_b32_e32 v11, 3, v11
	ds_read_b64 v[16:17], v11
	v_mov_b32_e32 v11, 0
	v_xor_b32_e32 v9, 0x80000000, v9
	s_waitcnt lgkmcnt(0)
	v_lshl_add_u64 v[16:17], v[16:17], 2, s[54:55]
	v_lshl_add_u64 v[10:11], v[16:17], 0, v[10:11]
	global_store_dword v[10:11], v9, off offset:2048
.LBB96_71:
	;; [unrolled: 21-line block ×3, first 2 shown]
	s_or_b64 exec, exec, s[34:35]
	v_or_b32_e32 v15, 0x400, v2
	v_cmp_gt_u32_e64 s[34:35], s66, v15
	s_and_saveexec_b64 s[36:37], s[34:35]
	s_cbranch_execz .LBB96_75
; %bb.74:
	v_lshlrev_b32_e32 v9, 2, v2
	v_sub_u32_e32 v9, v8, v9
	ds_read_b32 v9, v9 offset:6144
	v_lshlrev_b32_e32 v16, 2, v15
	v_mov_b32_e32 v17, 0
	s_waitcnt lgkmcnt(0)
	v_lshrrev_b32_e32 v10, s64, v9
	v_and_b32_e32 v10, s72, v10
	v_lshlrev_b32_e32 v10, 3, v10
	ds_read_b64 v[10:11], v10
	v_xor_b32_e32 v9, 0x80000000, v9
	s_waitcnt lgkmcnt(0)
	v_lshl_add_u64 v[10:11], v[10:11], 2, s[54:55]
	v_lshl_add_u64 v[10:11], v[10:11], 0, v[16:17]
	global_store_dword v[10:11], v9, off
.LBB96_75:
	s_or_b64 exec, exec, s[36:37]
	v_add_u32_e32 v16, 0x500, v2
	v_cmp_gt_u32_e64 s[36:37], s66, v16
	s_and_saveexec_b64 s[38:39], s[36:37]
	s_cbranch_execz .LBB96_77
; %bb.76:
	v_lshlrev_b32_e32 v9, 2, v2
	v_sub_u32_e32 v9, v8, v9
	ds_read_b32 v9, v9 offset:7168
	v_lshlrev_b32_e32 v20, 2, v16
	v_mov_b32_e32 v21, 0
	s_waitcnt lgkmcnt(0)
	v_lshrrev_b32_e32 v10, s64, v9
	v_and_b32_e32 v10, s72, v10
	v_lshlrev_b32_e32 v10, 3, v10
	ds_read_b64 v[10:11], v10
	v_xor_b32_e32 v9, 0x80000000, v9
	s_waitcnt lgkmcnt(0)
	v_lshl_add_u64 v[10:11], v[10:11], 2, s[54:55]
	v_lshl_add_u64 v[10:11], v[10:11], 0, v[20:21]
	global_store_dword v[10:11], v9, off
.LBB96_77:
	s_or_b64 exec, exec, s[38:39]
	v_add_u32_e32 v17, 0x600, v2
	;; [unrolled: 22-line block ×3, first 2 shown]
	v_cmp_gt_u32_e64 s[40:41], s66, v18
	s_and_saveexec_b64 s[42:43], s[40:41]
	s_cbranch_execz .LBB96_81
; %bb.80:
	v_lshlrev_b32_e32 v9, 2, v2
	ds_read_b32 v9, v9 offset:9216
	v_lshlrev_b32_e32 v20, 2, v18
	v_mov_b32_e32 v21, 0
	s_waitcnt lgkmcnt(0)
	v_lshrrev_b32_e32 v10, s64, v9
	v_and_b32_e32 v10, s72, v10
	v_lshlrev_b32_e32 v10, 3, v10
	ds_read_b64 v[10:11], v10
	v_xor_b32_e32 v9, 0x80000000, v9
	s_waitcnt lgkmcnt(0)
	v_lshl_add_u64 v[10:11], v[10:11], 2, s[54:55]
	v_lshl_add_u64 v[10:11], v[10:11], 0, v[20:21]
	global_store_dword v[10:11], v9, off
.LBB96_81:
	s_or_b64 exec, exec, s[42:43]
	v_or_b32_e32 v20, 0x800, v2
	v_cmp_gt_u32_e64 s[42:43], s66, v20
	s_and_saveexec_b64 s[44:45], s[42:43]
	s_cbranch_execz .LBB96_83
; %bb.82:
	v_lshlrev_b32_e32 v9, 2, v2
	ds_read_b32 v9, v9 offset:10240
	v_lshlrev_b32_e32 v30, 2, v20
	v_mov_b32_e32 v31, 0
	s_waitcnt lgkmcnt(0)
	v_lshrrev_b32_e32 v10, s64, v9
	v_and_b32_e32 v10, s72, v10
	v_lshlrev_b32_e32 v10, 3, v10
	ds_read_b64 v[10:11], v10
	v_xor_b32_e32 v9, 0x80000000, v9
	s_waitcnt lgkmcnt(0)
	v_lshl_add_u64 v[10:11], v[10:11], 2, s[54:55]
	v_lshl_add_u64 v[10:11], v[10:11], 0, v[30:31]
	global_store_dword v[10:11], v9, off
.LBB96_83:
	s_or_b64 exec, exec, s[44:45]
	v_add_u32_e32 v21, 0x900, v2
	v_cmp_gt_u32_e64 s[44:45], s66, v21
	s_and_saveexec_b64 s[46:47], s[44:45]
	s_cbranch_execz .LBB96_85
; %bb.84:
	v_lshlrev_b32_e32 v9, 2, v2
	ds_read_b32 v9, v9 offset:11264
	v_lshlrev_b32_e32 v30, 2, v21
	v_mov_b32_e32 v31, 0
	s_waitcnt lgkmcnt(0)
	v_lshrrev_b32_e32 v10, s64, v9
	v_and_b32_e32 v10, s72, v10
	v_lshlrev_b32_e32 v10, 3, v10
	ds_read_b64 v[10:11], v10
	v_xor_b32_e32 v9, 0x80000000, v9
	s_waitcnt lgkmcnt(0)
	v_lshl_add_u64 v[10:11], v[10:11], 2, s[54:55]
	v_lshl_add_u64 v[10:11], v[10:11], 0, v[30:31]
	global_store_dword v[10:11], v9, off
.LBB96_85:
	s_or_b64 exec, exec, s[46:47]
	v_add_u32_e32 v30, 0xa00, v2
	;; [unrolled: 21-line block ×3, first 2 shown]
	v_cmp_gt_u32_e64 s[48:49], s66, v31
	s_and_saveexec_b64 s[66:67], s[48:49]
	s_cbranch_execz .LBB96_89
; %bb.88:
	v_lshlrev_b32_e32 v9, 2, v2
	ds_read_b32 v9, v9 offset:13312
	v_lshlrev_b32_e32 v34, 2, v31
	v_mov_b32_e32 v35, 0
	s_waitcnt lgkmcnt(0)
	v_lshrrev_b32_e32 v10, s64, v9
	v_and_b32_e32 v10, s72, v10
	v_lshlrev_b32_e32 v10, 3, v10
	ds_read_b64 v[10:11], v10
	v_xor_b32_e32 v9, 0x80000000, v9
	s_waitcnt lgkmcnt(0)
	v_lshl_add_u64 v[10:11], v[10:11], 2, s[54:55]
	v_lshl_add_u64 v[10:11], v[10:11], 0, v[34:35]
	global_store_dword v[10:11], v9, off
.LBB96_89:
	s_or_b64 exec, exec, s[66:67]
	s_lshl_b64 s[66:67], s[68:69], 3
	s_add_u32 s66, s56, s66
	s_addc_u32 s67, s57, s67
	v_lshlrev_b32_e32 v10, 3, v14
	v_mov_b32_e32 v11, 0
	v_lshl_add_u64 v[34:35], s[66:67], 0, v[10:11]
	v_lshlrev_b32_e32 v10, 3, v3
	v_lshl_add_u64 v[10:11], v[34:35], 0, v[10:11]
                                        ; implicit-def: $vgpr42_vgpr43
	s_and_saveexec_b64 s[66:67], vcc
	s_xor_b64 s[66:67], exec, s[66:67]
	s_cbranch_execz .LBB96_101
; %bb.90:
	global_load_dwordx2 v[42:43], v[10:11], off
	s_or_b64 exec, exec, s[66:67]
                                        ; implicit-def: $vgpr44_vgpr45
	s_and_saveexec_b64 s[66:67], s[50:51]
	s_cbranch_execnz .LBB96_102
.LBB96_91:
	s_or_b64 exec, exec, s[66:67]
                                        ; implicit-def: $vgpr46_vgpr47
	s_and_saveexec_b64 s[50:51], s[4:5]
	s_cbranch_execz .LBB96_103
.LBB96_92:
	global_load_dwordx2 v[46:47], v[10:11], off offset:1024
	s_or_b64 exec, exec, s[50:51]
                                        ; implicit-def: $vgpr48_vgpr49
	s_and_saveexec_b64 s[4:5], s[6:7]
	s_cbranch_execnz .LBB96_104
.LBB96_93:
	s_or_b64 exec, exec, s[4:5]
                                        ; implicit-def: $vgpr50_vgpr51
	s_and_saveexec_b64 s[4:5], s[8:9]
	s_cbranch_execz .LBB96_105
.LBB96_94:
	global_load_dwordx2 v[50:51], v[10:11], off offset:2048
	s_or_b64 exec, exec, s[4:5]
                                        ; implicit-def: $vgpr52_vgpr53
	s_and_saveexec_b64 s[4:5], s[10:11]
	s_cbranch_execnz .LBB96_106
.LBB96_95:
	s_or_b64 exec, exec, s[4:5]
                                        ; implicit-def: $vgpr54_vgpr55
	s_and_saveexec_b64 s[4:5], s[12:13]
	s_cbranch_execz .LBB96_107
.LBB96_96:
	global_load_dwordx2 v[54:55], v[10:11], off offset:3072
	s_or_b64 exec, exec, s[4:5]
                                        ; implicit-def: $vgpr56_vgpr57
	s_and_saveexec_b64 s[4:5], s[18:19]
	s_cbranch_execnz .LBB96_108
.LBB96_97:
	s_or_b64 exec, exec, s[4:5]
                                        ; implicit-def: $vgpr58_vgpr59
	s_and_saveexec_b64 s[4:5], s[22:23]
	s_cbranch_execz .LBB96_109
.LBB96_98:
	v_add_co_u32_e32 v34, vcc, 0x1000, v10
	s_nop 1
	v_addc_co_u32_e32 v35, vcc, 0, v11, vcc
	global_load_dwordx2 v[58:59], v[34:35], off
	s_or_b64 exec, exec, s[4:5]
                                        ; implicit-def: $vgpr60_vgpr61
	s_and_saveexec_b64 s[4:5], s[20:21]
	s_cbranch_execnz .LBB96_110
.LBB96_99:
	s_or_b64 exec, exec, s[4:5]
                                        ; implicit-def: $vgpr62_vgpr63
	s_and_saveexec_b64 s[4:5], s[16:17]
	s_cbranch_execz .LBB96_111
.LBB96_100:
	v_add_co_u32_e32 v34, vcc, 0x1000, v10
	s_nop 1
	v_addc_co_u32_e32 v35, vcc, 0, v11, vcc
	global_load_dwordx2 v[62:63], v[34:35], off offset:1024
	s_or_b64 exec, exec, s[4:5]
                                        ; implicit-def: $vgpr64_vgpr65
	s_and_saveexec_b64 s[4:5], s[14:15]
	s_cbranch_execnz .LBB96_112
	s_branch .LBB96_113
.LBB96_101:
	s_or_b64 exec, exec, s[66:67]
                                        ; implicit-def: $vgpr44_vgpr45
	s_and_saveexec_b64 s[66:67], s[50:51]
	s_cbranch_execz .LBB96_91
.LBB96_102:
	global_load_dwordx2 v[44:45], v[10:11], off offset:512
	s_or_b64 exec, exec, s[66:67]
                                        ; implicit-def: $vgpr46_vgpr47
	s_and_saveexec_b64 s[50:51], s[4:5]
	s_cbranch_execnz .LBB96_92
.LBB96_103:
	s_or_b64 exec, exec, s[50:51]
                                        ; implicit-def: $vgpr48_vgpr49
	s_and_saveexec_b64 s[4:5], s[6:7]
	s_cbranch_execz .LBB96_93
.LBB96_104:
	global_load_dwordx2 v[48:49], v[10:11], off offset:1536
	s_or_b64 exec, exec, s[4:5]
                                        ; implicit-def: $vgpr50_vgpr51
	s_and_saveexec_b64 s[4:5], s[8:9]
	s_cbranch_execnz .LBB96_94
.LBB96_105:
	s_or_b64 exec, exec, s[4:5]
                                        ; implicit-def: $vgpr52_vgpr53
	s_and_saveexec_b64 s[4:5], s[10:11]
	s_cbranch_execz .LBB96_95
.LBB96_106:
	global_load_dwordx2 v[52:53], v[10:11], off offset:2560
	s_or_b64 exec, exec, s[4:5]
                                        ; implicit-def: $vgpr54_vgpr55
	s_and_saveexec_b64 s[4:5], s[12:13]
	s_cbranch_execnz .LBB96_96
.LBB96_107:
	s_or_b64 exec, exec, s[4:5]
                                        ; implicit-def: $vgpr56_vgpr57
	s_and_saveexec_b64 s[4:5], s[18:19]
	s_cbranch_execz .LBB96_97
.LBB96_108:
	global_load_dwordx2 v[56:57], v[10:11], off offset:3584
	s_or_b64 exec, exec, s[4:5]
                                        ; implicit-def: $vgpr58_vgpr59
	s_and_saveexec_b64 s[4:5], s[22:23]
	s_cbranch_execnz .LBB96_98
.LBB96_109:
	s_or_b64 exec, exec, s[4:5]
                                        ; implicit-def: $vgpr60_vgpr61
	s_and_saveexec_b64 s[4:5], s[20:21]
	s_cbranch_execz .LBB96_99
.LBB96_110:
	v_add_co_u32_e32 v34, vcc, 0x1000, v10
	s_nop 1
	v_addc_co_u32_e32 v35, vcc, 0, v11, vcc
	global_load_dwordx2 v[60:61], v[34:35], off offset:512
	s_or_b64 exec, exec, s[4:5]
                                        ; implicit-def: $vgpr62_vgpr63
	s_and_saveexec_b64 s[4:5], s[16:17]
	s_cbranch_execnz .LBB96_100
.LBB96_111:
	s_or_b64 exec, exec, s[4:5]
                                        ; implicit-def: $vgpr64_vgpr65
	s_and_saveexec_b64 s[4:5], s[14:15]
	s_cbranch_execz .LBB96_113
.LBB96_112:
	v_add_co_u32_e32 v10, vcc, 0x1000, v10
	s_nop 1
	v_addc_co_u32_e32 v11, vcc, 0, v11, vcc
	global_load_dwordx2 v[64:65], v[10:11], off offset:1536
.LBB96_113:
	s_or_b64 exec, exec, s[4:5]
	v_mov_b32_e32 v38, 0
	v_mov_b32_e32 v9, 0
	s_and_saveexec_b64 s[4:5], s[24:25]
	s_cbranch_execz .LBB96_115
; %bb.114:
	v_lshlrev_b32_e32 v3, 2, v2
	ds_read_b32 v3, v3 offset:2048
	s_waitcnt lgkmcnt(0)
	v_lshrrev_b32_e32 v3, s64, v3
	v_and_b32_e32 v9, s72, v3
.LBB96_115:
	s_or_b64 exec, exec, s[4:5]
	s_and_saveexec_b64 s[4:5], s[26:27]
	s_cbranch_execz .LBB96_117
; %bb.116:
	v_lshlrev_b32_e32 v3, 2, v2
	ds_read_b32 v3, v3 offset:3072
	s_waitcnt lgkmcnt(0)
	v_lshrrev_b32_e32 v3, s64, v3
	v_and_b32_e32 v38, s72, v3
.LBB96_117:
	s_or_b64 exec, exec, s[4:5]
	v_mov_b32_e32 v36, 0
	v_mov_b32_e32 v40, 0
	s_and_saveexec_b64 s[4:5], s[28:29]
	s_cbranch_execz .LBB96_119
; %bb.118:
	v_lshlrev_b32_e32 v3, 2, v2
	ds_read_b32 v3, v3 offset:4096
	s_waitcnt lgkmcnt(0)
	v_lshrrev_b32_e32 v3, s64, v3
	v_and_b32_e32 v40, s72, v3
.LBB96_119:
	s_or_b64 exec, exec, s[4:5]
	s_and_saveexec_b64 s[4:5], s[30:31]
	s_cbranch_execz .LBB96_121
; %bb.120:
	v_lshlrev_b32_e32 v3, 2, v2
	ds_read_b32 v3, v3 offset:5120
	s_waitcnt lgkmcnt(0)
	v_lshrrev_b32_e32 v3, s64, v3
	v_and_b32_e32 v36, s72, v3
.LBB96_121:
	;; [unrolled: 22-line block ×6, first 2 shown]
	s_or_b64 exec, exec, s[4:5]
	v_lshlrev_b32_e32 v2, 3, v33
	s_barrier
	s_waitcnt vmcnt(0)
	ds_write_b64 v2, v[42:43] offset:2048
	v_lshlrev_b32_e32 v2, 3, v32
	ds_write_b64 v2, v[44:45] offset:2048
	v_lshlrev_b32_e32 v2, 3, v29
	;; [unrolled: 2-line block ×11, first 2 shown]
	ds_write_b64 v2, v[64:65] offset:2048
	s_waitcnt lgkmcnt(0)
	s_barrier
	s_and_saveexec_b64 s[4:5], s[24:25]
	s_cbranch_execz .LBB96_196
; %bb.138:
	v_lshlrev_b32_e32 v2, 3, v9
	ds_read_b64 v[22:23], v2
	ds_read_b64 v[24:25], v8 offset:2048
	v_mov_b32_e32 v9, 0
	s_waitcnt lgkmcnt(1)
	v_lshl_add_u64 v[22:23], v[22:23], 3, s[58:59]
	v_lshl_add_u64 v[22:23], v[22:23], 0, v[8:9]
	s_waitcnt lgkmcnt(0)
	global_store_dwordx2 v[22:23], v[24:25], off
	s_or_b64 exec, exec, s[4:5]
	s_and_saveexec_b64 s[4:5], s[26:27]
	s_cbranch_execnz .LBB96_197
.LBB96_139:
	s_or_b64 exec, exec, s[4:5]
	s_and_saveexec_b64 s[4:5], s[28:29]
	s_cbranch_execz .LBB96_198
.LBB96_140:
	v_lshlrev_b32_e32 v2, 3, v40
	ds_read_b64 v[22:23], v2
	ds_read_b64 v[24:25], v8 offset:6144
	v_lshlrev_b32_e32 v26, 3, v12
	v_mov_b32_e32 v27, 0
	s_waitcnt lgkmcnt(1)
	v_lshl_add_u64 v[22:23], v[22:23], 3, s[58:59]
	v_lshl_add_u64 v[22:23], v[22:23], 0, v[26:27]
	s_waitcnt lgkmcnt(0)
	global_store_dwordx2 v[22:23], v[24:25], off
	s_or_b64 exec, exec, s[4:5]
	s_and_saveexec_b64 s[4:5], s[30:31]
	s_cbranch_execnz .LBB96_199
.LBB96_141:
	s_or_b64 exec, exec, s[4:5]
	s_and_saveexec_b64 s[4:5], s[34:35]
	s_cbranch_execz .LBB96_200
.LBB96_142:
	v_lshlrev_b32_e32 v2, 3, v39
	ds_read_b64 v[12:13], v2
	ds_read_b64 v[22:23], v8 offset:10240
	v_lshlrev_b32_e32 v24, 3, v15
	v_mov_b32_e32 v25, 0
	s_waitcnt lgkmcnt(1)
	v_lshl_add_u64 v[12:13], v[12:13], 3, s[58:59]
	v_lshl_add_u64 v[12:13], v[12:13], 0, v[24:25]
	s_waitcnt lgkmcnt(0)
	global_store_dwordx2 v[12:13], v[22:23], off
	s_or_b64 exec, exec, s[4:5]
	s_and_saveexec_b64 s[4:5], s[36:37]
	s_cbranch_execnz .LBB96_201
.LBB96_143:
	s_or_b64 exec, exec, s[4:5]
	s_and_saveexec_b64 s[4:5], s[38:39]
	s_cbranch_execz .LBB96_202
.LBB96_144:
	v_lshlrev_b32_e32 v2, 3, v37
	ds_read_b64 v[12:13], v2
	ds_read_b64 v[22:23], v8 offset:14336
	v_lshlrev_b32_e32 v16, 3, v17
	v_mov_b32_e32 v17, 0
	s_waitcnt lgkmcnt(1)
	v_lshl_add_u64 v[12:13], v[12:13], 3, s[58:59]
	v_lshl_add_u64 v[12:13], v[12:13], 0, v[16:17]
	s_waitcnt lgkmcnt(0)
	global_store_dwordx2 v[12:13], v[22:23], off
	s_or_b64 exec, exec, s[4:5]
	s_and_saveexec_b64 s[4:5], s[40:41]
	s_cbranch_execnz .LBB96_203
.LBB96_145:
	s_or_b64 exec, exec, s[4:5]
	s_and_saveexec_b64 s[4:5], s[42:43]
	s_cbranch_execz .LBB96_204
.LBB96_146:
	v_lshlrev_b32_e32 v2, 3, v35
	ds_read_b64 v[12:13], v2
	ds_read_b64 v[16:17], v8 offset:18432
	v_lshlrev_b32_e32 v18, 3, v20
	v_mov_b32_e32 v19, 0
	s_waitcnt lgkmcnt(1)
	v_lshl_add_u64 v[12:13], v[12:13], 3, s[58:59]
	v_lshl_add_u64 v[12:13], v[12:13], 0, v[18:19]
	s_waitcnt lgkmcnt(0)
	global_store_dwordx2 v[12:13], v[16:17], off
	s_or_b64 exec, exec, s[4:5]
	s_and_saveexec_b64 s[4:5], s[44:45]
	s_cbranch_execnz .LBB96_205
.LBB96_147:
	s_or_b64 exec, exec, s[4:5]
	s_and_saveexec_b64 s[4:5], s[46:47]
	s_cbranch_execz .LBB96_206
.LBB96_148:
	v_lshlrev_b32_e32 v2, 3, v14
	ds_read_b64 v[10:11], v2
	ds_read_b64 v[12:13], v8 offset:22528
	v_lshlrev_b32_e32 v14, 3, v30
	v_mov_b32_e32 v15, 0
	s_waitcnt lgkmcnt(1)
	v_lshl_add_u64 v[10:11], v[10:11], 3, s[58:59]
	v_lshl_add_u64 v[10:11], v[10:11], 0, v[14:15]
	s_waitcnt lgkmcnt(0)
	global_store_dwordx2 v[10:11], v[12:13], off
	s_or_b64 exec, exec, s[4:5]
	s_and_saveexec_b64 s[4:5], s[48:49]
	s_cbranch_execnz .LBB96_207
.LBB96_149:
	s_or_b64 exec, exec, s[4:5]
	s_add_i32 s33, s33, -1
	s_cmp_eq_u32 s2, s33
	s_cbranch_scc0 .LBB96_151
.LBB96_150:
	ds_read_b64 v[2:3], v8
	v_mov_b32_e32 v7, 0
	v_lshl_add_u64 v[4:5], v[6:7], 0, v[4:5]
	s_waitcnt lgkmcnt(0)
	v_lshl_add_u64 v[2:3], v[4:5], 0, v[2:3]
	global_store_dwordx2 v8, v[2:3], s[62:63]
.LBB96_151:
	s_mov_b64 s[4:5], 0
.LBB96_152:
	s_and_b64 vcc, exec, s[4:5]
	s_cbranch_vccz .LBB96_195
; %bb.153:
	s_mov_b32 s69, 0
	s_lshl_b64 s[4:5], s[68:69], 2
	s_add_u32 s4, s52, s4
	v_mbcnt_hi_u32_b32 v9, -1, v1
	v_and_b32_e32 v8, 0xc0, v0
	s_addc_u32 s5, s53, s5
	v_mul_u32_u24_e32 v3, 12, v8
	v_mov_b32_e32 v5, 0
	v_lshlrev_b32_e32 v4, 2, v9
	v_lshl_add_u64 v[6:7], s[4:5], 0, v[4:5]
	v_lshlrev_b32_e32 v4, 2, v3
	v_lshl_add_u64 v[12:13], v[6:7], 0, v[4:5]
	global_load_dword v1, v[12:13], off
	s_load_dword s4, s[0:1], 0x5c
	s_load_dword s10, s[0:1], 0x50
	s_add_u32 s0, s0, 0x50
	s_addc_u32 s1, s1, 0
	v_and_b32_e32 v2, 0x3ff, v0
	s_waitcnt lgkmcnt(0)
	s_lshr_b32 s4, s4, 16
	s_cmp_lt_u32 s2, s10
	s_cselect_b32 s5, 12, 18
	s_add_u32 s0, s0, s5
	s_addc_u32 s1, s1, 0
	global_load_ushort v10, v5, s[0:1]
	v_mul_u32_u24_e32 v6, 20, v2
	ds_write2_b32 v6, v5, v5 offset0:4 offset1:5
	ds_write2_b32 v6, v5, v5 offset0:6 offset1:7
	ds_write_b32 v6, v5 offset:32
	global_load_dword v11, v[12:13], off offset:256
	global_load_dword v15, v[12:13], off offset:512
	global_load_dword v21, v[12:13], off offset:768
	global_load_dword v26, v[12:13], off offset:1024
	global_load_dword v31, v[12:13], off offset:1280
	global_load_dword v36, v[12:13], off offset:1536
	global_load_dword v40, v[12:13], off offset:1792
	global_load_dword v35, v[12:13], off offset:2048
	global_load_dword v30, v[12:13], off offset:2304
	global_load_dword v25, v[12:13], off offset:2560
	global_load_dword v19, v[12:13], off offset:2816
	v_bfe_u32 v4, v0, 10, 10
	v_bfe_u32 v7, v0, 20, 10
	v_mad_u32_u24 v12, v7, s4, v4
	s_lshl_b32 s0, -1, s65
	v_mov_b32_e32 v0, v5
	s_not_b32 s11, s0
	v_mov_b32_e32 v16, v5
	v_mov_b32_e32 v22, v5
	;; [unrolled: 1-line block ×3, first 2 shown]
	s_waitcnt lgkmcnt(0)
	s_barrier
	s_waitcnt vmcnt(12)
	; wave barrier
	v_xor_b32_e32 v7, 0x80000000, v1
	v_lshrrev_b32_e32 v1, s64, v7
	v_bitop3_b32 v14, v1, s0, v1 bitop3:0x30
	v_and_b32_e32 v4, 1, v14
	v_lshlrev_b32_e32 v1, 30, v14
	v_lshlrev_b32_e32 v17, 29, v14
	v_lshl_add_u64 v[32:33], v[4:5], 0, -1
	v_cmp_ne_u32_e32 vcc, 0, v4
	v_lshlrev_b32_e32 v23, 28, v14
	v_lshlrev_b32_e32 v29, 27, v14
	s_waitcnt vmcnt(11)
	v_mad_u64_u32 v[12:13], s[0:1], v12, v10, v[2:3]
	v_cmp_gt_i64_e64 s[0:1], 0, v[0:1]
	v_not_b32_e32 v0, v1
	v_not_b32_e32 v1, v17
	v_lshrrev_b32_e32 v20, 6, v12
	v_xor_b32_e32 v12, vcc_hi, v33
	v_xor_b32_e32 v13, vcc_lo, v32
	v_ashrrev_i32_e32 v0, 31, v0
	v_mul_lo_u32 v18, v14, 20
	v_cmp_gt_i64_e64 s[4:5], 0, v[16:17]
	v_not_b32_e32 v4, v23
	v_not_b32_e32 v10, v29
	v_ashrrev_i32_e32 v1, 31, v1
	v_and_b32_e32 v12, exec_hi, v12
	v_and_b32_e32 v13, exec_lo, v13
	v_xor_b32_e32 v17, s1, v0
	v_xor_b32_e32 v0, s0, v0
	v_cmp_gt_i64_e64 s[6:7], 0, v[22:23]
	v_ashrrev_i32_e32 v4, 31, v4
	v_ashrrev_i32_e32 v16, 31, v10
	v_lshl_add_u32 v10, v20, 2, v18
	v_xor_b32_e32 v18, s5, v1
	v_xor_b32_e32 v1, s4, v1
	v_and_b32_e32 v12, v12, v17
	v_and_b32_e32 v0, v13, v0
	v_cmp_gt_i64_e64 s[8:9], 0, v[28:29]
	v_xor_b32_e32 v22, s7, v4
	v_xor_b32_e32 v4, s6, v4
	v_and_b32_e32 v12, v12, v18
	v_and_b32_e32 v0, v0, v1
	v_xor_b32_e32 v23, s9, v16
	v_xor_b32_e32 v16, s8, v16
	v_and_b32_e32 v1, v12, v22
	v_and_b32_e32 v0, v0, v4
	;; [unrolled: 1-line block ×4, first 2 shown]
	v_lshlrev_b32_e32 v1, 26, v14
	v_mov_b32_e32 v0, v5
	v_cmp_gt_i64_e32 vcc, 0, v[0:1]
	v_not_b32_e32 v0, v1
	v_ashrrev_i32_e32 v0, 31, v0
	v_xor_b32_e32 v1, vcc_hi, v0
	v_xor_b32_e32 v0, vcc_lo, v0
	v_and_b32_e32 v4, v4, v1
	v_and_b32_e32 v12, v12, v0
	v_lshlrev_b32_e32 v1, 25, v14
	v_mov_b32_e32 v0, v5
	v_cmp_gt_i64_e32 vcc, 0, v[0:1]
	v_not_b32_e32 v0, v1
	v_ashrrev_i32_e32 v0, 31, v0
	v_xor_b32_e32 v1, vcc_hi, v0
	v_xor_b32_e32 v0, vcc_lo, v0
	v_and_b32_e32 v4, v4, v1
	v_and_b32_e32 v12, v12, v0
	;; [unrolled: 9-line block ×3, first 2 shown]
	v_mbcnt_lo_u32_b32 v4, v0, 0
	v_mbcnt_hi_u32_b32 v12, v1, v4
	v_cmp_eq_u32_e32 vcc, 0, v12
	v_cmp_ne_u64_e64 s[0:1], 0, v[0:1]
	s_and_b64 s[4:5], s[0:1], vcc
	s_and_saveexec_b64 s[0:1], s[4:5]
; %bb.154:
	v_bcnt_u32_b32 v0, v0, 0
	v_bcnt_u32_b32 v0, v1, v0
	ds_write_b32 v10, v0 offset:16
; %bb.155:
	s_or_b64 exec, exec, s[0:1]
	s_waitcnt vmcnt(10)
	v_xor_b32_e32 v11, 0x80000000, v11
	v_lshrrev_b32_e32 v0, s64, v11
	v_and_b32_e32 v16, s11, v0
	v_mul_lo_u32 v0, v16, 20
	v_and_b32_e32 v4, 1, v16
	v_lshl_add_u32 v14, v20, 2, v0
	v_lshl_add_u64 v[0:1], v[4:5], 0, -1
	v_cmp_ne_u32_e32 vcc, 0, v4
	; wave barrier
	s_nop 1
	v_xor_b32_e32 v1, vcc_hi, v1
	v_xor_b32_e32 v0, vcc_lo, v0
	v_and_b32_e32 v4, exec_hi, v1
	v_and_b32_e32 v17, exec_lo, v0
	v_lshlrev_b32_e32 v1, 30, v16
	v_mov_b32_e32 v0, v5
	v_cmp_gt_i64_e32 vcc, 0, v[0:1]
	v_not_b32_e32 v0, v1
	v_ashrrev_i32_e32 v0, 31, v0
	v_xor_b32_e32 v1, vcc_hi, v0
	v_xor_b32_e32 v0, vcc_lo, v0
	v_and_b32_e32 v4, v4, v1
	v_and_b32_e32 v17, v17, v0
	v_lshlrev_b32_e32 v1, 29, v16
	v_mov_b32_e32 v0, v5
	v_cmp_gt_i64_e32 vcc, 0, v[0:1]
	v_not_b32_e32 v0, v1
	v_ashrrev_i32_e32 v0, 31, v0
	v_xor_b32_e32 v1, vcc_hi, v0
	v_xor_b32_e32 v0, vcc_lo, v0
	v_and_b32_e32 v4, v4, v1
	v_and_b32_e32 v17, v17, v0
	;; [unrolled: 9-line block ×6, first 2 shown]
	v_lshlrev_b32_e32 v1, 24, v16
	v_mov_b32_e32 v0, v5
	v_cmp_gt_i64_e32 vcc, 0, v[0:1]
	v_not_b32_e32 v0, v1
	v_ashrrev_i32_e32 v0, 31, v0
	v_xor_b32_e32 v1, vcc_hi, v0
	v_xor_b32_e32 v0, vcc_lo, v0
	ds_read_b32 v13, v14 offset:16
	v_and_b32_e32 v0, v17, v0
	v_and_b32_e32 v1, v4, v1
	v_mbcnt_lo_u32_b32 v4, v0, 0
	v_mbcnt_hi_u32_b32 v16, v1, v4
	v_cmp_eq_u32_e32 vcc, 0, v16
	v_cmp_ne_u64_e64 s[0:1], 0, v[0:1]
	s_and_b64 s[4:5], s[0:1], vcc
	; wave barrier
	s_and_saveexec_b64 s[0:1], s[4:5]
	s_cbranch_execz .LBB96_157
; %bb.156:
	v_bcnt_u32_b32 v0, v0, 0
	v_bcnt_u32_b32 v0, v1, v0
	s_waitcnt lgkmcnt(0)
	v_add_u32_e32 v0, v13, v0
	ds_write_b32 v14, v0 offset:16
.LBB96_157:
	s_or_b64 exec, exec, s[0:1]
	s_waitcnt vmcnt(9)
	v_xor_b32_e32 v15, 0x80000000, v15
	v_lshrrev_b32_e32 v0, s64, v15
	v_and_b32_e32 v22, s11, v0
	v_mul_lo_u32 v0, v22, 20
	v_lshl_add_u32 v18, v20, 2, v0
	v_and_b32_e32 v0, 1, v22
	v_mov_b32_e32 v1, 0
	v_lshl_add_u64 v[4:5], v[0:1], 0, -1
	v_cmp_ne_u32_e32 vcc, 0, v0
	; wave barrier
	s_nop 1
	v_xor_b32_e32 v4, vcc_lo, v4
	v_xor_b32_e32 v0, vcc_hi, v5
	v_and_b32_e32 v23, exec_lo, v4
	v_lshlrev_b32_e32 v5, 30, v22
	v_mov_b32_e32 v4, v1
	v_cmp_gt_i64_e32 vcc, 0, v[4:5]
	v_not_b32_e32 v4, v5
	v_ashrrev_i32_e32 v4, 31, v4
	v_and_b32_e32 v0, exec_hi, v0
	v_xor_b32_e32 v5, vcc_hi, v4
	v_xor_b32_e32 v4, vcc_lo, v4
	v_and_b32_e32 v0, v0, v5
	v_and_b32_e32 v23, v23, v4
	v_lshlrev_b32_e32 v5, 29, v22
	v_mov_b32_e32 v4, v1
	v_cmp_gt_i64_e32 vcc, 0, v[4:5]
	v_not_b32_e32 v4, v5
	v_ashrrev_i32_e32 v4, 31, v4
	v_xor_b32_e32 v5, vcc_hi, v4
	v_xor_b32_e32 v4, vcc_lo, v4
	v_and_b32_e32 v0, v0, v5
	v_and_b32_e32 v23, v23, v4
	v_lshlrev_b32_e32 v5, 28, v22
	v_mov_b32_e32 v4, v1
	v_cmp_gt_i64_e32 vcc, 0, v[4:5]
	v_not_b32_e32 v4, v5
	v_ashrrev_i32_e32 v4, 31, v4
	;; [unrolled: 9-line block ×6, first 2 shown]
	v_xor_b32_e32 v5, vcc_hi, v4
	v_xor_b32_e32 v4, vcc_lo, v4
	ds_read_b32 v17, v18 offset:16
	v_and_b32_e32 v4, v23, v4
	v_and_b32_e32 v5, v0, v5
	v_mbcnt_lo_u32_b32 v0, v4, 0
	v_mbcnt_hi_u32_b32 v22, v5, v0
	v_cmp_eq_u32_e32 vcc, 0, v22
	v_cmp_ne_u64_e64 s[0:1], 0, v[4:5]
	s_and_b64 s[4:5], s[0:1], vcc
	; wave barrier
	s_and_saveexec_b64 s[0:1], s[4:5]
	s_cbranch_execz .LBB96_159
; %bb.158:
	v_bcnt_u32_b32 v0, v4, 0
	v_bcnt_u32_b32 v0, v5, v0
	s_waitcnt lgkmcnt(0)
	v_add_u32_e32 v0, v17, v0
	ds_write_b32 v18, v0 offset:16
.LBB96_159:
	s_or_b64 exec, exec, s[0:1]
	s_waitcnt vmcnt(8)
	v_xor_b32_e32 v21, 0x80000000, v21
	v_lshrrev_b32_e32 v0, s64, v21
	v_and_b32_e32 v27, s11, v0
	v_mul_lo_u32 v0, v27, 20
	v_lshl_add_u32 v24, v20, 2, v0
	v_and_b32_e32 v0, 1, v27
	v_lshl_add_u64 v[4:5], v[0:1], 0, -1
	v_cmp_ne_u32_e32 vcc, 0, v0
	; wave barrier
	s_nop 1
	v_xor_b32_e32 v4, vcc_lo, v4
	v_xor_b32_e32 v0, vcc_hi, v5
	v_and_b32_e32 v28, exec_lo, v4
	v_lshlrev_b32_e32 v5, 30, v27
	v_mov_b32_e32 v4, v1
	v_cmp_gt_i64_e32 vcc, 0, v[4:5]
	v_not_b32_e32 v4, v5
	v_ashrrev_i32_e32 v4, 31, v4
	v_and_b32_e32 v0, exec_hi, v0
	v_xor_b32_e32 v5, vcc_hi, v4
	v_xor_b32_e32 v4, vcc_lo, v4
	v_and_b32_e32 v0, v0, v5
	v_and_b32_e32 v28, v28, v4
	v_lshlrev_b32_e32 v5, 29, v27
	v_mov_b32_e32 v4, v1
	v_cmp_gt_i64_e32 vcc, 0, v[4:5]
	v_not_b32_e32 v4, v5
	v_ashrrev_i32_e32 v4, 31, v4
	v_xor_b32_e32 v5, vcc_hi, v4
	v_xor_b32_e32 v4, vcc_lo, v4
	v_and_b32_e32 v0, v0, v5
	v_and_b32_e32 v28, v28, v4
	v_lshlrev_b32_e32 v5, 28, v27
	v_mov_b32_e32 v4, v1
	v_cmp_gt_i64_e32 vcc, 0, v[4:5]
	v_not_b32_e32 v4, v5
	v_ashrrev_i32_e32 v4, 31, v4
	;; [unrolled: 9-line block ×5, first 2 shown]
	v_xor_b32_e32 v5, vcc_hi, v4
	v_xor_b32_e32 v4, vcc_lo, v4
	v_and_b32_e32 v0, v0, v5
	v_lshlrev_b32_e32 v5, 24, v27
	v_and_b32_e32 v28, v28, v4
	v_mov_b32_e32 v4, v1
	v_not_b32_e32 v1, v5
	v_cmp_gt_i64_e32 vcc, 0, v[4:5]
	v_ashrrev_i32_e32 v1, 31, v1
	ds_read_b32 v23, v24 offset:16
	v_xor_b32_e32 v4, vcc_hi, v1
	v_xor_b32_e32 v5, vcc_lo, v1
	v_and_b32_e32 v1, v0, v4
	v_and_b32_e32 v0, v28, v5
	v_mbcnt_lo_u32_b32 v4, v0, 0
	v_mbcnt_hi_u32_b32 v27, v1, v4
	v_cmp_eq_u32_e32 vcc, 0, v27
	v_cmp_ne_u64_e64 s[0:1], 0, v[0:1]
	s_and_b64 s[4:5], s[0:1], vcc
	; wave barrier
	s_and_saveexec_b64 s[0:1], s[4:5]
	s_cbranch_execz .LBB96_161
; %bb.160:
	v_bcnt_u32_b32 v0, v0, 0
	v_bcnt_u32_b32 v0, v1, v0
	s_waitcnt lgkmcnt(0)
	v_add_u32_e32 v0, v23, v0
	ds_write_b32 v24, v0 offset:16
.LBB96_161:
	s_or_b64 exec, exec, s[0:1]
	s_waitcnt vmcnt(7)
	v_xor_b32_e32 v26, 0x80000000, v26
	v_lshrrev_b32_e32 v0, s64, v26
	v_and_b32_e32 v32, s11, v0
	v_mul_lo_u32 v0, v32, 20
	v_lshl_add_u32 v29, v20, 2, v0
	v_and_b32_e32 v0, 1, v32
	v_mov_b32_e32 v1, 0
	v_lshl_add_u64 v[4:5], v[0:1], 0, -1
	v_cmp_ne_u32_e32 vcc, 0, v0
	; wave barrier
	s_nop 1
	v_xor_b32_e32 v4, vcc_lo, v4
	v_xor_b32_e32 v0, vcc_hi, v5
	v_and_b32_e32 v33, exec_lo, v4
	v_lshlrev_b32_e32 v5, 30, v32
	v_mov_b32_e32 v4, v1
	v_cmp_gt_i64_e32 vcc, 0, v[4:5]
	v_not_b32_e32 v4, v5
	v_ashrrev_i32_e32 v4, 31, v4
	v_and_b32_e32 v0, exec_hi, v0
	v_xor_b32_e32 v5, vcc_hi, v4
	v_xor_b32_e32 v4, vcc_lo, v4
	v_and_b32_e32 v0, v0, v5
	v_and_b32_e32 v33, v33, v4
	v_lshlrev_b32_e32 v5, 29, v32
	v_mov_b32_e32 v4, v1
	v_cmp_gt_i64_e32 vcc, 0, v[4:5]
	v_not_b32_e32 v4, v5
	v_ashrrev_i32_e32 v4, 31, v4
	v_xor_b32_e32 v5, vcc_hi, v4
	v_xor_b32_e32 v4, vcc_lo, v4
	v_and_b32_e32 v0, v0, v5
	v_and_b32_e32 v33, v33, v4
	v_lshlrev_b32_e32 v5, 28, v32
	v_mov_b32_e32 v4, v1
	v_cmp_gt_i64_e32 vcc, 0, v[4:5]
	v_not_b32_e32 v4, v5
	v_ashrrev_i32_e32 v4, 31, v4
	;; [unrolled: 9-line block ×6, first 2 shown]
	v_xor_b32_e32 v5, vcc_hi, v4
	v_xor_b32_e32 v4, vcc_lo, v4
	ds_read_b32 v28, v29 offset:16
	v_and_b32_e32 v4, v33, v4
	v_and_b32_e32 v5, v0, v5
	v_mbcnt_lo_u32_b32 v0, v4, 0
	v_mbcnt_hi_u32_b32 v32, v5, v0
	v_cmp_eq_u32_e32 vcc, 0, v32
	v_cmp_ne_u64_e64 s[0:1], 0, v[4:5]
	s_and_b64 s[4:5], s[0:1], vcc
	; wave barrier
	s_and_saveexec_b64 s[0:1], s[4:5]
	s_cbranch_execz .LBB96_163
; %bb.162:
	v_bcnt_u32_b32 v0, v4, 0
	v_bcnt_u32_b32 v0, v5, v0
	s_waitcnt lgkmcnt(0)
	v_add_u32_e32 v0, v28, v0
	ds_write_b32 v29, v0 offset:16
.LBB96_163:
	s_or_b64 exec, exec, s[0:1]
	s_waitcnt vmcnt(6)
	v_xor_b32_e32 v31, 0x80000000, v31
	v_lshrrev_b32_e32 v0, s64, v31
	v_and_b32_e32 v37, s11, v0
	v_mul_lo_u32 v0, v37, 20
	v_lshl_add_u32 v34, v20, 2, v0
	v_and_b32_e32 v0, 1, v37
	v_lshl_add_u64 v[4:5], v[0:1], 0, -1
	v_cmp_ne_u32_e32 vcc, 0, v0
	; wave barrier
	s_nop 1
	v_xor_b32_e32 v4, vcc_lo, v4
	v_xor_b32_e32 v0, vcc_hi, v5
	v_and_b32_e32 v38, exec_lo, v4
	v_lshlrev_b32_e32 v5, 30, v37
	v_mov_b32_e32 v4, v1
	v_cmp_gt_i64_e32 vcc, 0, v[4:5]
	v_not_b32_e32 v4, v5
	v_ashrrev_i32_e32 v4, 31, v4
	v_and_b32_e32 v0, exec_hi, v0
	v_xor_b32_e32 v5, vcc_hi, v4
	v_xor_b32_e32 v4, vcc_lo, v4
	v_and_b32_e32 v0, v0, v5
	v_and_b32_e32 v38, v38, v4
	v_lshlrev_b32_e32 v5, 29, v37
	v_mov_b32_e32 v4, v1
	v_cmp_gt_i64_e32 vcc, 0, v[4:5]
	v_not_b32_e32 v4, v5
	v_ashrrev_i32_e32 v4, 31, v4
	v_xor_b32_e32 v5, vcc_hi, v4
	v_xor_b32_e32 v4, vcc_lo, v4
	v_and_b32_e32 v0, v0, v5
	v_and_b32_e32 v38, v38, v4
	v_lshlrev_b32_e32 v5, 28, v37
	v_mov_b32_e32 v4, v1
	v_cmp_gt_i64_e32 vcc, 0, v[4:5]
	v_not_b32_e32 v4, v5
	v_ashrrev_i32_e32 v4, 31, v4
	;; [unrolled: 9-line block ×5, first 2 shown]
	v_xor_b32_e32 v5, vcc_hi, v4
	v_xor_b32_e32 v4, vcc_lo, v4
	v_and_b32_e32 v0, v0, v5
	v_lshlrev_b32_e32 v5, 24, v37
	v_and_b32_e32 v38, v38, v4
	v_mov_b32_e32 v4, v1
	v_not_b32_e32 v1, v5
	v_cmp_gt_i64_e32 vcc, 0, v[4:5]
	v_ashrrev_i32_e32 v1, 31, v1
	ds_read_b32 v33, v34 offset:16
	v_xor_b32_e32 v4, vcc_hi, v1
	v_xor_b32_e32 v5, vcc_lo, v1
	v_and_b32_e32 v1, v0, v4
	v_and_b32_e32 v0, v38, v5
	v_mbcnt_lo_u32_b32 v4, v0, 0
	v_mbcnt_hi_u32_b32 v37, v1, v4
	v_cmp_eq_u32_e32 vcc, 0, v37
	v_cmp_ne_u64_e64 s[0:1], 0, v[0:1]
	s_and_b64 s[4:5], s[0:1], vcc
	; wave barrier
	s_and_saveexec_b64 s[0:1], s[4:5]
	s_cbranch_execz .LBB96_165
; %bb.164:
	v_bcnt_u32_b32 v0, v0, 0
	v_bcnt_u32_b32 v0, v1, v0
	s_waitcnt lgkmcnt(0)
	v_add_u32_e32 v0, v33, v0
	ds_write_b32 v34, v0 offset:16
.LBB96_165:
	s_or_b64 exec, exec, s[0:1]
	s_waitcnt vmcnt(5)
	v_xor_b32_e32 v36, 0x80000000, v36
	v_lshrrev_b32_e32 v0, s64, v36
	v_and_b32_e32 v41, s11, v0
	v_mul_lo_u32 v0, v41, 20
	v_lshl_add_u32 v39, v20, 2, v0
	v_and_b32_e32 v0, 1, v41
	v_mov_b32_e32 v1, 0
	v_lshl_add_u64 v[4:5], v[0:1], 0, -1
	v_cmp_ne_u32_e32 vcc, 0, v0
	; wave barrier
	s_nop 1
	v_xor_b32_e32 v4, vcc_lo, v4
	v_xor_b32_e32 v0, vcc_hi, v5
	v_and_b32_e32 v42, exec_lo, v4
	v_lshlrev_b32_e32 v5, 30, v41
	v_mov_b32_e32 v4, v1
	v_cmp_gt_i64_e32 vcc, 0, v[4:5]
	v_not_b32_e32 v4, v5
	v_ashrrev_i32_e32 v4, 31, v4
	v_and_b32_e32 v0, exec_hi, v0
	v_xor_b32_e32 v5, vcc_hi, v4
	v_xor_b32_e32 v4, vcc_lo, v4
	v_and_b32_e32 v0, v0, v5
	v_and_b32_e32 v42, v42, v4
	v_lshlrev_b32_e32 v5, 29, v41
	v_mov_b32_e32 v4, v1
	v_cmp_gt_i64_e32 vcc, 0, v[4:5]
	v_not_b32_e32 v4, v5
	v_ashrrev_i32_e32 v4, 31, v4
	v_xor_b32_e32 v5, vcc_hi, v4
	v_xor_b32_e32 v4, vcc_lo, v4
	v_and_b32_e32 v0, v0, v5
	v_and_b32_e32 v42, v42, v4
	v_lshlrev_b32_e32 v5, 28, v41
	v_mov_b32_e32 v4, v1
	v_cmp_gt_i64_e32 vcc, 0, v[4:5]
	v_not_b32_e32 v4, v5
	v_ashrrev_i32_e32 v4, 31, v4
	;; [unrolled: 9-line block ×6, first 2 shown]
	v_xor_b32_e32 v5, vcc_hi, v4
	v_xor_b32_e32 v4, vcc_lo, v4
	ds_read_b32 v38, v39 offset:16
	v_and_b32_e32 v4, v42, v4
	v_and_b32_e32 v5, v0, v5
	v_mbcnt_lo_u32_b32 v0, v4, 0
	v_mbcnt_hi_u32_b32 v41, v5, v0
	v_cmp_eq_u32_e32 vcc, 0, v41
	v_cmp_ne_u64_e64 s[0:1], 0, v[4:5]
	s_and_b64 s[4:5], s[0:1], vcc
	; wave barrier
	s_and_saveexec_b64 s[0:1], s[4:5]
	s_cbranch_execz .LBB96_167
; %bb.166:
	v_bcnt_u32_b32 v0, v4, 0
	v_bcnt_u32_b32 v0, v5, v0
	s_waitcnt lgkmcnt(0)
	v_add_u32_e32 v0, v38, v0
	ds_write_b32 v39, v0 offset:16
.LBB96_167:
	s_or_b64 exec, exec, s[0:1]
	s_waitcnt vmcnt(4)
	v_xor_b32_e32 v40, 0x80000000, v40
	v_lshrrev_b32_e32 v0, s64, v40
	v_and_b32_e32 v44, s11, v0
	v_mul_lo_u32 v0, v44, 20
	v_lshl_add_u32 v43, v20, 2, v0
	v_and_b32_e32 v0, 1, v44
	v_lshl_add_u64 v[4:5], v[0:1], 0, -1
	v_cmp_ne_u32_e32 vcc, 0, v0
	; wave barrier
	s_nop 1
	v_xor_b32_e32 v4, vcc_lo, v4
	v_xor_b32_e32 v0, vcc_hi, v5
	v_and_b32_e32 v45, exec_lo, v4
	v_lshlrev_b32_e32 v5, 30, v44
	v_mov_b32_e32 v4, v1
	v_cmp_gt_i64_e32 vcc, 0, v[4:5]
	v_not_b32_e32 v4, v5
	v_ashrrev_i32_e32 v4, 31, v4
	v_and_b32_e32 v0, exec_hi, v0
	v_xor_b32_e32 v5, vcc_hi, v4
	v_xor_b32_e32 v4, vcc_lo, v4
	v_and_b32_e32 v0, v0, v5
	v_and_b32_e32 v45, v45, v4
	v_lshlrev_b32_e32 v5, 29, v44
	v_mov_b32_e32 v4, v1
	v_cmp_gt_i64_e32 vcc, 0, v[4:5]
	v_not_b32_e32 v4, v5
	v_ashrrev_i32_e32 v4, 31, v4
	v_xor_b32_e32 v5, vcc_hi, v4
	v_xor_b32_e32 v4, vcc_lo, v4
	v_and_b32_e32 v0, v0, v5
	v_and_b32_e32 v45, v45, v4
	v_lshlrev_b32_e32 v5, 28, v44
	v_mov_b32_e32 v4, v1
	v_cmp_gt_i64_e32 vcc, 0, v[4:5]
	v_not_b32_e32 v4, v5
	v_ashrrev_i32_e32 v4, 31, v4
	;; [unrolled: 9-line block ×5, first 2 shown]
	v_xor_b32_e32 v5, vcc_hi, v4
	v_xor_b32_e32 v4, vcc_lo, v4
	v_and_b32_e32 v0, v0, v5
	v_lshlrev_b32_e32 v5, 24, v44
	v_and_b32_e32 v45, v45, v4
	v_mov_b32_e32 v4, v1
	v_not_b32_e32 v1, v5
	v_cmp_gt_i64_e32 vcc, 0, v[4:5]
	v_ashrrev_i32_e32 v1, 31, v1
	ds_read_b32 v42, v43 offset:16
	v_xor_b32_e32 v4, vcc_hi, v1
	v_xor_b32_e32 v5, vcc_lo, v1
	v_and_b32_e32 v1, v0, v4
	v_and_b32_e32 v0, v45, v5
	v_mbcnt_lo_u32_b32 v4, v0, 0
	v_mbcnt_hi_u32_b32 v44, v1, v4
	v_cmp_eq_u32_e32 vcc, 0, v44
	v_cmp_ne_u64_e64 s[0:1], 0, v[0:1]
	s_and_b64 s[4:5], s[0:1], vcc
	; wave barrier
	s_and_saveexec_b64 s[0:1], s[4:5]
	s_cbranch_execz .LBB96_169
; %bb.168:
	v_bcnt_u32_b32 v0, v0, 0
	v_bcnt_u32_b32 v0, v1, v0
	s_waitcnt lgkmcnt(0)
	v_add_u32_e32 v0, v42, v0
	ds_write_b32 v43, v0 offset:16
.LBB96_169:
	s_or_b64 exec, exec, s[0:1]
	s_waitcnt vmcnt(3)
	v_xor_b32_e32 v35, 0x80000000, v35
	v_lshrrev_b32_e32 v0, s64, v35
	v_and_b32_e32 v47, s11, v0
	v_mul_lo_u32 v0, v47, 20
	v_lshl_add_u32 v46, v20, 2, v0
	v_and_b32_e32 v0, 1, v47
	v_mov_b32_e32 v1, 0
	v_lshl_add_u64 v[4:5], v[0:1], 0, -1
	v_cmp_ne_u32_e32 vcc, 0, v0
	; wave barrier
	s_nop 1
	v_xor_b32_e32 v4, vcc_lo, v4
	v_xor_b32_e32 v0, vcc_hi, v5
	v_and_b32_e32 v48, exec_lo, v4
	v_lshlrev_b32_e32 v5, 30, v47
	v_mov_b32_e32 v4, v1
	v_cmp_gt_i64_e32 vcc, 0, v[4:5]
	v_not_b32_e32 v4, v5
	v_ashrrev_i32_e32 v4, 31, v4
	v_and_b32_e32 v0, exec_hi, v0
	v_xor_b32_e32 v5, vcc_hi, v4
	v_xor_b32_e32 v4, vcc_lo, v4
	v_and_b32_e32 v0, v0, v5
	v_and_b32_e32 v48, v48, v4
	v_lshlrev_b32_e32 v5, 29, v47
	v_mov_b32_e32 v4, v1
	v_cmp_gt_i64_e32 vcc, 0, v[4:5]
	v_not_b32_e32 v4, v5
	v_ashrrev_i32_e32 v4, 31, v4
	v_xor_b32_e32 v5, vcc_hi, v4
	v_xor_b32_e32 v4, vcc_lo, v4
	v_and_b32_e32 v0, v0, v5
	v_and_b32_e32 v48, v48, v4
	v_lshlrev_b32_e32 v5, 28, v47
	v_mov_b32_e32 v4, v1
	v_cmp_gt_i64_e32 vcc, 0, v[4:5]
	v_not_b32_e32 v4, v5
	v_ashrrev_i32_e32 v4, 31, v4
	;; [unrolled: 9-line block ×6, first 2 shown]
	v_xor_b32_e32 v5, vcc_hi, v4
	v_xor_b32_e32 v4, vcc_lo, v4
	ds_read_b32 v45, v46 offset:16
	v_and_b32_e32 v4, v48, v4
	v_and_b32_e32 v5, v0, v5
	v_mbcnt_lo_u32_b32 v0, v4, 0
	v_mbcnt_hi_u32_b32 v47, v5, v0
	v_cmp_eq_u32_e32 vcc, 0, v47
	v_cmp_ne_u64_e64 s[0:1], 0, v[4:5]
	s_and_b64 s[4:5], s[0:1], vcc
	; wave barrier
	s_and_saveexec_b64 s[0:1], s[4:5]
	s_cbranch_execz .LBB96_171
; %bb.170:
	v_bcnt_u32_b32 v0, v4, 0
	v_bcnt_u32_b32 v0, v5, v0
	s_waitcnt lgkmcnt(0)
	v_add_u32_e32 v0, v45, v0
	ds_write_b32 v46, v0 offset:16
.LBB96_171:
	s_or_b64 exec, exec, s[0:1]
	s_waitcnt vmcnt(2)
	v_xor_b32_e32 v30, 0x80000000, v30
	v_lshrrev_b32_e32 v0, s64, v30
	v_and_b32_e32 v50, s11, v0
	v_mul_lo_u32 v0, v50, 20
	v_lshl_add_u32 v49, v20, 2, v0
	v_and_b32_e32 v0, 1, v50
	v_lshl_add_u64 v[4:5], v[0:1], 0, -1
	v_cmp_ne_u32_e32 vcc, 0, v0
	; wave barrier
	s_nop 1
	v_xor_b32_e32 v4, vcc_lo, v4
	v_xor_b32_e32 v0, vcc_hi, v5
	v_and_b32_e32 v51, exec_lo, v4
	v_lshlrev_b32_e32 v5, 30, v50
	v_mov_b32_e32 v4, v1
	v_cmp_gt_i64_e32 vcc, 0, v[4:5]
	v_not_b32_e32 v4, v5
	v_ashrrev_i32_e32 v4, 31, v4
	v_and_b32_e32 v0, exec_hi, v0
	v_xor_b32_e32 v5, vcc_hi, v4
	v_xor_b32_e32 v4, vcc_lo, v4
	v_and_b32_e32 v0, v0, v5
	v_and_b32_e32 v51, v51, v4
	v_lshlrev_b32_e32 v5, 29, v50
	v_mov_b32_e32 v4, v1
	v_cmp_gt_i64_e32 vcc, 0, v[4:5]
	v_not_b32_e32 v4, v5
	v_ashrrev_i32_e32 v4, 31, v4
	v_xor_b32_e32 v5, vcc_hi, v4
	v_xor_b32_e32 v4, vcc_lo, v4
	v_and_b32_e32 v0, v0, v5
	v_and_b32_e32 v51, v51, v4
	v_lshlrev_b32_e32 v5, 28, v50
	v_mov_b32_e32 v4, v1
	v_cmp_gt_i64_e32 vcc, 0, v[4:5]
	v_not_b32_e32 v4, v5
	v_ashrrev_i32_e32 v4, 31, v4
	;; [unrolled: 9-line block ×5, first 2 shown]
	v_xor_b32_e32 v5, vcc_hi, v4
	v_xor_b32_e32 v4, vcc_lo, v4
	v_and_b32_e32 v0, v0, v5
	v_lshlrev_b32_e32 v5, 24, v50
	v_and_b32_e32 v51, v51, v4
	v_mov_b32_e32 v4, v1
	v_not_b32_e32 v1, v5
	v_cmp_gt_i64_e32 vcc, 0, v[4:5]
	v_ashrrev_i32_e32 v1, 31, v1
	ds_read_b32 v48, v49 offset:16
	v_xor_b32_e32 v4, vcc_hi, v1
	v_xor_b32_e32 v5, vcc_lo, v1
	v_and_b32_e32 v1, v0, v4
	v_and_b32_e32 v0, v51, v5
	v_mbcnt_lo_u32_b32 v4, v0, 0
	v_mbcnt_hi_u32_b32 v51, v1, v4
	v_cmp_eq_u32_e32 vcc, 0, v51
	v_cmp_ne_u64_e64 s[0:1], 0, v[0:1]
	s_and_b64 s[4:5], s[0:1], vcc
	; wave barrier
	s_and_saveexec_b64 s[0:1], s[4:5]
	s_cbranch_execz .LBB96_173
; %bb.172:
	v_bcnt_u32_b32 v0, v0, 0
	v_bcnt_u32_b32 v0, v1, v0
	s_waitcnt lgkmcnt(0)
	v_add_u32_e32 v0, v48, v0
	ds_write_b32 v49, v0 offset:16
.LBB96_173:
	s_or_b64 exec, exec, s[0:1]
	s_waitcnt vmcnt(1)
	v_xor_b32_e32 v50, 0x80000000, v25
	v_lshrrev_b32_e32 v0, s64, v50
	v_and_b32_e32 v53, s11, v0
	v_mul_lo_u32 v0, v53, 20
	v_lshl_add_u32 v25, v20, 2, v0
	v_and_b32_e32 v0, 1, v53
	v_mov_b32_e32 v1, 0
	v_lshl_add_u64 v[4:5], v[0:1], 0, -1
	v_cmp_ne_u32_e32 vcc, 0, v0
	; wave barrier
	s_nop 1
	v_xor_b32_e32 v4, vcc_lo, v4
	v_xor_b32_e32 v0, vcc_hi, v5
	v_and_b32_e32 v54, exec_lo, v4
	v_lshlrev_b32_e32 v5, 30, v53
	v_mov_b32_e32 v4, v1
	v_cmp_gt_i64_e32 vcc, 0, v[4:5]
	v_not_b32_e32 v4, v5
	v_ashrrev_i32_e32 v4, 31, v4
	v_and_b32_e32 v0, exec_hi, v0
	v_xor_b32_e32 v5, vcc_hi, v4
	v_xor_b32_e32 v4, vcc_lo, v4
	v_and_b32_e32 v0, v0, v5
	v_and_b32_e32 v54, v54, v4
	v_lshlrev_b32_e32 v5, 29, v53
	v_mov_b32_e32 v4, v1
	v_cmp_gt_i64_e32 vcc, 0, v[4:5]
	v_not_b32_e32 v4, v5
	v_ashrrev_i32_e32 v4, 31, v4
	v_xor_b32_e32 v5, vcc_hi, v4
	v_xor_b32_e32 v4, vcc_lo, v4
	v_and_b32_e32 v0, v0, v5
	v_and_b32_e32 v54, v54, v4
	v_lshlrev_b32_e32 v5, 28, v53
	v_mov_b32_e32 v4, v1
	v_cmp_gt_i64_e32 vcc, 0, v[4:5]
	v_not_b32_e32 v4, v5
	v_ashrrev_i32_e32 v4, 31, v4
	;; [unrolled: 9-line block ×6, first 2 shown]
	v_xor_b32_e32 v5, vcc_hi, v4
	v_xor_b32_e32 v4, vcc_lo, v4
	ds_read_b32 v52, v25 offset:16
	v_and_b32_e32 v4, v54, v4
	v_and_b32_e32 v5, v0, v5
	v_mbcnt_lo_u32_b32 v0, v4, 0
	v_mbcnt_hi_u32_b32 v54, v5, v0
	v_cmp_eq_u32_e32 vcc, 0, v54
	v_cmp_ne_u64_e64 s[0:1], 0, v[4:5]
	s_and_b64 s[4:5], s[0:1], vcc
	; wave barrier
	s_and_saveexec_b64 s[0:1], s[4:5]
	s_cbranch_execz .LBB96_175
; %bb.174:
	v_bcnt_u32_b32 v0, v4, 0
	v_bcnt_u32_b32 v0, v5, v0
	s_waitcnt lgkmcnt(0)
	v_add_u32_e32 v0, v52, v0
	ds_write_b32 v25, v0 offset:16
.LBB96_175:
	s_or_b64 exec, exec, s[0:1]
	s_waitcnt vmcnt(0)
	v_xor_b32_e32 v53, 0x80000000, v19
	v_lshrrev_b32_e32 v0, s64, v53
	v_and_b32_e32 v56, s11, v0
	v_mul_lo_u32 v0, v56, 20
	v_lshl_add_u32 v19, v20, 2, v0
	v_and_b32_e32 v0, 1, v56
	v_lshl_add_u64 v[4:5], v[0:1], 0, -1
	v_cmp_ne_u32_e32 vcc, 0, v0
	; wave barrier
	s_nop 1
	v_xor_b32_e32 v4, vcc_lo, v4
	v_xor_b32_e32 v0, vcc_hi, v5
	v_and_b32_e32 v20, exec_lo, v4
	v_lshlrev_b32_e32 v5, 30, v56
	v_mov_b32_e32 v4, v1
	v_cmp_gt_i64_e32 vcc, 0, v[4:5]
	v_not_b32_e32 v4, v5
	v_ashrrev_i32_e32 v4, 31, v4
	v_and_b32_e32 v0, exec_hi, v0
	v_xor_b32_e32 v5, vcc_hi, v4
	v_xor_b32_e32 v4, vcc_lo, v4
	v_and_b32_e32 v0, v0, v5
	v_and_b32_e32 v20, v20, v4
	v_lshlrev_b32_e32 v5, 29, v56
	v_mov_b32_e32 v4, v1
	v_cmp_gt_i64_e32 vcc, 0, v[4:5]
	v_not_b32_e32 v4, v5
	v_ashrrev_i32_e32 v4, 31, v4
	v_xor_b32_e32 v5, vcc_hi, v4
	v_xor_b32_e32 v4, vcc_lo, v4
	v_and_b32_e32 v0, v0, v5
	v_and_b32_e32 v20, v20, v4
	v_lshlrev_b32_e32 v5, 28, v56
	v_mov_b32_e32 v4, v1
	v_cmp_gt_i64_e32 vcc, 0, v[4:5]
	v_not_b32_e32 v4, v5
	v_ashrrev_i32_e32 v4, 31, v4
	;; [unrolled: 9-line block ×5, first 2 shown]
	v_xor_b32_e32 v5, vcc_hi, v4
	v_xor_b32_e32 v4, vcc_lo, v4
	v_and_b32_e32 v0, v0, v5
	v_lshlrev_b32_e32 v5, 24, v56
	v_and_b32_e32 v20, v20, v4
	v_mov_b32_e32 v4, v1
	v_not_b32_e32 v1, v5
	v_cmp_gt_i64_e32 vcc, 0, v[4:5]
	v_ashrrev_i32_e32 v1, 31, v1
	ds_read_b32 v55, v19 offset:16
	v_xor_b32_e32 v4, vcc_hi, v1
	v_xor_b32_e32 v5, vcc_lo, v1
	v_and_b32_e32 v1, v0, v4
	v_and_b32_e32 v0, v20, v5
	v_mbcnt_lo_u32_b32 v4, v0, 0
	v_mbcnt_hi_u32_b32 v56, v1, v4
	v_cmp_eq_u32_e32 vcc, 0, v56
	v_cmp_ne_u64_e64 s[0:1], 0, v[0:1]
	s_and_b64 s[4:5], s[0:1], vcc
	; wave barrier
	s_and_saveexec_b64 s[0:1], s[4:5]
	s_cbranch_execz .LBB96_177
; %bb.176:
	v_bcnt_u32_b32 v0, v0, 0
	v_bcnt_u32_b32 v0, v1, v0
	s_waitcnt lgkmcnt(0)
	v_add_u32_e32 v0, v55, v0
	ds_write_b32 v19, v0 offset:16
.LBB96_177:
	s_or_b64 exec, exec, s[0:1]
	; wave barrier
	s_waitcnt lgkmcnt(0)
	s_barrier
	ds_read2_b32 v[4:5], v6 offset0:4 offset1:5
	ds_read2_b32 v[0:1], v6 offset0:6 offset1:7
	ds_read_b32 v20, v6 offset:32
	v_min_u32_e32 v8, 0xc0, v8
	v_or_b32_e32 v8, 63, v8
	s_waitcnt lgkmcnt(1)
	v_add3_u32 v57, v5, v4, v0
	s_waitcnt lgkmcnt(0)
	v_add3_u32 v20, v57, v1, v20
	v_and_b32_e32 v57, 15, v9
	v_cmp_ne_u32_e32 vcc, 0, v57
	v_mov_b32_dpp v58, v20 row_shr:1 row_mask:0xf bank_mask:0xf
	s_nop 0
	v_cndmask_b32_e32 v58, 0, v58, vcc
	v_add_u32_e32 v20, v58, v20
	v_cmp_lt_u32_e32 vcc, 1, v57
	s_nop 0
	v_mov_b32_dpp v58, v20 row_shr:2 row_mask:0xf bank_mask:0xf
	v_cndmask_b32_e32 v58, 0, v58, vcc
	v_add_u32_e32 v20, v20, v58
	v_cmp_lt_u32_e32 vcc, 3, v57
	s_nop 0
	v_mov_b32_dpp v58, v20 row_shr:4 row_mask:0xf bank_mask:0xf
	;; [unrolled: 5-line block ×3, first 2 shown]
	v_cndmask_b32_e32 v57, 0, v58, vcc
	v_add_u32_e32 v20, v20, v57
	v_bfe_i32 v58, v9, 4, 1
	v_cmp_lt_u32_e32 vcc, 31, v9
	v_mov_b32_dpp v57, v20 row_bcast:15 row_mask:0xf bank_mask:0xf
	v_and_b32_e32 v57, v58, v57
	v_add_u32_e32 v20, v20, v57
	s_nop 1
	v_mov_b32_dpp v57, v20 row_bcast:31 row_mask:0xf bank_mask:0xf
	v_cndmask_b32_e32 v57, 0, v57, vcc
	v_add_u32_e32 v20, v20, v57
	v_lshrrev_b32_e32 v57, 6, v2
	v_cmp_eq_u32_e32 vcc, v2, v8
	s_and_saveexec_b64 s[0:1], vcc
; %bb.178:
	v_lshlrev_b32_e32 v8, 2, v57
	ds_write_b32 v8, v20
; %bb.179:
	s_or_b64 exec, exec, s[0:1]
	v_cmp_gt_u32_e32 vcc, 4, v2
	v_lshlrev_b32_e32 v8, 2, v2
	s_waitcnt lgkmcnt(0)
	s_barrier
	s_and_saveexec_b64 s[0:1], vcc
	s_cbranch_execz .LBB96_181
; %bb.180:
	ds_read_b32 v58, v8
	v_and_b32_e32 v59, 3, v9
	v_cmp_ne_u32_e32 vcc, 0, v59
	s_waitcnt lgkmcnt(0)
	v_mov_b32_dpp v60, v58 row_shr:1 row_mask:0xf bank_mask:0xf
	v_cndmask_b32_e32 v60, 0, v60, vcc
	v_add_u32_e32 v58, v60, v58
	v_cmp_lt_u32_e32 vcc, 1, v59
	s_nop 0
	v_mov_b32_dpp v60, v58 row_shr:2 row_mask:0xf bank_mask:0xf
	v_cndmask_b32_e32 v59, 0, v60, vcc
	v_add_u32_e32 v58, v58, v59
	ds_write_b32 v8, v58
.LBB96_181:
	s_or_b64 exec, exec, s[0:1]
	v_cmp_lt_u32_e32 vcc, 63, v2
	v_mov_b32_e32 v58, 0
	s_waitcnt lgkmcnt(0)
	s_barrier
	s_and_saveexec_b64 s[0:1], vcc
; %bb.182:
	v_lshl_add_u32 v57, v57, 2, -4
	ds_read_b32 v58, v57
; %bb.183:
	s_or_b64 exec, exec, s[0:1]
	v_add_u32_e32 v57, -1, v9
	v_and_b32_e32 v59, 64, v9
	v_cmp_lt_i32_e32 vcc, v57, v59
	s_waitcnt lgkmcnt(0)
	v_add_u32_e32 v20, v58, v20
	s_movk_i32 s0, 0x100
	v_cndmask_b32_e32 v57, v57, v9, vcc
	v_lshlrev_b32_e32 v57, 2, v57
	ds_bpermute_b32 v20, v57, v20
	v_cmp_eq_u32_e32 vcc, 0, v9
	s_waitcnt lgkmcnt(0)
	s_nop 0
	v_cndmask_b32_e32 v20, v20, v58, vcc
	v_cmp_ne_u32_e32 vcc, 0, v2
	s_nop 1
	v_cndmask_b32_e32 v20, 0, v20, vcc
	v_add_u32_e32 v4, v20, v4
	v_add_u32_e32 v5, v4, v5
	;; [unrolled: 1-line block ×4, first 2 shown]
	ds_write2_b32 v6, v20, v4 offset0:4 offset1:5
	ds_write2_b32 v6, v5, v0 offset0:6 offset1:7
	ds_write_b32 v6, v1 offset:32
	s_waitcnt lgkmcnt(0)
	s_barrier
	ds_read_b32 v4, v43 offset:16
	ds_read_b32 v5, v46 offset:16
	;; [unrolled: 1-line block ×13, first 2 shown]
	v_add_u32_e32 v6, 1, v2
	v_cmp_ne_u32_e32 vcc, s0, v6
	v_mov_b32_e32 v1, 0xc00
	s_and_saveexec_b64 s[0:1], vcc
; %bb.184:
	v_mul_u32_u24_e32 v1, 20, v6
	ds_read_b32 v1, v1 offset:16
; %bb.185:
	s_or_b64 exec, exec, s[0:1]
	s_waitcnt lgkmcnt(7)
	v_add_u32_e32 v29, v10, v12
	s_waitcnt lgkmcnt(6)
	v_add3_u32 v25, v16, v13, v14
	s_waitcnt lgkmcnt(5)
	v_add3_u32 v24, v22, v17, v18
	v_add3_u32 v18, v44, v42, v4
	v_lshlrev_b32_e32 v4, 2, v29
	s_waitcnt lgkmcnt(0)
	s_barrier
	ds_write_b32 v4, v7 offset:2048
	v_lshlrev_b32_e32 v4, 2, v25
	v_add3_u32 v23, v27, v23, v19
	ds_write_b32 v4, v11 offset:2048
	v_lshlrev_b32_e32 v4, 2, v24
	v_add3_u32 v22, v32, v28, v20
	;; [unrolled: 3-line block ×4, first 2 shown]
	ds_write_b32 v4, v26 offset:2048
	v_lshlrev_b32_e32 v4, 2, v20
	ds_write_b32 v4, v31 offset:2048
	v_lshlrev_b32_e32 v4, 2, v19
	v_add3_u32 v17, v47, v45, v5
	ds_write_b32 v4, v36 offset:2048
	v_lshlrev_b32_e32 v4, 2, v18
	v_add3_u32 v16, v51, v48, v43
	;; [unrolled: 3-line block ×4, first 2 shown]
	ds_write_b32 v4, v30 offset:2048
	v_lshlrev_b32_e32 v4, 2, v14
	ds_write_b32 v4, v50 offset:2048
	v_lshlrev_b32_e32 v4, 2, v5
	ds_write_b32 v4, v53 offset:2048
	v_sub_u32_e32 v4, v1, v0
	v_lshl_add_u32 v6, s2, 8, v2
	v_mov_b32_e32 v7, 0
	v_lshl_add_u64 v[10:11], v[6:7], 2, s[70:71]
	v_or_b32_e32 v1, 2.0, v4
	s_mov_b64 s[0:1], 0
	s_brev_b32 s8, -4
	v_mov_b32_e32 v15, 0
	s_waitcnt lgkmcnt(0)
	s_barrier
	global_store_dword v[10:11], v1, off sc1
                                        ; implicit-def: $sgpr4_sgpr5
	s_branch .LBB96_188
.LBB96_186:                             ;   in Loop: Header=BB96_188 Depth=1
	s_or_b64 exec, exec, s[6:7]
.LBB96_187:                             ;   in Loop: Header=BB96_188 Depth=1
	s_or_b64 exec, exec, s[4:5]
	v_and_b32_e32 v6, 0x3fffffff, v1
	v_add_u32_e32 v15, v6, v15
	v_cmp_gt_i32_e64 s[4:5], -2.0, v1
	s_and_b64 s[6:7], exec, s[4:5]
	s_or_b64 s[0:1], s[6:7], s[0:1]
	s_andn2_b64 exec, exec, s[0:1]
	s_cbranch_execz .LBB96_193
.LBB96_188:                             ; =>This Loop Header: Depth=1
                                        ;     Child Loop BB96_191 Depth 2
	s_or_b64 s[4:5], s[4:5], exec
	s_cmp_eq_u32 s3, 0
	s_cbranch_scc1 .LBB96_192
; %bb.189:                              ;   in Loop: Header=BB96_188 Depth=1
	s_add_i32 s3, s3, -1
	v_lshl_add_u32 v6, s3, 8, v2
	v_lshl_add_u64 v[12:13], v[6:7], 2, s[70:71]
	global_load_dword v1, v[12:13], off sc1
	s_waitcnt vmcnt(0)
	v_cmp_gt_u32_e32 vcc, 2.0, v1
	s_and_saveexec_b64 s[4:5], vcc
	s_cbranch_execz .LBB96_187
; %bb.190:                              ;   in Loop: Header=BB96_188 Depth=1
	s_mov_b64 s[6:7], 0
.LBB96_191:                             ;   Parent Loop BB96_188 Depth=1
                                        ; =>  This Inner Loop Header: Depth=2
	global_load_dword v1, v[12:13], off sc1
	s_waitcnt vmcnt(0)
	v_cmp_lt_u32_e32 vcc, s8, v1
	s_or_b64 s[6:7], vcc, s[6:7]
	s_andn2_b64 exec, exec, s[6:7]
	s_cbranch_execnz .LBB96_191
	s_branch .LBB96_186
.LBB96_192:                             ;   in Loop: Header=BB96_188 Depth=1
                                        ; implicit-def: $sgpr3
	s_and_b64 s[6:7], exec, s[4:5]
	s_or_b64 s[0:1], s[6:7], s[0:1]
	s_andn2_b64 exec, exec, s[0:1]
	s_cbranch_execnz .LBB96_188
.LBB96_193:
	s_or_b64 exec, exec, s[0:1]
	v_add_u32_e32 v1, v15, v4
	v_or_b32_e32 v1, 0x80000000, v1
	v_lshlrev_b32_e32 v6, 3, v2
	global_store_dword v[10:11], v1, off sc1
	global_load_dwordx2 v[10:11], v6, s[60:61]
	v_sub_co_u32_e32 v12, vcc, v15, v0
	v_mov_b32_e32 v1, 0
	s_nop 0
	v_subb_co_u32_e64 v13, s[0:1], 0, 0, vcc
	s_lshl_b64 s[0:1], s[68:69], 3
	s_add_u32 s0, s56, s0
	v_lshlrev_b32_e32 v26, 3, v9
	v_mov_b32_e32 v27, v1
	s_addc_u32 s1, s57, s1
	v_lshlrev_b32_e32 v30, 3, v3
	v_sub_u32_e32 v3, v6, v8
	v_mov_b32_e32 v31, v1
	v_lshl_add_u64 v[26:27], s[0:1], 0, v[26:27]
	v_lshl_add_u64 v[26:27], v[26:27], 0, v[30:31]
	v_or_b32_e32 v21, 0x400, v2
	v_add_u32_e32 v28, 0x500, v2
	v_mov_b32_e32 v9, v1
	v_lshlrev_b32_e32 v32, 2, v21
	v_mov_b32_e32 v33, v1
	v_lshlrev_b32_e32 v34, 2, v28
	v_mov_b32_e32 v35, v1
	s_movk_i32 s0, 0x1000
	v_add_u32_e32 v60, 0x600, v2
	v_lshlrev_b32_e32 v36, 2, v60
	v_or_b32_e32 v69, 0x800, v2
	v_mov_b32_e32 v7, v1
	s_add_i32 s10, s10, -1
	s_cmp_lg_u32 s2, s10
	s_waitcnt vmcnt(0)
	v_lshl_add_u64 v[10:11], v[12:13], 0, v[10:11]
	ds_write_b64 v6, v[10:11]
	s_waitcnt lgkmcnt(0)
	s_barrier
	ds_read2st64_b32 v[10:11], v3 offset0:8 offset1:12
	ds_read2st64_b32 v[12:13], v3 offset0:16 offset1:20
	;; [unrolled: 1-line block ×4, first 2 shown]
	global_load_dwordx2 v[40:41], v[26:27], off
	global_load_dwordx2 v[42:43], v[26:27], off offset:512
	global_load_dwordx2 v[44:45], v[26:27], off offset:1024
	s_waitcnt lgkmcnt(3)
	v_lshrrev_b32_e32 v15, s64, v10
	v_xor_b32_e32 v37, 0x80000000, v10
	v_lshrrev_b32_e32 v10, s64, v11
	v_xor_b32_e32 v56, 0x80000000, v11
	s_waitcnt lgkmcnt(2)
	v_lshrrev_b32_e32 v11, s64, v12
	v_xor_b32_e32 v57, 0x80000000, v12
	v_lshrrev_b32_e32 v12, s64, v13
	v_xor_b32_e32 v58, 0x80000000, v13
	;; [unrolled: 5-line block ×3, first 2 shown]
	s_waitcnt lgkmcnt(0)
	v_lshrrev_b32_e32 v31, s64, v38
	v_lshrrev_b32_e32 v46, s64, v39
	v_and_b32_e32 v15, s11, v15
	v_and_b32_e32 v10, s11, v10
	;; [unrolled: 1-line block ×8, first 2 shown]
	v_lshlrev_b32_e32 v15, 3, v15
	v_lshlrev_b32_e32 v62, 3, v10
	;; [unrolled: 1-line block ×8, first 2 shown]
	ds_read_b64 v[10:11], v15
	ds_read_b64 v[12:13], v62
	;; [unrolled: 1-line block ×8, first 2 shown]
	s_waitcnt lgkmcnt(7)
	v_lshl_add_u64 v[10:11], v[10:11], 2, s[54:55]
	s_waitcnt lgkmcnt(6)
	v_lshl_add_u64 v[12:13], v[12:13], 2, s[54:55]
	s_waitcnt lgkmcnt(5)
	v_lshl_add_u64 v[30:31], v[30:31], 2, s[54:55]
	s_waitcnt lgkmcnt(4)
	v_lshl_add_u64 v[46:47], v[46:47], 2, s[54:55]
	s_waitcnt lgkmcnt(3)
	v_lshl_add_u64 v[48:49], v[48:49], 2, s[54:55]
	s_waitcnt lgkmcnt(2)
	v_lshl_add_u64 v[50:51], v[50:51], 2, s[54:55]
	v_lshl_add_u64 v[10:11], v[10:11], 0, v[8:9]
	v_lshl_add_u64 v[12:13], v[12:13], 0, v[8:9]
	;; [unrolled: 1-line block ×6, first 2 shown]
	global_store_dword v[10:11], v37, off
	global_store_dword v[12:13], v56, off offset:1024
	global_store_dword v[30:31], v57, off offset:2048
	;; [unrolled: 1-line block ×3, first 2 shown]
	global_store_dword v[32:33], v59, off
	global_store_dword v[34:35], v61, off
	global_load_dwordx2 v[8:9], v[26:27], off offset:1536
	s_nop 0
	global_load_dwordx2 v[10:11], v[26:27], off offset:2048
	global_load_dwordx2 v[12:13], v[26:27], off offset:2560
	;; [unrolled: 1-line block ×4, first 2 shown]
	v_add_co_u32_e32 v26, vcc, s0, v26
	ds_read2st64_b32 v[50:51], v3 offset0:40 offset1:44
	s_nop 0
	v_addc_co_u32_e32 v27, vcc, 0, v27, vcc
	global_load_dwordx2 v[34:35], v[26:27], off
	global_load_dwordx2 v[46:47], v[26:27], off offset:512
	global_load_dwordx2 v[48:49], v[26:27], off offset:1024
	s_waitcnt lgkmcnt(2)
	v_lshl_add_u64 v[52:53], v[52:53], 2, s[54:55]
	global_load_dwordx2 v[26:27], v[26:27], off offset:1536
	v_mov_b32_e32 v37, v1
	v_xor_b32_e32 v38, 0x80000000, v38
	v_lshl_add_u64 v[36:37], v[52:53], 0, v[36:37]
	v_add_u32_e32 v61, 0x700, v2
	global_store_dword v[36:37], v38, off
	v_xor_b32_e32 v52, 0x80000000, v39
	s_waitcnt lgkmcnt(1)
	v_lshl_add_u64 v[36:37], v[54:55], 2, s[54:55]
	v_lshlrev_b32_e32 v38, 2, v61
	v_mov_b32_e32 v39, v1
	v_lshl_add_u64 v[36:37], v[36:37], 0, v[38:39]
	global_store_dword v[36:37], v52, off
	s_waitcnt lgkmcnt(0)
	v_lshrrev_b32_e32 v36, s64, v50
	v_and_b32_e32 v36, s11, v36
	v_lshlrev_b32_e32 v70, 3, v36
	ds_read2st64_b32 v[36:37], v3 offset0:48 offset1:52
	ds_read_b64 v[38:39], v70
	v_lshrrev_b32_e32 v3, s64, v51
	v_and_b32_e32 v3, s11, v3
	v_lshlrev_b32_e32 v71, 3, v3
	s_waitcnt lgkmcnt(1)
	v_lshrrev_b32_e32 v3, s64, v36
	v_and_b32_e32 v3, s11, v3
	v_lshlrev_b32_e32 v72, 3, v3
	v_lshrrev_b32_e32 v3, s64, v37
	v_and_b32_e32 v3, s11, v3
	v_lshlrev_b32_e32 v73, 3, v3
	ds_read_b64 v[52:53], v71
	ds_read_b64 v[54:55], v72
	ds_read_b64 v[56:57], v73
	s_waitcnt lgkmcnt(3)
	v_lshl_add_u64 v[38:39], v[38:39], 2, s[54:55]
	v_lshlrev_b32_e32 v58, 2, v69
	v_mov_b32_e32 v59, v1
	v_xor_b32_e32 v50, 0x80000000, v50
	v_lshl_add_u64 v[38:39], v[38:39], 0, v[58:59]
	v_add_u32_e32 v58, 0x900, v2
	global_store_dword v[38:39], v50, off
	v_xor_b32_e32 v3, 0x80000000, v51
	s_waitcnt lgkmcnt(2)
	v_lshl_add_u64 v[38:39], v[52:53], 2, s[54:55]
	v_lshlrev_b32_e32 v50, 2, v58
	v_mov_b32_e32 v51, v1
	v_lshl_add_u64 v[38:39], v[38:39], 0, v[50:51]
	v_add_u32_e32 v52, 0xa00, v2
	global_store_dword v[38:39], v3, off
	s_waitcnt lgkmcnt(1)
	v_lshl_add_u64 v[38:39], v[54:55], 2, s[54:55]
	v_lshlrev_b32_e32 v50, 2, v52
	v_xor_b32_e32 v3, 0x80000000, v36
	v_lshl_add_u64 v[38:39], v[38:39], 0, v[50:51]
	global_store_dword v[38:39], v3, off
	v_add_u32_e32 v38, 0xb00, v2
	v_xor_b32_e32 v39, 0x80000000, v37
	s_waitcnt lgkmcnt(0)
	v_lshl_add_u64 v[2:3], v[56:57], 2, s[54:55]
	v_lshlrev_b32_e32 v36, 2, v38
	v_mov_b32_e32 v37, v1
	v_lshl_add_u64 v[2:3], v[2:3], 0, v[36:37]
	global_store_dword v[2:3], v39, off
	v_lshlrev_b32_e32 v2, 3, v29
	s_barrier
	s_waitcnt vmcnt(23)
	ds_write_b64 v2, v[40:41] offset:2048
	v_lshlrev_b32_e32 v2, 3, v25
	s_waitcnt vmcnt(22)
	ds_write_b64 v2, v[42:43] offset:2048
	v_lshlrev_b32_e32 v2, 3, v24
	;; [unrolled: 3-line block ×11, first 2 shown]
	s_waitcnt vmcnt(6)
	ds_write_b64 v2, v[26:27] offset:2048
	s_waitcnt lgkmcnt(0)
	s_barrier
	ds_read_b64 v[2:3], v15
	ds_read2st64_b64 v[8:11], v6 offset0:4 offset1:8
	ds_read_b64 v[12:13], v62
	ds_read_b64 v[14:15], v63
	;; [unrolled: 1-line block ×3, first 2 shown]
	s_waitcnt lgkmcnt(4)
	v_lshl_add_u64 v[2:3], v[2:3], 3, s[58:59]
	v_lshl_add_u64 v[2:3], v[2:3], 0, v[6:7]
	s_waitcnt lgkmcnt(3)
	global_store_dwordx2 v[2:3], v[8:9], off
	s_waitcnt lgkmcnt(2)
	v_lshl_add_u64 v[2:3], v[12:13], 3, s[58:59]
	v_lshl_add_u64 v[2:3], v[2:3], 0, v[6:7]
	global_store_dwordx2 v[2:3], v[10:11], off offset:2048
	ds_read2st64_b64 v[8:11], v6 offset0:12 offset1:16
	s_waitcnt lgkmcnt(2)
	v_lshl_add_u64 v[2:3], v[14:15], 3, s[58:59]
	v_add_u32_e32 v12, 0x1000, v6
	v_mov_b32_e32 v13, v1
	v_lshl_add_u64 v[2:3], v[2:3], 0, v[12:13]
	s_waitcnt lgkmcnt(0)
	global_store_dwordx2 v[2:3], v[8:9], off
	v_lshl_add_u64 v[2:3], v[16:17], 3, s[58:59]
	v_add_u32_e32 v8, 0x1800, v6
	v_mov_b32_e32 v9, v1
	v_lshl_add_u64 v[2:3], v[2:3], 0, v[8:9]
	global_store_dwordx2 v[2:3], v[10:11], off
	ds_read_b64 v[2:3], v65
	ds_read2st64_b64 v[8:11], v6 offset0:20 offset1:24
	ds_read_b64 v[12:13], v66
	ds_read_b64 v[14:15], v67
	;; [unrolled: 1-line block ×3, first 2 shown]
	s_waitcnt lgkmcnt(4)
	v_lshl_add_u64 v[2:3], v[2:3], 3, s[58:59]
	v_lshlrev_b32_e32 v18, 3, v21
	v_mov_b32_e32 v19, v1
	v_lshl_add_u64 v[2:3], v[2:3], 0, v[18:19]
	s_waitcnt lgkmcnt(3)
	global_store_dwordx2 v[2:3], v[8:9], off
	s_waitcnt lgkmcnt(2)
	v_lshl_add_u64 v[2:3], v[12:13], 3, s[58:59]
	v_lshlrev_b32_e32 v8, 3, v28
	v_mov_b32_e32 v9, v1
	v_lshl_add_u64 v[2:3], v[2:3], 0, v[8:9]
	global_store_dwordx2 v[2:3], v[10:11], off
	ds_read2st64_b64 v[8:11], v6 offset0:28 offset1:32
	s_waitcnt lgkmcnt(2)
	v_lshl_add_u64 v[2:3], v[14:15], 3, s[58:59]
	v_lshlrev_b32_e32 v12, 3, v60
	v_mov_b32_e32 v13, v1
	v_lshl_add_u64 v[2:3], v[2:3], 0, v[12:13]
	s_waitcnt lgkmcnt(0)
	global_store_dwordx2 v[2:3], v[8:9], off
	v_lshl_add_u64 v[2:3], v[16:17], 3, s[58:59]
	v_lshlrev_b32_e32 v8, 3, v61
	v_mov_b32_e32 v9, v1
	v_lshl_add_u64 v[2:3], v[2:3], 0, v[8:9]
	global_store_dwordx2 v[2:3], v[10:11], off
	ds_read_b64 v[2:3], v70
	ds_read2st64_b64 v[8:11], v6 offset0:36 offset1:40
	ds_read_b64 v[12:13], v71
	ds_read_b64 v[14:15], v72
	;; [unrolled: 1-line block ×3, first 2 shown]
	s_waitcnt lgkmcnt(4)
	v_lshl_add_u64 v[2:3], v[2:3], 3, s[58:59]
	v_lshlrev_b32_e32 v18, 3, v69
	v_lshl_add_u64 v[2:3], v[2:3], 0, v[18:19]
	s_waitcnt lgkmcnt(3)
	global_store_dwordx2 v[2:3], v[8:9], off
	s_waitcnt lgkmcnt(2)
	v_lshl_add_u64 v[2:3], v[12:13], 3, s[58:59]
	v_lshlrev_b32_e32 v8, 3, v58
	v_mov_b32_e32 v9, v1
	v_lshl_add_u64 v[2:3], v[2:3], 0, v[8:9]
	global_store_dwordx2 v[2:3], v[10:11], off
	ds_read2st64_b64 v[8:11], v6 offset0:44 offset1:48
	s_waitcnt lgkmcnt(2)
	v_lshl_add_u64 v[2:3], v[14:15], 3, s[58:59]
	v_lshlrev_b32_e32 v12, 3, v52
	v_mov_b32_e32 v13, v1
	v_lshl_add_u64 v[2:3], v[2:3], 0, v[12:13]
	s_waitcnt lgkmcnt(0)
	global_store_dwordx2 v[2:3], v[8:9], off
	v_lshl_add_u64 v[2:3], v[16:17], 3, s[58:59]
	v_lshlrev_b32_e32 v8, 3, v38
	v_mov_b32_e32 v9, v1
	v_lshl_add_u64 v[2:3], v[2:3], 0, v[8:9]
	global_store_dwordx2 v[2:3], v[10:11], off
	s_cbranch_scc1 .LBB96_195
; %bb.194:
	ds_read_b64 v[2:3], v6
	v_mov_b32_e32 v5, v1
	v_lshl_add_u64 v[0:1], v[4:5], 0, v[0:1]
	s_waitcnt lgkmcnt(0)
	v_lshl_add_u64 v[0:1], v[0:1], 0, v[2:3]
	global_store_dwordx2 v6, v[0:1], s[62:63]
.LBB96_195:
	s_endpgm
.LBB96_196:
	s_or_b64 exec, exec, s[4:5]
	s_and_saveexec_b64 s[4:5], s[26:27]
	s_cbranch_execz .LBB96_139
.LBB96_197:
	v_lshlrev_b32_e32 v2, 3, v38
	ds_read_b64 v[22:23], v2
	ds_read_b64 v[24:25], v8 offset:4096
	v_mov_b32_e32 v9, 0
	s_waitcnt lgkmcnt(1)
	v_lshl_add_u64 v[22:23], v[22:23], 3, s[58:59]
	v_lshl_add_u64 v[22:23], v[22:23], 0, v[8:9]
	s_waitcnt lgkmcnt(0)
	global_store_dwordx2 v[22:23], v[24:25], off offset:2048
	s_or_b64 exec, exec, s[4:5]
	s_and_saveexec_b64 s[4:5], s[28:29]
	s_cbranch_execnz .LBB96_140
.LBB96_198:
	s_or_b64 exec, exec, s[4:5]
	s_and_saveexec_b64 s[4:5], s[30:31]
	s_cbranch_execz .LBB96_141
.LBB96_199:
	v_lshlrev_b32_e32 v2, 3, v36
	ds_read_b64 v[22:23], v2
	ds_read_b64 v[24:25], v8 offset:8192
	v_lshlrev_b32_e32 v12, 3, v13
	v_mov_b32_e32 v13, 0
	s_waitcnt lgkmcnt(1)
	v_lshl_add_u64 v[22:23], v[22:23], 3, s[58:59]
	v_lshl_add_u64 v[12:13], v[22:23], 0, v[12:13]
	s_waitcnt lgkmcnt(0)
	global_store_dwordx2 v[12:13], v[24:25], off
	s_or_b64 exec, exec, s[4:5]
	s_and_saveexec_b64 s[4:5], s[34:35]
	s_cbranch_execnz .LBB96_142
.LBB96_200:
	s_or_b64 exec, exec, s[4:5]
	s_and_saveexec_b64 s[4:5], s[36:37]
	s_cbranch_execz .LBB96_143
.LBB96_201:
	v_lshlrev_b32_e32 v2, 3, v34
	ds_read_b64 v[12:13], v2
	ds_read_b64 v[22:23], v8 offset:12288
	v_lshlrev_b32_e32 v24, 3, v16
	v_mov_b32_e32 v25, 0
	s_waitcnt lgkmcnt(1)
	v_lshl_add_u64 v[12:13], v[12:13], 3, s[58:59]
	v_lshl_add_u64 v[12:13], v[12:13], 0, v[24:25]
	s_waitcnt lgkmcnt(0)
	global_store_dwordx2 v[12:13], v[22:23], off
	s_or_b64 exec, exec, s[4:5]
	s_and_saveexec_b64 s[4:5], s[38:39]
	s_cbranch_execnz .LBB96_144
.LBB96_202:
	s_or_b64 exec, exec, s[4:5]
	s_and_saveexec_b64 s[4:5], s[40:41]
	s_cbranch_execz .LBB96_145
.LBB96_203:
	v_lshlrev_b32_e32 v2, 3, v11
	ds_read_b64 v[12:13], v2
	ds_read_b64 v[16:17], v8 offset:16384
	v_lshlrev_b32_e32 v18, 3, v18
	v_mov_b32_e32 v19, 0
	s_waitcnt lgkmcnt(1)
	v_lshl_add_u64 v[12:13], v[12:13], 3, s[58:59]
	v_lshl_add_u64 v[12:13], v[12:13], 0, v[18:19]
	s_waitcnt lgkmcnt(0)
	global_store_dwordx2 v[12:13], v[16:17], off
	s_or_b64 exec, exec, s[4:5]
	s_and_saveexec_b64 s[4:5], s[42:43]
	s_cbranch_execnz .LBB96_146
.LBB96_204:
	s_or_b64 exec, exec, s[4:5]
	s_and_saveexec_b64 s[4:5], s[44:45]
	s_cbranch_execz .LBB96_147
.LBB96_205:
	v_lshlrev_b32_e32 v2, 3, v10
	ds_read_b64 v[10:11], v2
	ds_read_b64 v[12:13], v8 offset:20480
	v_lshlrev_b32_e32 v16, 3, v21
	v_mov_b32_e32 v17, 0
	s_waitcnt lgkmcnt(1)
	v_lshl_add_u64 v[10:11], v[10:11], 3, s[58:59]
	v_lshl_add_u64 v[10:11], v[10:11], 0, v[16:17]
	s_waitcnt lgkmcnt(0)
	global_store_dwordx2 v[10:11], v[12:13], off
	s_or_b64 exec, exec, s[4:5]
	s_and_saveexec_b64 s[4:5], s[46:47]
	s_cbranch_execnz .LBB96_148
.LBB96_206:
	s_or_b64 exec, exec, s[4:5]
	s_and_saveexec_b64 s[4:5], s[48:49]
	s_cbranch_execz .LBB96_149
.LBB96_207:
	v_lshlrev_b32_e32 v2, 3, v3
	ds_read_b64 v[2:3], v2
	ds_read_b64 v[10:11], v8 offset:24576
	v_lshlrev_b32_e32 v12, 3, v31
	v_mov_b32_e32 v13, 0
	s_waitcnt lgkmcnt(1)
	v_lshl_add_u64 v[2:3], v[2:3], 3, s[58:59]
	v_lshl_add_u64 v[2:3], v[2:3], 0, v[12:13]
	s_waitcnt lgkmcnt(0)
	global_store_dwordx2 v[2:3], v[10:11], off
	s_or_b64 exec, exec, s[4:5]
	s_add_i32 s33, s33, -1
	s_cmp_eq_u32 s2, s33
	s_cbranch_scc1 .LBB96_150
	s_branch .LBB96_151
	.section	.rodata,"a",@progbits
	.p2align	6, 0x0
	.amdhsa_kernel _ZN7rocprim17ROCPRIM_304000_NS6detail25onesweep_iteration_kernelINS1_34wrapped_radix_sort_onesweep_configINS0_14default_configEiN2at4cuda3cub6detail10OpaqueTypeILi8EEEEELb0EPKiPiPKSA_PSA_mNS0_19identity_decomposerEEEvT1_T2_T3_T4_jPT5_SO_PNS1_23onesweep_lookback_stateET6_jjj
		.amdhsa_group_segment_fixed_size 26624
		.amdhsa_private_segment_fixed_size 0
		.amdhsa_kernarg_size 336
		.amdhsa_user_sgpr_count 2
		.amdhsa_user_sgpr_dispatch_ptr 0
		.amdhsa_user_sgpr_queue_ptr 0
		.amdhsa_user_sgpr_kernarg_segment_ptr 1
		.amdhsa_user_sgpr_dispatch_id 0
		.amdhsa_user_sgpr_kernarg_preload_length 0
		.amdhsa_user_sgpr_kernarg_preload_offset 0
		.amdhsa_user_sgpr_private_segment_size 0
		.amdhsa_uses_dynamic_stack 0
		.amdhsa_enable_private_segment 0
		.amdhsa_system_sgpr_workgroup_id_x 1
		.amdhsa_system_sgpr_workgroup_id_y 0
		.amdhsa_system_sgpr_workgroup_id_z 0
		.amdhsa_system_sgpr_workgroup_info 0
		.amdhsa_system_vgpr_workitem_id 2
		.amdhsa_next_free_vgpr 74
		.amdhsa_next_free_sgpr 91
		.amdhsa_accum_offset 76
		.amdhsa_reserve_vcc 1
		.amdhsa_float_round_mode_32 0
		.amdhsa_float_round_mode_16_64 0
		.amdhsa_float_denorm_mode_32 3
		.amdhsa_float_denorm_mode_16_64 3
		.amdhsa_dx10_clamp 1
		.amdhsa_ieee_mode 1
		.amdhsa_fp16_overflow 0
		.amdhsa_tg_split 0
		.amdhsa_exception_fp_ieee_invalid_op 0
		.amdhsa_exception_fp_denorm_src 0
		.amdhsa_exception_fp_ieee_div_zero 0
		.amdhsa_exception_fp_ieee_overflow 0
		.amdhsa_exception_fp_ieee_underflow 0
		.amdhsa_exception_fp_ieee_inexact 0
		.amdhsa_exception_int_div_zero 0
	.end_amdhsa_kernel
	.section	.text._ZN7rocprim17ROCPRIM_304000_NS6detail25onesweep_iteration_kernelINS1_34wrapped_radix_sort_onesweep_configINS0_14default_configEiN2at4cuda3cub6detail10OpaqueTypeILi8EEEEELb0EPKiPiPKSA_PSA_mNS0_19identity_decomposerEEEvT1_T2_T3_T4_jPT5_SO_PNS1_23onesweep_lookback_stateET6_jjj,"axG",@progbits,_ZN7rocprim17ROCPRIM_304000_NS6detail25onesweep_iteration_kernelINS1_34wrapped_radix_sort_onesweep_configINS0_14default_configEiN2at4cuda3cub6detail10OpaqueTypeILi8EEEEELb0EPKiPiPKSA_PSA_mNS0_19identity_decomposerEEEvT1_T2_T3_T4_jPT5_SO_PNS1_23onesweep_lookback_stateET6_jjj,comdat
.Lfunc_end96:
	.size	_ZN7rocprim17ROCPRIM_304000_NS6detail25onesweep_iteration_kernelINS1_34wrapped_radix_sort_onesweep_configINS0_14default_configEiN2at4cuda3cub6detail10OpaqueTypeILi8EEEEELb0EPKiPiPKSA_PSA_mNS0_19identity_decomposerEEEvT1_T2_T3_T4_jPT5_SO_PNS1_23onesweep_lookback_stateET6_jjj, .Lfunc_end96-_ZN7rocprim17ROCPRIM_304000_NS6detail25onesweep_iteration_kernelINS1_34wrapped_radix_sort_onesweep_configINS0_14default_configEiN2at4cuda3cub6detail10OpaqueTypeILi8EEEEELb0EPKiPiPKSA_PSA_mNS0_19identity_decomposerEEEvT1_T2_T3_T4_jPT5_SO_PNS1_23onesweep_lookback_stateET6_jjj
                                        ; -- End function
	.set _ZN7rocprim17ROCPRIM_304000_NS6detail25onesweep_iteration_kernelINS1_34wrapped_radix_sort_onesweep_configINS0_14default_configEiN2at4cuda3cub6detail10OpaqueTypeILi8EEEEELb0EPKiPiPKSA_PSA_mNS0_19identity_decomposerEEEvT1_T2_T3_T4_jPT5_SO_PNS1_23onesweep_lookback_stateET6_jjj.num_vgpr, 74
	.set _ZN7rocprim17ROCPRIM_304000_NS6detail25onesweep_iteration_kernelINS1_34wrapped_radix_sort_onesweep_configINS0_14default_configEiN2at4cuda3cub6detail10OpaqueTypeILi8EEEEELb0EPKiPiPKSA_PSA_mNS0_19identity_decomposerEEEvT1_T2_T3_T4_jPT5_SO_PNS1_23onesweep_lookback_stateET6_jjj.num_agpr, 0
	.set _ZN7rocprim17ROCPRIM_304000_NS6detail25onesweep_iteration_kernelINS1_34wrapped_radix_sort_onesweep_configINS0_14default_configEiN2at4cuda3cub6detail10OpaqueTypeILi8EEEEELb0EPKiPiPKSA_PSA_mNS0_19identity_decomposerEEEvT1_T2_T3_T4_jPT5_SO_PNS1_23onesweep_lookback_stateET6_jjj.numbered_sgpr, 73
	.set _ZN7rocprim17ROCPRIM_304000_NS6detail25onesweep_iteration_kernelINS1_34wrapped_radix_sort_onesweep_configINS0_14default_configEiN2at4cuda3cub6detail10OpaqueTypeILi8EEEEELb0EPKiPiPKSA_PSA_mNS0_19identity_decomposerEEEvT1_T2_T3_T4_jPT5_SO_PNS1_23onesweep_lookback_stateET6_jjj.num_named_barrier, 0
	.set _ZN7rocprim17ROCPRIM_304000_NS6detail25onesweep_iteration_kernelINS1_34wrapped_radix_sort_onesweep_configINS0_14default_configEiN2at4cuda3cub6detail10OpaqueTypeILi8EEEEELb0EPKiPiPKSA_PSA_mNS0_19identity_decomposerEEEvT1_T2_T3_T4_jPT5_SO_PNS1_23onesweep_lookback_stateET6_jjj.private_seg_size, 0
	.set _ZN7rocprim17ROCPRIM_304000_NS6detail25onesweep_iteration_kernelINS1_34wrapped_radix_sort_onesweep_configINS0_14default_configEiN2at4cuda3cub6detail10OpaqueTypeILi8EEEEELb0EPKiPiPKSA_PSA_mNS0_19identity_decomposerEEEvT1_T2_T3_T4_jPT5_SO_PNS1_23onesweep_lookback_stateET6_jjj.uses_vcc, 1
	.set _ZN7rocprim17ROCPRIM_304000_NS6detail25onesweep_iteration_kernelINS1_34wrapped_radix_sort_onesweep_configINS0_14default_configEiN2at4cuda3cub6detail10OpaqueTypeILi8EEEEELb0EPKiPiPKSA_PSA_mNS0_19identity_decomposerEEEvT1_T2_T3_T4_jPT5_SO_PNS1_23onesweep_lookback_stateET6_jjj.uses_flat_scratch, 0
	.set _ZN7rocprim17ROCPRIM_304000_NS6detail25onesweep_iteration_kernelINS1_34wrapped_radix_sort_onesweep_configINS0_14default_configEiN2at4cuda3cub6detail10OpaqueTypeILi8EEEEELb0EPKiPiPKSA_PSA_mNS0_19identity_decomposerEEEvT1_T2_T3_T4_jPT5_SO_PNS1_23onesweep_lookback_stateET6_jjj.has_dyn_sized_stack, 0
	.set _ZN7rocprim17ROCPRIM_304000_NS6detail25onesweep_iteration_kernelINS1_34wrapped_radix_sort_onesweep_configINS0_14default_configEiN2at4cuda3cub6detail10OpaqueTypeILi8EEEEELb0EPKiPiPKSA_PSA_mNS0_19identity_decomposerEEEvT1_T2_T3_T4_jPT5_SO_PNS1_23onesweep_lookback_stateET6_jjj.has_recursion, 0
	.set _ZN7rocprim17ROCPRIM_304000_NS6detail25onesweep_iteration_kernelINS1_34wrapped_radix_sort_onesweep_configINS0_14default_configEiN2at4cuda3cub6detail10OpaqueTypeILi8EEEEELb0EPKiPiPKSA_PSA_mNS0_19identity_decomposerEEEvT1_T2_T3_T4_jPT5_SO_PNS1_23onesweep_lookback_stateET6_jjj.has_indirect_call, 0
	.section	.AMDGPU.csdata,"",@progbits
; Kernel info:
; codeLenInByte = 19188
; TotalNumSgprs: 79
; NumVgprs: 74
; NumAgprs: 0
; TotalNumVgprs: 74
; ScratchSize: 0
; MemoryBound: 0
; FloatMode: 240
; IeeeMode: 1
; LDSByteSize: 26624 bytes/workgroup (compile time only)
; SGPRBlocks: 12
; VGPRBlocks: 9
; NumSGPRsForWavesPerEU: 97
; NumVGPRsForWavesPerEU: 74
; AccumOffset: 76
; Occupancy: 6
; WaveLimiterHint : 1
; COMPUTE_PGM_RSRC2:SCRATCH_EN: 0
; COMPUTE_PGM_RSRC2:USER_SGPR: 2
; COMPUTE_PGM_RSRC2:TRAP_HANDLER: 0
; COMPUTE_PGM_RSRC2:TGID_X_EN: 1
; COMPUTE_PGM_RSRC2:TGID_Y_EN: 0
; COMPUTE_PGM_RSRC2:TGID_Z_EN: 0
; COMPUTE_PGM_RSRC2:TIDIG_COMP_CNT: 2
; COMPUTE_PGM_RSRC3_GFX90A:ACCUM_OFFSET: 18
; COMPUTE_PGM_RSRC3_GFX90A:TG_SPLIT: 0
	.section	.text._ZN7rocprim17ROCPRIM_304000_NS6detail25onesweep_iteration_kernelINS1_34wrapped_radix_sort_onesweep_configINS0_14default_configEiN2at4cuda3cub6detail10OpaqueTypeILi8EEEEELb0EPiSC_PSA_SD_mNS0_19identity_decomposerEEEvT1_T2_T3_T4_jPT5_SK_PNS1_23onesweep_lookback_stateET6_jjj,"axG",@progbits,_ZN7rocprim17ROCPRIM_304000_NS6detail25onesweep_iteration_kernelINS1_34wrapped_radix_sort_onesweep_configINS0_14default_configEiN2at4cuda3cub6detail10OpaqueTypeILi8EEEEELb0EPiSC_PSA_SD_mNS0_19identity_decomposerEEEvT1_T2_T3_T4_jPT5_SK_PNS1_23onesweep_lookback_stateET6_jjj,comdat
	.protected	_ZN7rocprim17ROCPRIM_304000_NS6detail25onesweep_iteration_kernelINS1_34wrapped_radix_sort_onesweep_configINS0_14default_configEiN2at4cuda3cub6detail10OpaqueTypeILi8EEEEELb0EPiSC_PSA_SD_mNS0_19identity_decomposerEEEvT1_T2_T3_T4_jPT5_SK_PNS1_23onesweep_lookback_stateET6_jjj ; -- Begin function _ZN7rocprim17ROCPRIM_304000_NS6detail25onesweep_iteration_kernelINS1_34wrapped_radix_sort_onesweep_configINS0_14default_configEiN2at4cuda3cub6detail10OpaqueTypeILi8EEEEELb0EPiSC_PSA_SD_mNS0_19identity_decomposerEEEvT1_T2_T3_T4_jPT5_SK_PNS1_23onesweep_lookback_stateET6_jjj
	.globl	_ZN7rocprim17ROCPRIM_304000_NS6detail25onesweep_iteration_kernelINS1_34wrapped_radix_sort_onesweep_configINS0_14default_configEiN2at4cuda3cub6detail10OpaqueTypeILi8EEEEELb0EPiSC_PSA_SD_mNS0_19identity_decomposerEEEvT1_T2_T3_T4_jPT5_SK_PNS1_23onesweep_lookback_stateET6_jjj
	.p2align	8
	.type	_ZN7rocprim17ROCPRIM_304000_NS6detail25onesweep_iteration_kernelINS1_34wrapped_radix_sort_onesweep_configINS0_14default_configEiN2at4cuda3cub6detail10OpaqueTypeILi8EEEEELb0EPiSC_PSA_SD_mNS0_19identity_decomposerEEEvT1_T2_T3_T4_jPT5_SK_PNS1_23onesweep_lookback_stateET6_jjj,@function
_ZN7rocprim17ROCPRIM_304000_NS6detail25onesweep_iteration_kernelINS1_34wrapped_radix_sort_onesweep_configINS0_14default_configEiN2at4cuda3cub6detail10OpaqueTypeILi8EEEEELb0EPiSC_PSA_SD_mNS0_19identity_decomposerEEEvT1_T2_T3_T4_jPT5_SK_PNS1_23onesweep_lookback_stateET6_jjj: ; @_ZN7rocprim17ROCPRIM_304000_NS6detail25onesweep_iteration_kernelINS1_34wrapped_radix_sort_onesweep_configINS0_14default_configEiN2at4cuda3cub6detail10OpaqueTypeILi8EEEEELb0EPiSC_PSA_SD_mNS0_19identity_decomposerEEEvT1_T2_T3_T4_jPT5_SK_PNS1_23onesweep_lookback_stateET6_jjj
; %bb.0:
	s_load_dwordx8 s[52:59], s[0:1], 0x0
	s_load_dwordx4 s[64:67], s[0:1], 0x44
	s_load_dwordx4 s[60:63], s[0:1], 0x28
	s_load_dwordx2 s[70:71], s[0:1], 0x38
	s_mov_b32 s3, s2
	s_mov_b64 s[4:5], -1
	s_waitcnt lgkmcnt(0)
	s_cmp_ge_u32 s2, s66
	s_mul_i32 s68, s2, 0xc00
	v_mbcnt_lo_u32_b32 v1, -1, 0
	s_cbranch_scc0 .LBB97_152
; %bb.1:
	s_load_dword s6, s[0:1], 0x20
	s_mulk_i32 s66, 0xf400
	s_mov_b32 s69, 0
	s_lshl_b64 s[4:5], s[68:69], 2
	v_mbcnt_hi_u32_b32 v14, -1, v1
	s_waitcnt lgkmcnt(0)
	s_add_i32 s66, s66, s6
	s_add_u32 s4, s52, s4
	v_and_b32_e32 v19, 0xc0, v0
	s_addc_u32 s5, s53, s5
	v_mul_u32_u24_e32 v3, 12, v19
	v_mov_b32_e32 v5, 0
	v_lshlrev_b32_e32 v4, 2, v14
	v_lshl_add_u64 v[6:7], s[4:5], 0, v[4:5]
	v_lshlrev_b32_e32 v4, 2, v3
	v_lshl_add_u64 v[4:5], v[6:7], 0, v[4:5]
	v_or_b32_e32 v6, v14, v3
	v_mov_b32_e32 v8, -1
	v_cmp_gt_u32_e32 vcc, s66, v6
	v_mov_b32_e32 v9, -1
	s_and_saveexec_b64 s[4:5], vcc
	s_cbranch_execz .LBB97_3
; %bb.2:
	global_load_dword v2, v[4:5], off
	s_waitcnt vmcnt(0)
	v_xor_b32_e32 v9, 0x80000000, v2
.LBB97_3:
	s_or_b64 exec, exec, s[4:5]
	v_add_u32_e32 v2, 64, v6
	v_cmp_gt_u32_e64 s[50:51], s66, v2
	s_and_saveexec_b64 s[4:5], s[50:51]
	s_cbranch_execz .LBB97_5
; %bb.4:
	global_load_dword v2, v[4:5], off offset:256
	s_waitcnt vmcnt(0)
	v_xor_b32_e32 v8, 0x80000000, v2
.LBB97_5:
	s_or_b64 exec, exec, s[4:5]
	v_add_u32_e32 v2, 0x80, v6
	v_cmp_gt_u32_e64 s[4:5], s66, v2
	v_mov_b32_e32 v10, -1
	v_mov_b32_e32 v11, -1
	s_and_saveexec_b64 s[6:7], s[4:5]
	s_cbranch_execz .LBB97_7
; %bb.6:
	global_load_dword v2, v[4:5], off offset:512
	s_waitcnt vmcnt(0)
	v_xor_b32_e32 v11, 0x80000000, v2
.LBB97_7:
	s_or_b64 exec, exec, s[6:7]
	v_add_u32_e32 v2, 0xc0, v6
	v_cmp_gt_u32_e64 s[6:7], s66, v2
	s_and_saveexec_b64 s[8:9], s[6:7]
	s_cbranch_execz .LBB97_9
; %bb.8:
	global_load_dword v2, v[4:5], off offset:768
	s_waitcnt vmcnt(0)
	v_xor_b32_e32 v10, 0x80000000, v2
.LBB97_9:
	s_or_b64 exec, exec, s[8:9]
	v_add_u32_e32 v2, 0x100, v6
	v_cmp_gt_u32_e64 s[8:9], s66, v2
	v_mov_b32_e32 v12, -1
	v_mov_b32_e32 v13, -1
	s_and_saveexec_b64 s[10:11], s[8:9]
	s_cbranch_execz .LBB97_11
; %bb.10:
	global_load_dword v2, v[4:5], off offset:1024
	s_waitcnt vmcnt(0)
	v_xor_b32_e32 v13, 0x80000000, v2
.LBB97_11:
	;; [unrolled: 22-line block ×5, first 2 shown]
	s_or_b64 exec, exec, s[14:15]
	v_add_u32_e32 v6, 0x2c0, v6
	v_and_b32_e32 v2, 0x3ff, v0
	v_cmp_gt_u32_e64 s[14:15], s66, v6
	s_and_saveexec_b64 s[24:25], s[14:15]
	s_cbranch_execz .LBB97_25
; %bb.24:
	global_load_dword v4, v[4:5], off offset:2816
	s_waitcnt vmcnt(0)
	v_xor_b32_e32 v20, 0x80000000, v4
.LBB97_25:
	s_or_b64 exec, exec, s[24:25]
	s_load_dword s24, s[0:1], 0x5c
	s_load_dword s33, s[0:1], 0x50
	s_add_u32 s25, s0, 0x50
	s_addc_u32 s26, s1, 0
	v_mov_b32_e32 v5, 0
	s_waitcnt lgkmcnt(0)
	s_lshr_b32 s27, s24, 16
	s_cmp_lt_u32 s2, s33
	s_cselect_b32 s24, 12, 18
	s_add_u32 s24, s25, s24
	s_addc_u32 s25, s26, 0
	global_load_ushort v23, v5, s[24:25]
	v_lshrrev_b32_e32 v25, s64, v9
	s_lshl_b32 s24, -1, s65
	v_bfe_u32 v4, v0, 10, 10
	v_bfe_u32 v7, v0, 20, 10
	v_bitop3_b32 v35, v25, s24, v25 bitop3:0x30
	v_mad_u32_u24 v38, v7, s27, v4
	v_and_b32_e32 v4, 1, v35
	v_lshlrev_b32_e32 v7, 30, v35
	v_mov_b32_e32 v6, v5
	v_mov_b32_e32 v26, v5
	s_not_b32 s72, s24
	v_lshlrev_b32_e32 v25, 29, v35
	v_lshlrev_b32_e32 v27, 28, v35
	v_lshl_add_u64 v[36:37], v[4:5], 0, -1
	v_cmp_ne_u32_e64 s[24:25], 0, v4
	v_not_b32_e32 v4, v7
	v_mov_b32_e32 v24, v5
	v_mov_b32_e32 v28, v5
	v_lshlrev_b32_e32 v29, 27, v35
	v_cmp_gt_i64_e64 s[26:27], 0, v[6:7]
	v_not_b32_e32 v6, v25
	v_cmp_gt_i64_e64 s[30:31], 0, v[26:27]
	v_not_b32_e32 v7, v27
	v_xor_b32_e32 v27, s25, v37
	v_ashrrev_i32_e32 v4, 31, v4
	v_mov_b32_e32 v30, v5
	v_lshlrev_b32_e32 v31, 26, v35
	v_cmp_gt_i64_e64 s[28:29], 0, v[24:25]
	v_cmp_gt_i64_e64 s[34:35], 0, v[28:29]
	v_not_b32_e32 v24, v29
	v_xor_b32_e32 v28, s24, v36
	v_ashrrev_i32_e32 v6, 31, v6
	v_and_b32_e32 v27, exec_hi, v27
	v_xor_b32_e32 v29, s27, v4
	v_cmp_gt_i64_e64 s[36:37], 0, v[30:31]
	v_ashrrev_i32_e32 v7, 31, v7
	v_and_b32_e32 v28, exec_lo, v28
	v_xor_b32_e32 v4, s26, v4
	v_xor_b32_e32 v30, s29, v6
	v_and_b32_e32 v27, v27, v29
	v_mov_b32_e32 v32, v5
	v_lshlrev_b32_e32 v33, 25, v35
	v_not_b32_e32 v25, v31
	v_ashrrev_i32_e32 v24, 31, v24
	v_xor_b32_e32 v6, s28, v6
	v_xor_b32_e32 v31, s31, v7
	v_and_b32_e32 v4, v28, v4
	v_and_b32_e32 v27, v27, v30
	v_cmp_gt_i64_e64 s[38:39], 0, v[32:33]
	v_not_b32_e32 v26, v33
	v_ashrrev_i32_e32 v25, 31, v25
	v_xor_b32_e32 v7, s30, v7
	v_xor_b32_e32 v32, s35, v24
	v_and_b32_e32 v4, v4, v6
	v_and_b32_e32 v6, v27, v31
	v_ashrrev_i32_e32 v26, 31, v26
	v_xor_b32_e32 v24, s34, v24
	v_xor_b32_e32 v33, s37, v25
	v_and_b32_e32 v4, v4, v7
	v_and_b32_e32 v6, v6, v32
	v_xor_b32_e32 v25, s36, v25
	v_xor_b32_e32 v36, s39, v26
	v_and_b32_e32 v4, v4, v24
	v_and_b32_e32 v6, v6, v33
	v_mul_lo_u32 v39, v35, 20
	v_lshlrev_b32_e32 v35, 24, v35
	v_and_b32_e32 v4, v4, v25
	v_and_b32_e32 v25, v6, v36
	v_mov_b32_e32 v34, v5
	v_xor_b32_e32 v26, s38, v26
	v_and_b32_e32 v4, v4, v26
	v_mul_u32_u24_e32 v22, 20, v2
	ds_write2_b32 v22, v5, v5 offset0:4 offset1:5
	ds_write2_b32 v22, v5, v5 offset0:6 offset1:7
	ds_write_b32 v22, v5 offset:32
	s_waitcnt lgkmcnt(0)
	s_barrier
	s_waitcnt vmcnt(0)
	; wave barrier
	v_mad_u64_u32 v[6:7], s[24:25], v38, v23, v[2:3]
	v_lshrrev_b32_e32 v32, 6, v6
	v_not_b32_e32 v6, v35
	v_cmp_gt_i64_e64 s[24:25], 0, v[34:35]
	v_ashrrev_i32_e32 v6, 31, v6
	v_lshl_add_u32 v24, v32, 2, v39
	v_xor_b32_e32 v7, s25, v6
	v_xor_b32_e32 v6, s24, v6
	v_and_b32_e32 v6, v4, v6
	v_and_b32_e32 v7, v25, v7
	v_mbcnt_lo_u32_b32 v4, v6, 0
	v_mbcnt_hi_u32_b32 v23, v7, v4
	v_cmp_eq_u32_e64 s[24:25], 0, v23
	v_cmp_ne_u64_e64 s[26:27], 0, v[6:7]
	s_and_b64 s[26:27], s[26:27], s[24:25]
	s_and_saveexec_b64 s[24:25], s[26:27]
; %bb.26:
	v_bcnt_u32_b32 v4, v6, 0
	v_bcnt_u32_b32 v4, v7, v4
	ds_write_b32 v24, v4 offset:16
; %bb.27:
	s_or_b64 exec, exec, s[24:25]
	v_lshrrev_b32_e32 v4, s64, v8
	v_and_b32_e32 v27, s72, v4
	v_mul_lo_u32 v4, v27, 20
	v_lshl_add_u32 v26, v32, 2, v4
	v_and_b32_e32 v4, 1, v27
	v_lshl_add_u64 v[6:7], v[4:5], 0, -1
	v_cmp_ne_u32_e64 s[24:25], 0, v4
	; wave barrier
	s_nop 1
	v_xor_b32_e32 v6, s24, v6
	v_xor_b32_e32 v4, s25, v7
	v_and_b32_e32 v28, exec_lo, v6
	v_lshlrev_b32_e32 v7, 30, v27
	v_mov_b32_e32 v6, v5
	v_cmp_gt_i64_e64 s[24:25], 0, v[6:7]
	v_not_b32_e32 v6, v7
	v_ashrrev_i32_e32 v6, 31, v6
	v_and_b32_e32 v4, exec_hi, v4
	v_xor_b32_e32 v7, s25, v6
	v_xor_b32_e32 v6, s24, v6
	v_and_b32_e32 v4, v4, v7
	v_and_b32_e32 v28, v28, v6
	v_lshlrev_b32_e32 v7, 29, v27
	v_mov_b32_e32 v6, v5
	v_cmp_gt_i64_e64 s[24:25], 0, v[6:7]
	v_not_b32_e32 v6, v7
	v_ashrrev_i32_e32 v6, 31, v6
	v_xor_b32_e32 v7, s25, v6
	v_xor_b32_e32 v6, s24, v6
	v_and_b32_e32 v4, v4, v7
	v_and_b32_e32 v28, v28, v6
	v_lshlrev_b32_e32 v7, 28, v27
	v_mov_b32_e32 v6, v5
	v_cmp_gt_i64_e64 s[24:25], 0, v[6:7]
	v_not_b32_e32 v6, v7
	v_ashrrev_i32_e32 v6, 31, v6
	;; [unrolled: 9-line block ×5, first 2 shown]
	v_xor_b32_e32 v7, s25, v6
	v_xor_b32_e32 v6, s24, v6
	v_and_b32_e32 v4, v4, v7
	v_lshlrev_b32_e32 v7, 24, v27
	v_and_b32_e32 v28, v28, v6
	v_mov_b32_e32 v6, v5
	v_not_b32_e32 v5, v7
	v_cmp_gt_i64_e64 s[24:25], 0, v[6:7]
	v_ashrrev_i32_e32 v5, 31, v5
	ds_read_b32 v25, v26 offset:16
	v_xor_b32_e32 v6, s25, v5
	v_xor_b32_e32 v7, s24, v5
	v_and_b32_e32 v5, v4, v6
	v_and_b32_e32 v4, v28, v7
	v_mbcnt_lo_u32_b32 v6, v4, 0
	v_mbcnt_hi_u32_b32 v27, v5, v6
	v_cmp_eq_u32_e64 s[24:25], 0, v27
	v_cmp_ne_u64_e64 s[26:27], 0, v[4:5]
	s_and_b64 s[26:27], s[26:27], s[24:25]
	; wave barrier
	s_and_saveexec_b64 s[24:25], s[26:27]
	s_cbranch_execz .LBB97_29
; %bb.28:
	v_bcnt_u32_b32 v4, v4, 0
	v_bcnt_u32_b32 v4, v5, v4
	s_waitcnt lgkmcnt(0)
	v_add_u32_e32 v4, v25, v4
	ds_write_b32 v26, v4 offset:16
.LBB97_29:
	s_or_b64 exec, exec, s[24:25]
	v_lshrrev_b32_e32 v4, s64, v11
	v_and_b32_e32 v30, s72, v4
	v_mul_lo_u32 v4, v30, 20
	v_lshl_add_u32 v29, v32, 2, v4
	v_and_b32_e32 v4, 1, v30
	v_mov_b32_e32 v5, 0
	v_lshl_add_u64 v[6:7], v[4:5], 0, -1
	v_cmp_ne_u32_e64 s[24:25], 0, v4
	; wave barrier
	s_nop 1
	v_xor_b32_e32 v6, s24, v6
	v_xor_b32_e32 v4, s25, v7
	v_and_b32_e32 v31, exec_lo, v6
	v_lshlrev_b32_e32 v7, 30, v30
	v_mov_b32_e32 v6, v5
	v_cmp_gt_i64_e64 s[24:25], 0, v[6:7]
	v_not_b32_e32 v6, v7
	v_ashrrev_i32_e32 v6, 31, v6
	v_and_b32_e32 v4, exec_hi, v4
	v_xor_b32_e32 v7, s25, v6
	v_xor_b32_e32 v6, s24, v6
	v_and_b32_e32 v4, v4, v7
	v_and_b32_e32 v31, v31, v6
	v_lshlrev_b32_e32 v7, 29, v30
	v_mov_b32_e32 v6, v5
	v_cmp_gt_i64_e64 s[24:25], 0, v[6:7]
	v_not_b32_e32 v6, v7
	v_ashrrev_i32_e32 v6, 31, v6
	v_xor_b32_e32 v7, s25, v6
	v_xor_b32_e32 v6, s24, v6
	v_and_b32_e32 v4, v4, v7
	v_and_b32_e32 v31, v31, v6
	v_lshlrev_b32_e32 v7, 28, v30
	v_mov_b32_e32 v6, v5
	v_cmp_gt_i64_e64 s[24:25], 0, v[6:7]
	v_not_b32_e32 v6, v7
	v_ashrrev_i32_e32 v6, 31, v6
	;; [unrolled: 9-line block ×6, first 2 shown]
	v_xor_b32_e32 v7, s25, v6
	v_xor_b32_e32 v6, s24, v6
	ds_read_b32 v28, v29 offset:16
	v_and_b32_e32 v6, v31, v6
	v_and_b32_e32 v7, v4, v7
	v_mbcnt_lo_u32_b32 v4, v6, 0
	v_mbcnt_hi_u32_b32 v30, v7, v4
	v_cmp_eq_u32_e64 s[24:25], 0, v30
	v_cmp_ne_u64_e64 s[26:27], 0, v[6:7]
	s_and_b64 s[26:27], s[26:27], s[24:25]
	; wave barrier
	s_and_saveexec_b64 s[24:25], s[26:27]
	s_cbranch_execz .LBB97_31
; %bb.30:
	v_bcnt_u32_b32 v4, v6, 0
	v_bcnt_u32_b32 v4, v7, v4
	s_waitcnt lgkmcnt(0)
	v_add_u32_e32 v4, v28, v4
	ds_write_b32 v29, v4 offset:16
.LBB97_31:
	s_or_b64 exec, exec, s[24:25]
	v_lshrrev_b32_e32 v4, s64, v10
	v_and_b32_e32 v34, s72, v4
	v_mul_lo_u32 v4, v34, 20
	v_lshl_add_u32 v33, v32, 2, v4
	v_and_b32_e32 v4, 1, v34
	v_lshl_add_u64 v[6:7], v[4:5], 0, -1
	v_cmp_ne_u32_e64 s[24:25], 0, v4
	; wave barrier
	s_nop 1
	v_xor_b32_e32 v6, s24, v6
	v_xor_b32_e32 v4, s25, v7
	v_and_b32_e32 v35, exec_lo, v6
	v_lshlrev_b32_e32 v7, 30, v34
	v_mov_b32_e32 v6, v5
	v_cmp_gt_i64_e64 s[24:25], 0, v[6:7]
	v_not_b32_e32 v6, v7
	v_ashrrev_i32_e32 v6, 31, v6
	v_and_b32_e32 v4, exec_hi, v4
	v_xor_b32_e32 v7, s25, v6
	v_xor_b32_e32 v6, s24, v6
	v_and_b32_e32 v4, v4, v7
	v_and_b32_e32 v35, v35, v6
	v_lshlrev_b32_e32 v7, 29, v34
	v_mov_b32_e32 v6, v5
	v_cmp_gt_i64_e64 s[24:25], 0, v[6:7]
	v_not_b32_e32 v6, v7
	v_ashrrev_i32_e32 v6, 31, v6
	v_xor_b32_e32 v7, s25, v6
	v_xor_b32_e32 v6, s24, v6
	v_and_b32_e32 v4, v4, v7
	v_and_b32_e32 v35, v35, v6
	v_lshlrev_b32_e32 v7, 28, v34
	v_mov_b32_e32 v6, v5
	v_cmp_gt_i64_e64 s[24:25], 0, v[6:7]
	v_not_b32_e32 v6, v7
	v_ashrrev_i32_e32 v6, 31, v6
	v_xor_b32_e32 v7, s25, v6
	v_xor_b32_e32 v6, s24, v6
	v_and_b32_e32 v4, v4, v7
	v_and_b32_e32 v35, v35, v6
	v_lshlrev_b32_e32 v7, 27, v34
	v_mov_b32_e32 v6, v5
	v_cmp_gt_i64_e64 s[24:25], 0, v[6:7]
	v_not_b32_e32 v6, v7
	v_ashrrev_i32_e32 v6, 31, v6
	v_xor_b32_e32 v7, s25, v6
	v_xor_b32_e32 v6, s24, v6
	v_and_b32_e32 v4, v4, v7
	v_and_b32_e32 v35, v35, v6
	v_lshlrev_b32_e32 v7, 26, v34
	v_mov_b32_e32 v6, v5
	v_cmp_gt_i64_e64 s[24:25], 0, v[6:7]
	v_not_b32_e32 v6, v7
	v_ashrrev_i32_e32 v6, 31, v6
	v_xor_b32_e32 v7, s25, v6
	v_xor_b32_e32 v6, s24, v6
	v_and_b32_e32 v4, v4, v7
	v_and_b32_e32 v35, v35, v6
	v_lshlrev_b32_e32 v7, 25, v34
	v_mov_b32_e32 v6, v5
	v_cmp_gt_i64_e64 s[24:25], 0, v[6:7]
	v_not_b32_e32 v6, v7
	v_ashrrev_i32_e32 v6, 31, v6
	v_xor_b32_e32 v7, s25, v6
	v_xor_b32_e32 v6, s24, v6
	v_and_b32_e32 v4, v4, v7
	v_lshlrev_b32_e32 v7, 24, v34
	v_and_b32_e32 v35, v35, v6
	v_mov_b32_e32 v6, v5
	v_not_b32_e32 v5, v7
	v_cmp_gt_i64_e64 s[24:25], 0, v[6:7]
	v_ashrrev_i32_e32 v5, 31, v5
	ds_read_b32 v31, v33 offset:16
	v_xor_b32_e32 v6, s25, v5
	v_xor_b32_e32 v7, s24, v5
	v_and_b32_e32 v5, v4, v6
	v_and_b32_e32 v4, v35, v7
	v_mbcnt_lo_u32_b32 v6, v4, 0
	v_mbcnt_hi_u32_b32 v34, v5, v6
	v_cmp_eq_u32_e64 s[24:25], 0, v34
	v_cmp_ne_u64_e64 s[26:27], 0, v[4:5]
	s_and_b64 s[26:27], s[26:27], s[24:25]
	; wave barrier
	s_and_saveexec_b64 s[24:25], s[26:27]
	s_cbranch_execz .LBB97_33
; %bb.32:
	v_bcnt_u32_b32 v4, v4, 0
	v_bcnt_u32_b32 v4, v5, v4
	s_waitcnt lgkmcnt(0)
	v_add_u32_e32 v4, v31, v4
	ds_write_b32 v33, v4 offset:16
.LBB97_33:
	s_or_b64 exec, exec, s[24:25]
	v_lshrrev_b32_e32 v4, s64, v13
	v_and_b32_e32 v37, s72, v4
	v_mul_lo_u32 v4, v37, 20
	v_lshl_add_u32 v36, v32, 2, v4
	v_and_b32_e32 v4, 1, v37
	v_mov_b32_e32 v5, 0
	v_lshl_add_u64 v[6:7], v[4:5], 0, -1
	v_cmp_ne_u32_e64 s[24:25], 0, v4
	; wave barrier
	s_nop 1
	v_xor_b32_e32 v6, s24, v6
	v_xor_b32_e32 v4, s25, v7
	v_and_b32_e32 v38, exec_lo, v6
	v_lshlrev_b32_e32 v7, 30, v37
	v_mov_b32_e32 v6, v5
	v_cmp_gt_i64_e64 s[24:25], 0, v[6:7]
	v_not_b32_e32 v6, v7
	v_ashrrev_i32_e32 v6, 31, v6
	v_and_b32_e32 v4, exec_hi, v4
	v_xor_b32_e32 v7, s25, v6
	v_xor_b32_e32 v6, s24, v6
	v_and_b32_e32 v4, v4, v7
	v_and_b32_e32 v38, v38, v6
	v_lshlrev_b32_e32 v7, 29, v37
	v_mov_b32_e32 v6, v5
	v_cmp_gt_i64_e64 s[24:25], 0, v[6:7]
	v_not_b32_e32 v6, v7
	v_ashrrev_i32_e32 v6, 31, v6
	v_xor_b32_e32 v7, s25, v6
	v_xor_b32_e32 v6, s24, v6
	v_and_b32_e32 v4, v4, v7
	v_and_b32_e32 v38, v38, v6
	v_lshlrev_b32_e32 v7, 28, v37
	v_mov_b32_e32 v6, v5
	v_cmp_gt_i64_e64 s[24:25], 0, v[6:7]
	v_not_b32_e32 v6, v7
	v_ashrrev_i32_e32 v6, 31, v6
	;; [unrolled: 9-line block ×6, first 2 shown]
	v_xor_b32_e32 v7, s25, v6
	v_xor_b32_e32 v6, s24, v6
	ds_read_b32 v35, v36 offset:16
	v_and_b32_e32 v6, v38, v6
	v_and_b32_e32 v7, v4, v7
	v_mbcnt_lo_u32_b32 v4, v6, 0
	v_mbcnt_hi_u32_b32 v37, v7, v4
	v_cmp_eq_u32_e64 s[24:25], 0, v37
	v_cmp_ne_u64_e64 s[26:27], 0, v[6:7]
	s_and_b64 s[26:27], s[26:27], s[24:25]
	; wave barrier
	s_and_saveexec_b64 s[24:25], s[26:27]
	s_cbranch_execz .LBB97_35
; %bb.34:
	v_bcnt_u32_b32 v4, v6, 0
	v_bcnt_u32_b32 v4, v7, v4
	s_waitcnt lgkmcnt(0)
	v_add_u32_e32 v4, v35, v4
	ds_write_b32 v36, v4 offset:16
.LBB97_35:
	s_or_b64 exec, exec, s[24:25]
	v_lshrrev_b32_e32 v4, s64, v12
	v_and_b32_e32 v40, s72, v4
	v_mul_lo_u32 v4, v40, 20
	v_lshl_add_u32 v39, v32, 2, v4
	v_and_b32_e32 v4, 1, v40
	v_lshl_add_u64 v[6:7], v[4:5], 0, -1
	v_cmp_ne_u32_e64 s[24:25], 0, v4
	; wave barrier
	s_nop 1
	v_xor_b32_e32 v6, s24, v6
	v_xor_b32_e32 v4, s25, v7
	v_and_b32_e32 v41, exec_lo, v6
	v_lshlrev_b32_e32 v7, 30, v40
	v_mov_b32_e32 v6, v5
	v_cmp_gt_i64_e64 s[24:25], 0, v[6:7]
	v_not_b32_e32 v6, v7
	v_ashrrev_i32_e32 v6, 31, v6
	v_and_b32_e32 v4, exec_hi, v4
	v_xor_b32_e32 v7, s25, v6
	v_xor_b32_e32 v6, s24, v6
	v_and_b32_e32 v4, v4, v7
	v_and_b32_e32 v41, v41, v6
	v_lshlrev_b32_e32 v7, 29, v40
	v_mov_b32_e32 v6, v5
	v_cmp_gt_i64_e64 s[24:25], 0, v[6:7]
	v_not_b32_e32 v6, v7
	v_ashrrev_i32_e32 v6, 31, v6
	v_xor_b32_e32 v7, s25, v6
	v_xor_b32_e32 v6, s24, v6
	v_and_b32_e32 v4, v4, v7
	v_and_b32_e32 v41, v41, v6
	v_lshlrev_b32_e32 v7, 28, v40
	v_mov_b32_e32 v6, v5
	v_cmp_gt_i64_e64 s[24:25], 0, v[6:7]
	v_not_b32_e32 v6, v7
	v_ashrrev_i32_e32 v6, 31, v6
	;; [unrolled: 9-line block ×5, first 2 shown]
	v_xor_b32_e32 v7, s25, v6
	v_xor_b32_e32 v6, s24, v6
	v_and_b32_e32 v4, v4, v7
	v_lshlrev_b32_e32 v7, 24, v40
	v_and_b32_e32 v41, v41, v6
	v_mov_b32_e32 v6, v5
	v_not_b32_e32 v5, v7
	v_cmp_gt_i64_e64 s[24:25], 0, v[6:7]
	v_ashrrev_i32_e32 v5, 31, v5
	ds_read_b32 v38, v39 offset:16
	v_xor_b32_e32 v6, s25, v5
	v_xor_b32_e32 v7, s24, v5
	v_and_b32_e32 v5, v4, v6
	v_and_b32_e32 v4, v41, v7
	v_mbcnt_lo_u32_b32 v6, v4, 0
	v_mbcnt_hi_u32_b32 v40, v5, v6
	v_cmp_eq_u32_e64 s[24:25], 0, v40
	v_cmp_ne_u64_e64 s[26:27], 0, v[4:5]
	s_and_b64 s[26:27], s[26:27], s[24:25]
	; wave barrier
	s_and_saveexec_b64 s[24:25], s[26:27]
	s_cbranch_execz .LBB97_37
; %bb.36:
	v_bcnt_u32_b32 v4, v4, 0
	v_bcnt_u32_b32 v4, v5, v4
	s_waitcnt lgkmcnt(0)
	v_add_u32_e32 v4, v38, v4
	ds_write_b32 v39, v4 offset:16
.LBB97_37:
	s_or_b64 exec, exec, s[24:25]
	v_lshrrev_b32_e32 v4, s64, v16
	v_and_b32_e32 v43, s72, v4
	v_mul_lo_u32 v4, v43, 20
	v_lshl_add_u32 v42, v32, 2, v4
	v_and_b32_e32 v4, 1, v43
	v_mov_b32_e32 v5, 0
	v_lshl_add_u64 v[6:7], v[4:5], 0, -1
	v_cmp_ne_u32_e64 s[24:25], 0, v4
	; wave barrier
	s_nop 1
	v_xor_b32_e32 v6, s24, v6
	v_xor_b32_e32 v4, s25, v7
	v_and_b32_e32 v44, exec_lo, v6
	v_lshlrev_b32_e32 v7, 30, v43
	v_mov_b32_e32 v6, v5
	v_cmp_gt_i64_e64 s[24:25], 0, v[6:7]
	v_not_b32_e32 v6, v7
	v_ashrrev_i32_e32 v6, 31, v6
	v_and_b32_e32 v4, exec_hi, v4
	v_xor_b32_e32 v7, s25, v6
	v_xor_b32_e32 v6, s24, v6
	v_and_b32_e32 v4, v4, v7
	v_and_b32_e32 v44, v44, v6
	v_lshlrev_b32_e32 v7, 29, v43
	v_mov_b32_e32 v6, v5
	v_cmp_gt_i64_e64 s[24:25], 0, v[6:7]
	v_not_b32_e32 v6, v7
	v_ashrrev_i32_e32 v6, 31, v6
	v_xor_b32_e32 v7, s25, v6
	v_xor_b32_e32 v6, s24, v6
	v_and_b32_e32 v4, v4, v7
	v_and_b32_e32 v44, v44, v6
	v_lshlrev_b32_e32 v7, 28, v43
	v_mov_b32_e32 v6, v5
	v_cmp_gt_i64_e64 s[24:25], 0, v[6:7]
	v_not_b32_e32 v6, v7
	v_ashrrev_i32_e32 v6, 31, v6
	;; [unrolled: 9-line block ×6, first 2 shown]
	v_xor_b32_e32 v7, s25, v6
	v_xor_b32_e32 v6, s24, v6
	ds_read_b32 v41, v42 offset:16
	v_and_b32_e32 v6, v44, v6
	v_and_b32_e32 v7, v4, v7
	v_mbcnt_lo_u32_b32 v4, v6, 0
	v_mbcnt_hi_u32_b32 v43, v7, v4
	v_cmp_eq_u32_e64 s[24:25], 0, v43
	v_cmp_ne_u64_e64 s[26:27], 0, v[6:7]
	s_and_b64 s[26:27], s[26:27], s[24:25]
	; wave barrier
	s_and_saveexec_b64 s[24:25], s[26:27]
	s_cbranch_execz .LBB97_39
; %bb.38:
	v_bcnt_u32_b32 v4, v6, 0
	v_bcnt_u32_b32 v4, v7, v4
	s_waitcnt lgkmcnt(0)
	v_add_u32_e32 v4, v41, v4
	ds_write_b32 v42, v4 offset:16
.LBB97_39:
	s_or_b64 exec, exec, s[24:25]
	v_lshrrev_b32_e32 v4, s64, v15
	v_and_b32_e32 v46, s72, v4
	v_mul_lo_u32 v4, v46, 20
	v_lshl_add_u32 v45, v32, 2, v4
	v_and_b32_e32 v4, 1, v46
	v_lshl_add_u64 v[6:7], v[4:5], 0, -1
	v_cmp_ne_u32_e64 s[24:25], 0, v4
	; wave barrier
	s_nop 1
	v_xor_b32_e32 v6, s24, v6
	v_xor_b32_e32 v4, s25, v7
	v_and_b32_e32 v47, exec_lo, v6
	v_lshlrev_b32_e32 v7, 30, v46
	v_mov_b32_e32 v6, v5
	v_cmp_gt_i64_e64 s[24:25], 0, v[6:7]
	v_not_b32_e32 v6, v7
	v_ashrrev_i32_e32 v6, 31, v6
	v_and_b32_e32 v4, exec_hi, v4
	v_xor_b32_e32 v7, s25, v6
	v_xor_b32_e32 v6, s24, v6
	v_and_b32_e32 v4, v4, v7
	v_and_b32_e32 v47, v47, v6
	v_lshlrev_b32_e32 v7, 29, v46
	v_mov_b32_e32 v6, v5
	v_cmp_gt_i64_e64 s[24:25], 0, v[6:7]
	v_not_b32_e32 v6, v7
	v_ashrrev_i32_e32 v6, 31, v6
	v_xor_b32_e32 v7, s25, v6
	v_xor_b32_e32 v6, s24, v6
	v_and_b32_e32 v4, v4, v7
	v_and_b32_e32 v47, v47, v6
	v_lshlrev_b32_e32 v7, 28, v46
	v_mov_b32_e32 v6, v5
	v_cmp_gt_i64_e64 s[24:25], 0, v[6:7]
	v_not_b32_e32 v6, v7
	v_ashrrev_i32_e32 v6, 31, v6
	;; [unrolled: 9-line block ×5, first 2 shown]
	v_xor_b32_e32 v7, s25, v6
	v_xor_b32_e32 v6, s24, v6
	v_and_b32_e32 v4, v4, v7
	v_lshlrev_b32_e32 v7, 24, v46
	v_and_b32_e32 v47, v47, v6
	v_mov_b32_e32 v6, v5
	v_not_b32_e32 v5, v7
	v_cmp_gt_i64_e64 s[24:25], 0, v[6:7]
	v_ashrrev_i32_e32 v5, 31, v5
	ds_read_b32 v44, v45 offset:16
	v_xor_b32_e32 v6, s25, v5
	v_xor_b32_e32 v7, s24, v5
	v_and_b32_e32 v5, v4, v6
	v_and_b32_e32 v4, v47, v7
	v_mbcnt_lo_u32_b32 v6, v4, 0
	v_mbcnt_hi_u32_b32 v46, v5, v6
	v_cmp_eq_u32_e64 s[24:25], 0, v46
	v_cmp_ne_u64_e64 s[26:27], 0, v[4:5]
	s_and_b64 s[26:27], s[26:27], s[24:25]
	; wave barrier
	s_and_saveexec_b64 s[24:25], s[26:27]
	s_cbranch_execz .LBB97_41
; %bb.40:
	v_bcnt_u32_b32 v4, v4, 0
	v_bcnt_u32_b32 v4, v5, v4
	s_waitcnt lgkmcnt(0)
	v_add_u32_e32 v4, v44, v4
	ds_write_b32 v45, v4 offset:16
.LBB97_41:
	s_or_b64 exec, exec, s[24:25]
	v_lshrrev_b32_e32 v4, s64, v18
	v_and_b32_e32 v49, s72, v4
	v_mul_lo_u32 v4, v49, 20
	v_lshl_add_u32 v48, v32, 2, v4
	v_and_b32_e32 v4, 1, v49
	v_mov_b32_e32 v5, 0
	v_lshl_add_u64 v[6:7], v[4:5], 0, -1
	v_cmp_ne_u32_e64 s[24:25], 0, v4
	; wave barrier
	s_nop 1
	v_xor_b32_e32 v6, s24, v6
	v_xor_b32_e32 v4, s25, v7
	v_and_b32_e32 v50, exec_lo, v6
	v_lshlrev_b32_e32 v7, 30, v49
	v_mov_b32_e32 v6, v5
	v_cmp_gt_i64_e64 s[24:25], 0, v[6:7]
	v_not_b32_e32 v6, v7
	v_ashrrev_i32_e32 v6, 31, v6
	v_and_b32_e32 v4, exec_hi, v4
	v_xor_b32_e32 v7, s25, v6
	v_xor_b32_e32 v6, s24, v6
	v_and_b32_e32 v4, v4, v7
	v_and_b32_e32 v50, v50, v6
	v_lshlrev_b32_e32 v7, 29, v49
	v_mov_b32_e32 v6, v5
	v_cmp_gt_i64_e64 s[24:25], 0, v[6:7]
	v_not_b32_e32 v6, v7
	v_ashrrev_i32_e32 v6, 31, v6
	v_xor_b32_e32 v7, s25, v6
	v_xor_b32_e32 v6, s24, v6
	v_and_b32_e32 v4, v4, v7
	v_and_b32_e32 v50, v50, v6
	v_lshlrev_b32_e32 v7, 28, v49
	v_mov_b32_e32 v6, v5
	v_cmp_gt_i64_e64 s[24:25], 0, v[6:7]
	v_not_b32_e32 v6, v7
	v_ashrrev_i32_e32 v6, 31, v6
	;; [unrolled: 9-line block ×6, first 2 shown]
	v_xor_b32_e32 v7, s25, v6
	v_xor_b32_e32 v6, s24, v6
	ds_read_b32 v47, v48 offset:16
	v_and_b32_e32 v6, v50, v6
	v_and_b32_e32 v7, v4, v7
	v_mbcnt_lo_u32_b32 v4, v6, 0
	v_mbcnt_hi_u32_b32 v49, v7, v4
	v_cmp_eq_u32_e64 s[24:25], 0, v49
	v_cmp_ne_u64_e64 s[26:27], 0, v[6:7]
	s_and_b64 s[26:27], s[26:27], s[24:25]
	; wave barrier
	s_and_saveexec_b64 s[24:25], s[26:27]
	s_cbranch_execz .LBB97_43
; %bb.42:
	v_bcnt_u32_b32 v4, v6, 0
	v_bcnt_u32_b32 v4, v7, v4
	s_waitcnt lgkmcnt(0)
	v_add_u32_e32 v4, v47, v4
	ds_write_b32 v48, v4 offset:16
.LBB97_43:
	s_or_b64 exec, exec, s[24:25]
	v_lshrrev_b32_e32 v4, s64, v17
	v_and_b32_e32 v52, s72, v4
	v_mul_lo_u32 v4, v52, 20
	v_lshl_add_u32 v51, v32, 2, v4
	v_and_b32_e32 v4, 1, v52
	v_lshl_add_u64 v[6:7], v[4:5], 0, -1
	v_cmp_ne_u32_e64 s[24:25], 0, v4
	; wave barrier
	s_nop 1
	v_xor_b32_e32 v6, s24, v6
	v_xor_b32_e32 v4, s25, v7
	v_and_b32_e32 v53, exec_lo, v6
	v_lshlrev_b32_e32 v7, 30, v52
	v_mov_b32_e32 v6, v5
	v_cmp_gt_i64_e64 s[24:25], 0, v[6:7]
	v_not_b32_e32 v6, v7
	v_ashrrev_i32_e32 v6, 31, v6
	v_and_b32_e32 v4, exec_hi, v4
	v_xor_b32_e32 v7, s25, v6
	v_xor_b32_e32 v6, s24, v6
	v_and_b32_e32 v4, v4, v7
	v_and_b32_e32 v53, v53, v6
	v_lshlrev_b32_e32 v7, 29, v52
	v_mov_b32_e32 v6, v5
	v_cmp_gt_i64_e64 s[24:25], 0, v[6:7]
	v_not_b32_e32 v6, v7
	v_ashrrev_i32_e32 v6, 31, v6
	v_xor_b32_e32 v7, s25, v6
	v_xor_b32_e32 v6, s24, v6
	v_and_b32_e32 v4, v4, v7
	v_and_b32_e32 v53, v53, v6
	v_lshlrev_b32_e32 v7, 28, v52
	v_mov_b32_e32 v6, v5
	v_cmp_gt_i64_e64 s[24:25], 0, v[6:7]
	v_not_b32_e32 v6, v7
	v_ashrrev_i32_e32 v6, 31, v6
	;; [unrolled: 9-line block ×5, first 2 shown]
	v_xor_b32_e32 v7, s25, v6
	v_xor_b32_e32 v6, s24, v6
	v_and_b32_e32 v4, v4, v7
	v_lshlrev_b32_e32 v7, 24, v52
	v_and_b32_e32 v53, v53, v6
	v_mov_b32_e32 v6, v5
	v_not_b32_e32 v5, v7
	v_cmp_gt_i64_e64 s[24:25], 0, v[6:7]
	v_ashrrev_i32_e32 v5, 31, v5
	ds_read_b32 v50, v51 offset:16
	v_xor_b32_e32 v6, s25, v5
	v_xor_b32_e32 v7, s24, v5
	v_and_b32_e32 v5, v4, v6
	v_and_b32_e32 v4, v53, v7
	v_mbcnt_lo_u32_b32 v6, v4, 0
	v_mbcnt_hi_u32_b32 v52, v5, v6
	v_cmp_eq_u32_e64 s[24:25], 0, v52
	v_cmp_ne_u64_e64 s[26:27], 0, v[4:5]
	s_and_b64 s[26:27], s[26:27], s[24:25]
	; wave barrier
	s_and_saveexec_b64 s[24:25], s[26:27]
	s_cbranch_execz .LBB97_45
; %bb.44:
	v_bcnt_u32_b32 v4, v4, 0
	v_bcnt_u32_b32 v4, v5, v4
	s_waitcnt lgkmcnt(0)
	v_add_u32_e32 v4, v50, v4
	ds_write_b32 v51, v4 offset:16
.LBB97_45:
	s_or_b64 exec, exec, s[24:25]
	v_lshrrev_b32_e32 v4, s64, v21
	v_and_b32_e32 v55, s72, v4
	v_mul_lo_u32 v4, v55, 20
	v_lshl_add_u32 v54, v32, 2, v4
	v_and_b32_e32 v4, 1, v55
	v_mov_b32_e32 v5, 0
	v_lshl_add_u64 v[6:7], v[4:5], 0, -1
	v_cmp_ne_u32_e64 s[24:25], 0, v4
	; wave barrier
	s_nop 1
	v_xor_b32_e32 v6, s24, v6
	v_xor_b32_e32 v4, s25, v7
	v_and_b32_e32 v56, exec_lo, v6
	v_lshlrev_b32_e32 v7, 30, v55
	v_mov_b32_e32 v6, v5
	v_cmp_gt_i64_e64 s[24:25], 0, v[6:7]
	v_not_b32_e32 v6, v7
	v_ashrrev_i32_e32 v6, 31, v6
	v_and_b32_e32 v4, exec_hi, v4
	v_xor_b32_e32 v7, s25, v6
	v_xor_b32_e32 v6, s24, v6
	v_and_b32_e32 v4, v4, v7
	v_and_b32_e32 v56, v56, v6
	v_lshlrev_b32_e32 v7, 29, v55
	v_mov_b32_e32 v6, v5
	v_cmp_gt_i64_e64 s[24:25], 0, v[6:7]
	v_not_b32_e32 v6, v7
	v_ashrrev_i32_e32 v6, 31, v6
	v_xor_b32_e32 v7, s25, v6
	v_xor_b32_e32 v6, s24, v6
	v_and_b32_e32 v4, v4, v7
	v_and_b32_e32 v56, v56, v6
	v_lshlrev_b32_e32 v7, 28, v55
	v_mov_b32_e32 v6, v5
	v_cmp_gt_i64_e64 s[24:25], 0, v[6:7]
	v_not_b32_e32 v6, v7
	v_ashrrev_i32_e32 v6, 31, v6
	;; [unrolled: 9-line block ×6, first 2 shown]
	v_xor_b32_e32 v7, s25, v6
	v_xor_b32_e32 v6, s24, v6
	ds_read_b32 v53, v54 offset:16
	v_and_b32_e32 v6, v56, v6
	v_and_b32_e32 v7, v4, v7
	v_mbcnt_lo_u32_b32 v4, v6, 0
	v_mbcnt_hi_u32_b32 v55, v7, v4
	v_cmp_eq_u32_e64 s[24:25], 0, v55
	v_cmp_ne_u64_e64 s[26:27], 0, v[6:7]
	s_and_b64 s[26:27], s[26:27], s[24:25]
	; wave barrier
	s_and_saveexec_b64 s[24:25], s[26:27]
	s_cbranch_execz .LBB97_47
; %bb.46:
	v_bcnt_u32_b32 v4, v6, 0
	v_bcnt_u32_b32 v4, v7, v4
	s_waitcnt lgkmcnt(0)
	v_add_u32_e32 v4, v53, v4
	ds_write_b32 v54, v4 offset:16
.LBB97_47:
	s_or_b64 exec, exec, s[24:25]
	v_lshrrev_b32_e32 v4, s64, v20
	v_and_b32_e32 v57, s72, v4
	v_mul_lo_u32 v4, v57, 20
	v_lshl_add_u32 v32, v32, 2, v4
	v_and_b32_e32 v4, 1, v57
	v_lshl_add_u64 v[6:7], v[4:5], 0, -1
	v_cmp_ne_u32_e64 s[24:25], 0, v4
	; wave barrier
	s_nop 1
	v_xor_b32_e32 v6, s24, v6
	v_xor_b32_e32 v4, s25, v7
	v_and_b32_e32 v58, exec_lo, v6
	v_lshlrev_b32_e32 v7, 30, v57
	v_mov_b32_e32 v6, v5
	v_cmp_gt_i64_e64 s[24:25], 0, v[6:7]
	v_not_b32_e32 v6, v7
	v_ashrrev_i32_e32 v6, 31, v6
	v_and_b32_e32 v4, exec_hi, v4
	v_xor_b32_e32 v7, s25, v6
	v_xor_b32_e32 v6, s24, v6
	v_and_b32_e32 v4, v4, v7
	v_and_b32_e32 v58, v58, v6
	v_lshlrev_b32_e32 v7, 29, v57
	v_mov_b32_e32 v6, v5
	v_cmp_gt_i64_e64 s[24:25], 0, v[6:7]
	v_not_b32_e32 v6, v7
	v_ashrrev_i32_e32 v6, 31, v6
	v_xor_b32_e32 v7, s25, v6
	v_xor_b32_e32 v6, s24, v6
	v_and_b32_e32 v4, v4, v7
	v_and_b32_e32 v58, v58, v6
	v_lshlrev_b32_e32 v7, 28, v57
	v_mov_b32_e32 v6, v5
	v_cmp_gt_i64_e64 s[24:25], 0, v[6:7]
	v_not_b32_e32 v6, v7
	v_ashrrev_i32_e32 v6, 31, v6
	;; [unrolled: 9-line block ×5, first 2 shown]
	v_xor_b32_e32 v7, s25, v6
	v_xor_b32_e32 v6, s24, v6
	v_and_b32_e32 v4, v4, v7
	v_lshlrev_b32_e32 v7, 24, v57
	v_and_b32_e32 v58, v58, v6
	v_mov_b32_e32 v6, v5
	v_not_b32_e32 v5, v7
	v_cmp_gt_i64_e64 s[24:25], 0, v[6:7]
	v_ashrrev_i32_e32 v5, 31, v5
	ds_read_b32 v56, v32 offset:16
	v_xor_b32_e32 v6, s25, v5
	v_xor_b32_e32 v7, s24, v5
	v_and_b32_e32 v5, v4, v6
	v_and_b32_e32 v4, v58, v7
	v_mbcnt_lo_u32_b32 v6, v4, 0
	v_mbcnt_hi_u32_b32 v57, v5, v6
	v_cmp_eq_u32_e64 s[24:25], 0, v57
	v_cmp_ne_u64_e64 s[26:27], 0, v[4:5]
	s_and_b64 s[26:27], s[26:27], s[24:25]
	; wave barrier
	s_and_saveexec_b64 s[24:25], s[26:27]
	s_cbranch_execz .LBB97_49
; %bb.48:
	v_bcnt_u32_b32 v4, v4, 0
	v_bcnt_u32_b32 v4, v5, v4
	s_waitcnt lgkmcnt(0)
	v_add_u32_e32 v4, v56, v4
	ds_write_b32 v32, v4 offset:16
.LBB97_49:
	s_or_b64 exec, exec, s[24:25]
	; wave barrier
	s_waitcnt lgkmcnt(0)
	s_barrier
	ds_read2_b32 v[6:7], v22 offset0:4 offset1:5
	ds_read2_b32 v[4:5], v22 offset0:6 offset1:7
	ds_read_b32 v58, v22 offset:32
	v_min_u32_e32 v19, 0xc0, v19
	v_or_b32_e32 v19, 63, v19
	s_waitcnt lgkmcnt(1)
	v_add3_u32 v59, v7, v6, v4
	s_waitcnt lgkmcnt(0)
	v_add3_u32 v58, v59, v5, v58
	v_and_b32_e32 v59, 15, v14
	v_cmp_ne_u32_e64 s[24:25], 0, v59
	v_mov_b32_dpp v60, v58 row_shr:1 row_mask:0xf bank_mask:0xf
	s_nop 0
	v_cndmask_b32_e64 v60, 0, v60, s[24:25]
	v_add_u32_e32 v58, v60, v58
	v_cmp_lt_u32_e64 s[24:25], 1, v59
	s_nop 0
	v_mov_b32_dpp v60, v58 row_shr:2 row_mask:0xf bank_mask:0xf
	v_cndmask_b32_e64 v60, 0, v60, s[24:25]
	v_add_u32_e32 v58, v58, v60
	v_cmp_lt_u32_e64 s[24:25], 3, v59
	s_nop 0
	v_mov_b32_dpp v60, v58 row_shr:4 row_mask:0xf bank_mask:0xf
	;; [unrolled: 5-line block ×3, first 2 shown]
	v_cndmask_b32_e64 v59, 0, v60, s[24:25]
	v_add_u32_e32 v58, v58, v59
	v_bfe_i32 v60, v14, 4, 1
	v_cmp_lt_u32_e64 s[24:25], 31, v14
	v_mov_b32_dpp v59, v58 row_bcast:15 row_mask:0xf bank_mask:0xf
	v_and_b32_e32 v59, v60, v59
	v_add_u32_e32 v58, v58, v59
	s_nop 1
	v_mov_b32_dpp v59, v58 row_bcast:31 row_mask:0xf bank_mask:0xf
	v_cndmask_b32_e64 v59, 0, v59, s[24:25]
	v_add_u32_e32 v58, v58, v59
	v_lshrrev_b32_e32 v59, 6, v2
	v_cmp_eq_u32_e64 s[24:25], v2, v19
	s_and_saveexec_b64 s[26:27], s[24:25]
; %bb.50:
	v_lshlrev_b32_e32 v19, 2, v59
	ds_write_b32 v19, v58
; %bb.51:
	s_or_b64 exec, exec, s[26:27]
	v_cmp_gt_u32_e64 s[24:25], 4, v2
	s_waitcnt lgkmcnt(0)
	s_barrier
	s_and_saveexec_b64 s[26:27], s[24:25]
	s_cbranch_execz .LBB97_53
; %bb.52:
	v_lshlrev_b32_e32 v19, 2, v2
	ds_read_b32 v60, v19
	v_and_b32_e32 v61, 3, v14
	v_cmp_ne_u32_e64 s[24:25], 0, v61
	s_waitcnt lgkmcnt(0)
	v_mov_b32_dpp v62, v60 row_shr:1 row_mask:0xf bank_mask:0xf
	v_cndmask_b32_e64 v62, 0, v62, s[24:25]
	v_add_u32_e32 v60, v62, v60
	v_cmp_lt_u32_e64 s[24:25], 1, v61
	s_nop 0
	v_mov_b32_dpp v62, v60 row_shr:2 row_mask:0xf bank_mask:0xf
	v_cndmask_b32_e64 v61, 0, v62, s[24:25]
	v_add_u32_e32 v60, v60, v61
	ds_write_b32 v19, v60
.LBB97_53:
	s_or_b64 exec, exec, s[26:27]
	v_cmp_lt_u32_e64 s[24:25], 63, v2
	v_mov_b32_e32 v19, 0
	s_waitcnt lgkmcnt(0)
	s_barrier
	s_and_saveexec_b64 s[26:27], s[24:25]
; %bb.54:
	v_lshl_add_u32 v19, v59, 2, -4
	ds_read_b32 v19, v19
; %bb.55:
	s_or_b64 exec, exec, s[26:27]
	v_add_u32_e32 v59, -1, v14
	v_and_b32_e32 v60, 64, v14
	v_cmp_lt_i32_e64 s[24:25], v59, v60
	s_waitcnt lgkmcnt(0)
	v_add_u32_e32 v58, v19, v58
	v_cndmask_b32_e64 v59, v59, v14, s[24:25]
	v_lshlrev_b32_e32 v59, 2, v59
	ds_bpermute_b32 v58, v59, v58
	v_cmp_eq_u32_e64 s[24:25], 0, v14
	s_waitcnt lgkmcnt(0)
	s_nop 0
	v_cndmask_b32_e64 v19, v58, v19, s[24:25]
	v_cmp_ne_u32_e64 s[24:25], 0, v2
	s_nop 1
	v_cndmask_b32_e64 v19, 0, v19, s[24:25]
	v_add_u32_e32 v6, v19, v6
	v_add_u32_e32 v7, v6, v7
	;; [unrolled: 1-line block ×4, first 2 shown]
	ds_write2_b32 v22, v19, v6 offset0:4 offset1:5
	ds_write2_b32 v22, v7, v4 offset0:6 offset1:7
	ds_write_b32 v22, v5 offset:32
	s_waitcnt lgkmcnt(0)
	s_barrier
	ds_read_b32 v6, v45 offset:16
	ds_read_b32 v7, v48 offset:16
	;; [unrolled: 1-line block ×13, first 2 shown]
	v_add_u32_e32 v22, 1, v2
	s_movk_i32 s24, 0x100
	v_cmp_ne_u32_e64 s[24:25], s24, v22
	v_mov_b32_e32 v5, 0xc00
	s_and_saveexec_b64 s[26:27], s[24:25]
; %bb.56:
	v_mul_u32_u24_e32 v5, 20, v22
	ds_read_b32 v5, v5 offset:16
; %bb.57:
	s_or_b64 exec, exec, s[26:27]
	s_waitcnt lgkmcnt(7)
	v_add_u32_e32 v33, v24, v23
	s_waitcnt lgkmcnt(6)
	v_add3_u32 v32, v27, v25, v26
	v_add3_u32 v24, v46, v44, v6
	v_lshlrev_b32_e32 v6, 2, v33
	s_waitcnt lgkmcnt(5)
	v_add3_u32 v29, v30, v28, v29
	s_waitcnt lgkmcnt(0)
	s_barrier
	ds_write_b32 v6, v9 offset:2048
	v_lshlrev_b32_e32 v6, 2, v32
	v_add3_u32 v28, v34, v31, v51
	ds_write_b32 v6, v8 offset:2048
	v_lshlrev_b32_e32 v6, 2, v29
	v_add3_u32 v27, v37, v35, v36
	;; [unrolled: 3-line block ×4, first 2 shown]
	ds_write_b32 v6, v13 offset:2048
	v_lshlrev_b32_e32 v6, 2, v26
	ds_write_b32 v6, v12 offset:2048
	v_lshlrev_b32_e32 v6, 2, v25
	v_add3_u32 v23, v49, v47, v7
	ds_write_b32 v6, v16 offset:2048
	v_lshlrev_b32_e32 v6, 2, v24
	v_add3_u32 v22, v52, v50, v19
	;; [unrolled: 3-line block ×4, first 2 shown]
	ds_write_b32 v6, v17 offset:2048
	v_lshlrev_b32_e32 v6, 2, v19
	ds_write_b32 v6, v21 offset:2048
	v_lshlrev_b32_e32 v6, 2, v7
	ds_write_b32 v6, v20 offset:2048
	v_sub_u32_e32 v6, v5, v4
	v_lshl_add_u32 v8, s2, 8, v2
	v_mov_b32_e32 v9, 0
	v_lshl_add_u64 v[10:11], v[8:9], 2, s[70:71]
	v_or_b32_e32 v5, 2.0, v6
	s_mov_b64 s[26:27], 0
	s_brev_b32 s34, -4
	s_mov_b32 s35, s3
	v_mov_b32_e32 v15, 0
	s_waitcnt lgkmcnt(0)
	s_barrier
	global_store_dword v[10:11], v5, off sc1
                                        ; implicit-def: $sgpr24_sgpr25
	s_branch .LBB97_60
.LBB97_58:                              ;   in Loop: Header=BB97_60 Depth=1
	s_or_b64 exec, exec, s[30:31]
.LBB97_59:                              ;   in Loop: Header=BB97_60 Depth=1
	s_or_b64 exec, exec, s[28:29]
	v_and_b32_e32 v8, 0x3fffffff, v5
	v_add_u32_e32 v15, v8, v15
	v_cmp_gt_i32_e64 s[24:25], -2.0, v5
	s_and_b64 s[28:29], exec, s[24:25]
	s_or_b64 s[26:27], s[28:29], s[26:27]
	s_andn2_b64 exec, exec, s[26:27]
	s_cbranch_execz .LBB97_65
.LBB97_60:                              ; =>This Loop Header: Depth=1
                                        ;     Child Loop BB97_63 Depth 2
	s_or_b64 s[24:25], s[24:25], exec
	s_cmp_eq_u32 s35, 0
	s_cbranch_scc1 .LBB97_64
; %bb.61:                               ;   in Loop: Header=BB97_60 Depth=1
	s_add_i32 s35, s35, -1
	v_lshl_add_u32 v8, s35, 8, v2
	v_lshl_add_u64 v[12:13], v[8:9], 2, s[70:71]
	global_load_dword v5, v[12:13], off sc1
	s_waitcnt vmcnt(0)
	v_cmp_gt_u32_e64 s[24:25], 2.0, v5
	s_and_saveexec_b64 s[28:29], s[24:25]
	s_cbranch_execz .LBB97_59
; %bb.62:                               ;   in Loop: Header=BB97_60 Depth=1
	s_mov_b64 s[30:31], 0
.LBB97_63:                              ;   Parent Loop BB97_60 Depth=1
                                        ; =>  This Inner Loop Header: Depth=2
	global_load_dword v5, v[12:13], off sc1
	s_waitcnt vmcnt(0)
	v_cmp_lt_u32_e64 s[24:25], s34, v5
	s_or_b64 s[30:31], s[24:25], s[30:31]
	s_andn2_b64 exec, exec, s[30:31]
	s_cbranch_execnz .LBB97_63
	s_branch .LBB97_58
.LBB97_64:                              ;   in Loop: Header=BB97_60 Depth=1
                                        ; implicit-def: $sgpr35
	s_and_b64 s[28:29], exec, s[24:25]
	s_or_b64 s[26:27], s[28:29], s[26:27]
	s_andn2_b64 exec, exec, s[26:27]
	s_cbranch_execnz .LBB97_60
.LBB97_65:
	s_or_b64 exec, exec, s[26:27]
	v_add_u32_e32 v5, v15, v6
	v_or_b32_e32 v5, 0x80000000, v5
	v_lshlrev_b32_e32 v8, 3, v2
	global_store_dword v[10:11], v5, off sc1
	global_load_dwordx2 v[10:11], v8, s[60:61]
	v_sub_co_u32_e64 v12, s[24:25], v15, v4
	v_mov_b32_e32 v5, 0
	s_nop 0
	v_subb_co_u32_e64 v13, s[24:25], 0, 0, s[24:25]
	v_cmp_gt_u32_e64 s[24:25], s66, v2
	s_waitcnt vmcnt(0)
	v_lshl_add_u64 v[10:11], v[12:13], 0, v[10:11]
	ds_write_b64 v8, v[10:11]
	s_waitcnt lgkmcnt(0)
	s_barrier
	s_and_saveexec_b64 s[26:27], s[24:25]
	s_cbranch_execz .LBB97_67
; %bb.66:
	v_lshlrev_b32_e32 v10, 2, v2
	v_sub_u32_e32 v9, v8, v10
	ds_read_b32 v9, v9 offset:2048
	s_waitcnt lgkmcnt(0)
	v_lshrrev_b32_e32 v11, s64, v9
	v_and_b32_e32 v11, s72, v11
	v_lshlrev_b32_e32 v11, 3, v11
	ds_read_b64 v[12:13], v11
	v_mov_b32_e32 v11, v5
	v_xor_b32_e32 v9, 0x80000000, v9
	s_waitcnt lgkmcnt(0)
	v_lshl_add_u64 v[12:13], v[12:13], 2, s[54:55]
	v_lshl_add_u64 v[10:11], v[12:13], 0, v[10:11]
	global_store_dword v[10:11], v9, off
.LBB97_67:
	s_or_b64 exec, exec, s[26:27]
	v_add_u32_e32 v9, 0x100, v2
	v_cmp_gt_u32_e64 s[26:27], s66, v9
	s_and_saveexec_b64 s[28:29], s[26:27]
	s_cbranch_execz .LBB97_69
; %bb.68:
	v_lshlrev_b32_e32 v10, 2, v2
	v_sub_u32_e32 v9, v8, v10
	ds_read_b32 v9, v9 offset:3072
	s_waitcnt lgkmcnt(0)
	v_lshrrev_b32_e32 v11, s64, v9
	v_and_b32_e32 v11, s72, v11
	v_lshlrev_b32_e32 v11, 3, v11
	ds_read_b64 v[12:13], v11
	v_mov_b32_e32 v11, 0
	v_xor_b32_e32 v9, 0x80000000, v9
	s_waitcnt lgkmcnt(0)
	v_lshl_add_u64 v[12:13], v[12:13], 2, s[54:55]
	v_lshl_add_u64 v[10:11], v[12:13], 0, v[10:11]
	global_store_dword v[10:11], v9, off offset:1024
.LBB97_69:
	s_or_b64 exec, exec, s[28:29]
	v_add_u32_e32 v12, 0x200, v2
	v_cmp_gt_u32_e64 s[28:29], s66, v12
	s_and_saveexec_b64 s[30:31], s[28:29]
	s_cbranch_execz .LBB97_71
; %bb.70:
	v_lshlrev_b32_e32 v10, 2, v2
	v_sub_u32_e32 v9, v8, v10
	ds_read_b32 v9, v9 offset:4096
	s_waitcnt lgkmcnt(0)
	v_lshrrev_b32_e32 v11, s64, v9
	v_and_b32_e32 v11, s72, v11
	v_lshlrev_b32_e32 v11, 3, v11
	ds_read_b64 v[16:17], v11
	v_mov_b32_e32 v11, 0
	v_xor_b32_e32 v9, 0x80000000, v9
	s_waitcnt lgkmcnt(0)
	v_lshl_add_u64 v[16:17], v[16:17], 2, s[54:55]
	v_lshl_add_u64 v[10:11], v[16:17], 0, v[10:11]
	global_store_dword v[10:11], v9, off offset:2048
.LBB97_71:
	;; [unrolled: 21-line block ×3, first 2 shown]
	s_or_b64 exec, exec, s[34:35]
	v_or_b32_e32 v15, 0x400, v2
	v_cmp_gt_u32_e64 s[34:35], s66, v15
	s_and_saveexec_b64 s[36:37], s[34:35]
	s_cbranch_execz .LBB97_75
; %bb.74:
	v_lshlrev_b32_e32 v9, 2, v2
	v_sub_u32_e32 v9, v8, v9
	ds_read_b32 v9, v9 offset:6144
	v_lshlrev_b32_e32 v16, 2, v15
	v_mov_b32_e32 v17, 0
	s_waitcnt lgkmcnt(0)
	v_lshrrev_b32_e32 v10, s64, v9
	v_and_b32_e32 v10, s72, v10
	v_lshlrev_b32_e32 v10, 3, v10
	ds_read_b64 v[10:11], v10
	v_xor_b32_e32 v9, 0x80000000, v9
	s_waitcnt lgkmcnt(0)
	v_lshl_add_u64 v[10:11], v[10:11], 2, s[54:55]
	v_lshl_add_u64 v[10:11], v[10:11], 0, v[16:17]
	global_store_dword v[10:11], v9, off
.LBB97_75:
	s_or_b64 exec, exec, s[36:37]
	v_add_u32_e32 v16, 0x500, v2
	v_cmp_gt_u32_e64 s[36:37], s66, v16
	s_and_saveexec_b64 s[38:39], s[36:37]
	s_cbranch_execz .LBB97_77
; %bb.76:
	v_lshlrev_b32_e32 v9, 2, v2
	v_sub_u32_e32 v9, v8, v9
	ds_read_b32 v9, v9 offset:7168
	v_lshlrev_b32_e32 v20, 2, v16
	v_mov_b32_e32 v21, 0
	s_waitcnt lgkmcnt(0)
	v_lshrrev_b32_e32 v10, s64, v9
	v_and_b32_e32 v10, s72, v10
	v_lshlrev_b32_e32 v10, 3, v10
	ds_read_b64 v[10:11], v10
	v_xor_b32_e32 v9, 0x80000000, v9
	s_waitcnt lgkmcnt(0)
	v_lshl_add_u64 v[10:11], v[10:11], 2, s[54:55]
	v_lshl_add_u64 v[10:11], v[10:11], 0, v[20:21]
	global_store_dword v[10:11], v9, off
.LBB97_77:
	s_or_b64 exec, exec, s[38:39]
	v_add_u32_e32 v17, 0x600, v2
	;; [unrolled: 22-line block ×3, first 2 shown]
	v_cmp_gt_u32_e64 s[40:41], s66, v18
	s_and_saveexec_b64 s[42:43], s[40:41]
	s_cbranch_execz .LBB97_81
; %bb.80:
	v_lshlrev_b32_e32 v9, 2, v2
	ds_read_b32 v9, v9 offset:9216
	v_lshlrev_b32_e32 v20, 2, v18
	v_mov_b32_e32 v21, 0
	s_waitcnt lgkmcnt(0)
	v_lshrrev_b32_e32 v10, s64, v9
	v_and_b32_e32 v10, s72, v10
	v_lshlrev_b32_e32 v10, 3, v10
	ds_read_b64 v[10:11], v10
	v_xor_b32_e32 v9, 0x80000000, v9
	s_waitcnt lgkmcnt(0)
	v_lshl_add_u64 v[10:11], v[10:11], 2, s[54:55]
	v_lshl_add_u64 v[10:11], v[10:11], 0, v[20:21]
	global_store_dword v[10:11], v9, off
.LBB97_81:
	s_or_b64 exec, exec, s[42:43]
	v_or_b32_e32 v20, 0x800, v2
	v_cmp_gt_u32_e64 s[42:43], s66, v20
	s_and_saveexec_b64 s[44:45], s[42:43]
	s_cbranch_execz .LBB97_83
; %bb.82:
	v_lshlrev_b32_e32 v9, 2, v2
	ds_read_b32 v9, v9 offset:10240
	v_lshlrev_b32_e32 v30, 2, v20
	v_mov_b32_e32 v31, 0
	s_waitcnt lgkmcnt(0)
	v_lshrrev_b32_e32 v10, s64, v9
	v_and_b32_e32 v10, s72, v10
	v_lshlrev_b32_e32 v10, 3, v10
	ds_read_b64 v[10:11], v10
	v_xor_b32_e32 v9, 0x80000000, v9
	s_waitcnt lgkmcnt(0)
	v_lshl_add_u64 v[10:11], v[10:11], 2, s[54:55]
	v_lshl_add_u64 v[10:11], v[10:11], 0, v[30:31]
	global_store_dword v[10:11], v9, off
.LBB97_83:
	s_or_b64 exec, exec, s[44:45]
	v_add_u32_e32 v21, 0x900, v2
	v_cmp_gt_u32_e64 s[44:45], s66, v21
	s_and_saveexec_b64 s[46:47], s[44:45]
	s_cbranch_execz .LBB97_85
; %bb.84:
	v_lshlrev_b32_e32 v9, 2, v2
	ds_read_b32 v9, v9 offset:11264
	v_lshlrev_b32_e32 v30, 2, v21
	v_mov_b32_e32 v31, 0
	s_waitcnt lgkmcnt(0)
	v_lshrrev_b32_e32 v10, s64, v9
	v_and_b32_e32 v10, s72, v10
	v_lshlrev_b32_e32 v10, 3, v10
	ds_read_b64 v[10:11], v10
	v_xor_b32_e32 v9, 0x80000000, v9
	s_waitcnt lgkmcnt(0)
	v_lshl_add_u64 v[10:11], v[10:11], 2, s[54:55]
	v_lshl_add_u64 v[10:11], v[10:11], 0, v[30:31]
	global_store_dword v[10:11], v9, off
.LBB97_85:
	s_or_b64 exec, exec, s[46:47]
	v_add_u32_e32 v30, 0xa00, v2
	;; [unrolled: 21-line block ×3, first 2 shown]
	v_cmp_gt_u32_e64 s[48:49], s66, v31
	s_and_saveexec_b64 s[66:67], s[48:49]
	s_cbranch_execz .LBB97_89
; %bb.88:
	v_lshlrev_b32_e32 v9, 2, v2
	ds_read_b32 v9, v9 offset:13312
	v_lshlrev_b32_e32 v34, 2, v31
	v_mov_b32_e32 v35, 0
	s_waitcnt lgkmcnt(0)
	v_lshrrev_b32_e32 v10, s64, v9
	v_and_b32_e32 v10, s72, v10
	v_lshlrev_b32_e32 v10, 3, v10
	ds_read_b64 v[10:11], v10
	v_xor_b32_e32 v9, 0x80000000, v9
	s_waitcnt lgkmcnt(0)
	v_lshl_add_u64 v[10:11], v[10:11], 2, s[54:55]
	v_lshl_add_u64 v[10:11], v[10:11], 0, v[34:35]
	global_store_dword v[10:11], v9, off
.LBB97_89:
	s_or_b64 exec, exec, s[66:67]
	s_lshl_b64 s[66:67], s[68:69], 3
	s_add_u32 s66, s56, s66
	s_addc_u32 s67, s57, s67
	v_lshlrev_b32_e32 v10, 3, v14
	v_mov_b32_e32 v11, 0
	v_lshl_add_u64 v[34:35], s[66:67], 0, v[10:11]
	v_lshlrev_b32_e32 v10, 3, v3
	v_lshl_add_u64 v[10:11], v[34:35], 0, v[10:11]
                                        ; implicit-def: $vgpr42_vgpr43
	s_and_saveexec_b64 s[66:67], vcc
	s_xor_b64 s[66:67], exec, s[66:67]
	s_cbranch_execz .LBB97_101
; %bb.90:
	global_load_dwordx2 v[42:43], v[10:11], off
	s_or_b64 exec, exec, s[66:67]
                                        ; implicit-def: $vgpr44_vgpr45
	s_and_saveexec_b64 s[66:67], s[50:51]
	s_cbranch_execnz .LBB97_102
.LBB97_91:
	s_or_b64 exec, exec, s[66:67]
                                        ; implicit-def: $vgpr46_vgpr47
	s_and_saveexec_b64 s[50:51], s[4:5]
	s_cbranch_execz .LBB97_103
.LBB97_92:
	global_load_dwordx2 v[46:47], v[10:11], off offset:1024
	s_or_b64 exec, exec, s[50:51]
                                        ; implicit-def: $vgpr48_vgpr49
	s_and_saveexec_b64 s[4:5], s[6:7]
	s_cbranch_execnz .LBB97_104
.LBB97_93:
	s_or_b64 exec, exec, s[4:5]
                                        ; implicit-def: $vgpr50_vgpr51
	s_and_saveexec_b64 s[4:5], s[8:9]
	s_cbranch_execz .LBB97_105
.LBB97_94:
	global_load_dwordx2 v[50:51], v[10:11], off offset:2048
	s_or_b64 exec, exec, s[4:5]
                                        ; implicit-def: $vgpr52_vgpr53
	s_and_saveexec_b64 s[4:5], s[10:11]
	s_cbranch_execnz .LBB97_106
.LBB97_95:
	s_or_b64 exec, exec, s[4:5]
                                        ; implicit-def: $vgpr54_vgpr55
	s_and_saveexec_b64 s[4:5], s[12:13]
	s_cbranch_execz .LBB97_107
.LBB97_96:
	global_load_dwordx2 v[54:55], v[10:11], off offset:3072
	s_or_b64 exec, exec, s[4:5]
                                        ; implicit-def: $vgpr56_vgpr57
	s_and_saveexec_b64 s[4:5], s[18:19]
	s_cbranch_execnz .LBB97_108
.LBB97_97:
	s_or_b64 exec, exec, s[4:5]
                                        ; implicit-def: $vgpr58_vgpr59
	s_and_saveexec_b64 s[4:5], s[22:23]
	s_cbranch_execz .LBB97_109
.LBB97_98:
	v_add_co_u32_e32 v34, vcc, 0x1000, v10
	s_nop 1
	v_addc_co_u32_e32 v35, vcc, 0, v11, vcc
	global_load_dwordx2 v[58:59], v[34:35], off
	s_or_b64 exec, exec, s[4:5]
                                        ; implicit-def: $vgpr60_vgpr61
	s_and_saveexec_b64 s[4:5], s[20:21]
	s_cbranch_execnz .LBB97_110
.LBB97_99:
	s_or_b64 exec, exec, s[4:5]
                                        ; implicit-def: $vgpr62_vgpr63
	s_and_saveexec_b64 s[4:5], s[16:17]
	s_cbranch_execz .LBB97_111
.LBB97_100:
	v_add_co_u32_e32 v34, vcc, 0x1000, v10
	s_nop 1
	v_addc_co_u32_e32 v35, vcc, 0, v11, vcc
	global_load_dwordx2 v[62:63], v[34:35], off offset:1024
	s_or_b64 exec, exec, s[4:5]
                                        ; implicit-def: $vgpr64_vgpr65
	s_and_saveexec_b64 s[4:5], s[14:15]
	s_cbranch_execnz .LBB97_112
	s_branch .LBB97_113
.LBB97_101:
	s_or_b64 exec, exec, s[66:67]
                                        ; implicit-def: $vgpr44_vgpr45
	s_and_saveexec_b64 s[66:67], s[50:51]
	s_cbranch_execz .LBB97_91
.LBB97_102:
	global_load_dwordx2 v[44:45], v[10:11], off offset:512
	s_or_b64 exec, exec, s[66:67]
                                        ; implicit-def: $vgpr46_vgpr47
	s_and_saveexec_b64 s[50:51], s[4:5]
	s_cbranch_execnz .LBB97_92
.LBB97_103:
	s_or_b64 exec, exec, s[50:51]
                                        ; implicit-def: $vgpr48_vgpr49
	s_and_saveexec_b64 s[4:5], s[6:7]
	s_cbranch_execz .LBB97_93
.LBB97_104:
	global_load_dwordx2 v[48:49], v[10:11], off offset:1536
	s_or_b64 exec, exec, s[4:5]
                                        ; implicit-def: $vgpr50_vgpr51
	s_and_saveexec_b64 s[4:5], s[8:9]
	s_cbranch_execnz .LBB97_94
.LBB97_105:
	s_or_b64 exec, exec, s[4:5]
                                        ; implicit-def: $vgpr52_vgpr53
	s_and_saveexec_b64 s[4:5], s[10:11]
	s_cbranch_execz .LBB97_95
.LBB97_106:
	global_load_dwordx2 v[52:53], v[10:11], off offset:2560
	s_or_b64 exec, exec, s[4:5]
                                        ; implicit-def: $vgpr54_vgpr55
	s_and_saveexec_b64 s[4:5], s[12:13]
	s_cbranch_execnz .LBB97_96
.LBB97_107:
	s_or_b64 exec, exec, s[4:5]
                                        ; implicit-def: $vgpr56_vgpr57
	s_and_saveexec_b64 s[4:5], s[18:19]
	s_cbranch_execz .LBB97_97
.LBB97_108:
	global_load_dwordx2 v[56:57], v[10:11], off offset:3584
	s_or_b64 exec, exec, s[4:5]
                                        ; implicit-def: $vgpr58_vgpr59
	s_and_saveexec_b64 s[4:5], s[22:23]
	s_cbranch_execnz .LBB97_98
.LBB97_109:
	s_or_b64 exec, exec, s[4:5]
                                        ; implicit-def: $vgpr60_vgpr61
	s_and_saveexec_b64 s[4:5], s[20:21]
	s_cbranch_execz .LBB97_99
.LBB97_110:
	v_add_co_u32_e32 v34, vcc, 0x1000, v10
	s_nop 1
	v_addc_co_u32_e32 v35, vcc, 0, v11, vcc
	global_load_dwordx2 v[60:61], v[34:35], off offset:512
	s_or_b64 exec, exec, s[4:5]
                                        ; implicit-def: $vgpr62_vgpr63
	s_and_saveexec_b64 s[4:5], s[16:17]
	s_cbranch_execnz .LBB97_100
.LBB97_111:
	s_or_b64 exec, exec, s[4:5]
                                        ; implicit-def: $vgpr64_vgpr65
	s_and_saveexec_b64 s[4:5], s[14:15]
	s_cbranch_execz .LBB97_113
.LBB97_112:
	v_add_co_u32_e32 v10, vcc, 0x1000, v10
	s_nop 1
	v_addc_co_u32_e32 v11, vcc, 0, v11, vcc
	global_load_dwordx2 v[64:65], v[10:11], off offset:1536
.LBB97_113:
	s_or_b64 exec, exec, s[4:5]
	v_mov_b32_e32 v38, 0
	v_mov_b32_e32 v9, 0
	s_and_saveexec_b64 s[4:5], s[24:25]
	s_cbranch_execz .LBB97_115
; %bb.114:
	v_lshlrev_b32_e32 v3, 2, v2
	ds_read_b32 v3, v3 offset:2048
	s_waitcnt lgkmcnt(0)
	v_lshrrev_b32_e32 v3, s64, v3
	v_and_b32_e32 v9, s72, v3
.LBB97_115:
	s_or_b64 exec, exec, s[4:5]
	s_and_saveexec_b64 s[4:5], s[26:27]
	s_cbranch_execz .LBB97_117
; %bb.116:
	v_lshlrev_b32_e32 v3, 2, v2
	ds_read_b32 v3, v3 offset:3072
	s_waitcnt lgkmcnt(0)
	v_lshrrev_b32_e32 v3, s64, v3
	v_and_b32_e32 v38, s72, v3
.LBB97_117:
	s_or_b64 exec, exec, s[4:5]
	v_mov_b32_e32 v36, 0
	v_mov_b32_e32 v40, 0
	s_and_saveexec_b64 s[4:5], s[28:29]
	s_cbranch_execz .LBB97_119
; %bb.118:
	v_lshlrev_b32_e32 v3, 2, v2
	ds_read_b32 v3, v3 offset:4096
	s_waitcnt lgkmcnt(0)
	v_lshrrev_b32_e32 v3, s64, v3
	v_and_b32_e32 v40, s72, v3
.LBB97_119:
	s_or_b64 exec, exec, s[4:5]
	s_and_saveexec_b64 s[4:5], s[30:31]
	s_cbranch_execz .LBB97_121
; %bb.120:
	v_lshlrev_b32_e32 v3, 2, v2
	ds_read_b32 v3, v3 offset:5120
	s_waitcnt lgkmcnt(0)
	v_lshrrev_b32_e32 v3, s64, v3
	v_and_b32_e32 v36, s72, v3
.LBB97_121:
	;; [unrolled: 22-line block ×6, first 2 shown]
	s_or_b64 exec, exec, s[4:5]
	v_lshlrev_b32_e32 v2, 3, v33
	s_barrier
	s_waitcnt vmcnt(0)
	ds_write_b64 v2, v[42:43] offset:2048
	v_lshlrev_b32_e32 v2, 3, v32
	ds_write_b64 v2, v[44:45] offset:2048
	v_lshlrev_b32_e32 v2, 3, v29
	;; [unrolled: 2-line block ×11, first 2 shown]
	ds_write_b64 v2, v[64:65] offset:2048
	s_waitcnt lgkmcnt(0)
	s_barrier
	s_and_saveexec_b64 s[4:5], s[24:25]
	s_cbranch_execz .LBB97_196
; %bb.138:
	v_lshlrev_b32_e32 v2, 3, v9
	ds_read_b64 v[22:23], v2
	ds_read_b64 v[24:25], v8 offset:2048
	v_mov_b32_e32 v9, 0
	s_waitcnt lgkmcnt(1)
	v_lshl_add_u64 v[22:23], v[22:23], 3, s[58:59]
	v_lshl_add_u64 v[22:23], v[22:23], 0, v[8:9]
	s_waitcnt lgkmcnt(0)
	global_store_dwordx2 v[22:23], v[24:25], off
	s_or_b64 exec, exec, s[4:5]
	s_and_saveexec_b64 s[4:5], s[26:27]
	s_cbranch_execnz .LBB97_197
.LBB97_139:
	s_or_b64 exec, exec, s[4:5]
	s_and_saveexec_b64 s[4:5], s[28:29]
	s_cbranch_execz .LBB97_198
.LBB97_140:
	v_lshlrev_b32_e32 v2, 3, v40
	ds_read_b64 v[22:23], v2
	ds_read_b64 v[24:25], v8 offset:6144
	v_lshlrev_b32_e32 v26, 3, v12
	v_mov_b32_e32 v27, 0
	s_waitcnt lgkmcnt(1)
	v_lshl_add_u64 v[22:23], v[22:23], 3, s[58:59]
	v_lshl_add_u64 v[22:23], v[22:23], 0, v[26:27]
	s_waitcnt lgkmcnt(0)
	global_store_dwordx2 v[22:23], v[24:25], off
	s_or_b64 exec, exec, s[4:5]
	s_and_saveexec_b64 s[4:5], s[30:31]
	s_cbranch_execnz .LBB97_199
.LBB97_141:
	s_or_b64 exec, exec, s[4:5]
	s_and_saveexec_b64 s[4:5], s[34:35]
	s_cbranch_execz .LBB97_200
.LBB97_142:
	v_lshlrev_b32_e32 v2, 3, v39
	ds_read_b64 v[12:13], v2
	ds_read_b64 v[22:23], v8 offset:10240
	v_lshlrev_b32_e32 v24, 3, v15
	v_mov_b32_e32 v25, 0
	s_waitcnt lgkmcnt(1)
	v_lshl_add_u64 v[12:13], v[12:13], 3, s[58:59]
	v_lshl_add_u64 v[12:13], v[12:13], 0, v[24:25]
	s_waitcnt lgkmcnt(0)
	global_store_dwordx2 v[12:13], v[22:23], off
	s_or_b64 exec, exec, s[4:5]
	s_and_saveexec_b64 s[4:5], s[36:37]
	s_cbranch_execnz .LBB97_201
.LBB97_143:
	s_or_b64 exec, exec, s[4:5]
	s_and_saveexec_b64 s[4:5], s[38:39]
	s_cbranch_execz .LBB97_202
.LBB97_144:
	v_lshlrev_b32_e32 v2, 3, v37
	ds_read_b64 v[12:13], v2
	ds_read_b64 v[22:23], v8 offset:14336
	v_lshlrev_b32_e32 v16, 3, v17
	v_mov_b32_e32 v17, 0
	s_waitcnt lgkmcnt(1)
	v_lshl_add_u64 v[12:13], v[12:13], 3, s[58:59]
	v_lshl_add_u64 v[12:13], v[12:13], 0, v[16:17]
	s_waitcnt lgkmcnt(0)
	global_store_dwordx2 v[12:13], v[22:23], off
	s_or_b64 exec, exec, s[4:5]
	s_and_saveexec_b64 s[4:5], s[40:41]
	s_cbranch_execnz .LBB97_203
.LBB97_145:
	s_or_b64 exec, exec, s[4:5]
	s_and_saveexec_b64 s[4:5], s[42:43]
	s_cbranch_execz .LBB97_204
.LBB97_146:
	v_lshlrev_b32_e32 v2, 3, v35
	ds_read_b64 v[12:13], v2
	ds_read_b64 v[16:17], v8 offset:18432
	v_lshlrev_b32_e32 v18, 3, v20
	v_mov_b32_e32 v19, 0
	s_waitcnt lgkmcnt(1)
	v_lshl_add_u64 v[12:13], v[12:13], 3, s[58:59]
	v_lshl_add_u64 v[12:13], v[12:13], 0, v[18:19]
	s_waitcnt lgkmcnt(0)
	global_store_dwordx2 v[12:13], v[16:17], off
	s_or_b64 exec, exec, s[4:5]
	s_and_saveexec_b64 s[4:5], s[44:45]
	s_cbranch_execnz .LBB97_205
.LBB97_147:
	s_or_b64 exec, exec, s[4:5]
	s_and_saveexec_b64 s[4:5], s[46:47]
	s_cbranch_execz .LBB97_206
.LBB97_148:
	v_lshlrev_b32_e32 v2, 3, v14
	ds_read_b64 v[10:11], v2
	ds_read_b64 v[12:13], v8 offset:22528
	v_lshlrev_b32_e32 v14, 3, v30
	v_mov_b32_e32 v15, 0
	s_waitcnt lgkmcnt(1)
	v_lshl_add_u64 v[10:11], v[10:11], 3, s[58:59]
	v_lshl_add_u64 v[10:11], v[10:11], 0, v[14:15]
	s_waitcnt lgkmcnt(0)
	global_store_dwordx2 v[10:11], v[12:13], off
	s_or_b64 exec, exec, s[4:5]
	s_and_saveexec_b64 s[4:5], s[48:49]
	s_cbranch_execnz .LBB97_207
.LBB97_149:
	s_or_b64 exec, exec, s[4:5]
	s_add_i32 s33, s33, -1
	s_cmp_eq_u32 s2, s33
	s_cbranch_scc0 .LBB97_151
.LBB97_150:
	ds_read_b64 v[2:3], v8
	v_mov_b32_e32 v7, 0
	v_lshl_add_u64 v[4:5], v[6:7], 0, v[4:5]
	s_waitcnt lgkmcnt(0)
	v_lshl_add_u64 v[2:3], v[4:5], 0, v[2:3]
	global_store_dwordx2 v8, v[2:3], s[62:63]
.LBB97_151:
	s_mov_b64 s[4:5], 0
.LBB97_152:
	s_and_b64 vcc, exec, s[4:5]
	s_cbranch_vccz .LBB97_195
; %bb.153:
	s_mov_b32 s69, 0
	s_lshl_b64 s[4:5], s[68:69], 2
	s_add_u32 s4, s52, s4
	v_mbcnt_hi_u32_b32 v9, -1, v1
	v_and_b32_e32 v8, 0xc0, v0
	s_addc_u32 s5, s53, s5
	v_mul_u32_u24_e32 v3, 12, v8
	v_mov_b32_e32 v5, 0
	v_lshlrev_b32_e32 v4, 2, v9
	v_lshl_add_u64 v[6:7], s[4:5], 0, v[4:5]
	v_lshlrev_b32_e32 v4, 2, v3
	v_lshl_add_u64 v[12:13], v[6:7], 0, v[4:5]
	global_load_dword v1, v[12:13], off
	s_load_dword s4, s[0:1], 0x5c
	s_load_dword s10, s[0:1], 0x50
	s_add_u32 s0, s0, 0x50
	s_addc_u32 s1, s1, 0
	v_and_b32_e32 v2, 0x3ff, v0
	s_waitcnt lgkmcnt(0)
	s_lshr_b32 s4, s4, 16
	s_cmp_lt_u32 s2, s10
	s_cselect_b32 s5, 12, 18
	s_add_u32 s0, s0, s5
	s_addc_u32 s1, s1, 0
	global_load_ushort v10, v5, s[0:1]
	v_mul_u32_u24_e32 v6, 20, v2
	ds_write2_b32 v6, v5, v5 offset0:4 offset1:5
	ds_write2_b32 v6, v5, v5 offset0:6 offset1:7
	ds_write_b32 v6, v5 offset:32
	global_load_dword v11, v[12:13], off offset:256
	global_load_dword v15, v[12:13], off offset:512
	;; [unrolled: 1-line block ×11, first 2 shown]
	v_bfe_u32 v4, v0, 10, 10
	v_bfe_u32 v7, v0, 20, 10
	v_mad_u32_u24 v12, v7, s4, v4
	s_lshl_b32 s0, -1, s65
	v_mov_b32_e32 v0, v5
	s_not_b32 s11, s0
	v_mov_b32_e32 v16, v5
	v_mov_b32_e32 v22, v5
	;; [unrolled: 1-line block ×3, first 2 shown]
	s_waitcnt lgkmcnt(0)
	s_barrier
	s_waitcnt vmcnt(12)
	; wave barrier
	v_xor_b32_e32 v7, 0x80000000, v1
	v_lshrrev_b32_e32 v1, s64, v7
	v_bitop3_b32 v14, v1, s0, v1 bitop3:0x30
	v_and_b32_e32 v4, 1, v14
	v_lshlrev_b32_e32 v1, 30, v14
	v_lshlrev_b32_e32 v17, 29, v14
	v_lshl_add_u64 v[32:33], v[4:5], 0, -1
	v_cmp_ne_u32_e32 vcc, 0, v4
	v_lshlrev_b32_e32 v23, 28, v14
	v_lshlrev_b32_e32 v29, 27, v14
	s_waitcnt vmcnt(11)
	v_mad_u64_u32 v[12:13], s[0:1], v12, v10, v[2:3]
	v_cmp_gt_i64_e64 s[0:1], 0, v[0:1]
	v_not_b32_e32 v0, v1
	v_not_b32_e32 v1, v17
	v_lshrrev_b32_e32 v20, 6, v12
	v_xor_b32_e32 v12, vcc_hi, v33
	v_xor_b32_e32 v13, vcc_lo, v32
	v_ashrrev_i32_e32 v0, 31, v0
	v_mul_lo_u32 v18, v14, 20
	v_cmp_gt_i64_e64 s[4:5], 0, v[16:17]
	v_not_b32_e32 v4, v23
	v_not_b32_e32 v10, v29
	v_ashrrev_i32_e32 v1, 31, v1
	v_and_b32_e32 v12, exec_hi, v12
	v_and_b32_e32 v13, exec_lo, v13
	v_xor_b32_e32 v17, s1, v0
	v_xor_b32_e32 v0, s0, v0
	v_cmp_gt_i64_e64 s[6:7], 0, v[22:23]
	v_ashrrev_i32_e32 v4, 31, v4
	v_ashrrev_i32_e32 v16, 31, v10
	v_lshl_add_u32 v10, v20, 2, v18
	v_xor_b32_e32 v18, s5, v1
	v_xor_b32_e32 v1, s4, v1
	v_and_b32_e32 v12, v12, v17
	v_and_b32_e32 v0, v13, v0
	v_cmp_gt_i64_e64 s[8:9], 0, v[28:29]
	v_xor_b32_e32 v22, s7, v4
	v_xor_b32_e32 v4, s6, v4
	v_and_b32_e32 v12, v12, v18
	v_and_b32_e32 v0, v0, v1
	v_xor_b32_e32 v23, s9, v16
	v_xor_b32_e32 v16, s8, v16
	v_and_b32_e32 v1, v12, v22
	v_and_b32_e32 v0, v0, v4
	v_and_b32_e32 v4, v1, v23
	v_and_b32_e32 v12, v0, v16
	v_lshlrev_b32_e32 v1, 26, v14
	v_mov_b32_e32 v0, v5
	v_cmp_gt_i64_e32 vcc, 0, v[0:1]
	v_not_b32_e32 v0, v1
	v_ashrrev_i32_e32 v0, 31, v0
	v_xor_b32_e32 v1, vcc_hi, v0
	v_xor_b32_e32 v0, vcc_lo, v0
	v_and_b32_e32 v4, v4, v1
	v_and_b32_e32 v12, v12, v0
	v_lshlrev_b32_e32 v1, 25, v14
	v_mov_b32_e32 v0, v5
	v_cmp_gt_i64_e32 vcc, 0, v[0:1]
	v_not_b32_e32 v0, v1
	v_ashrrev_i32_e32 v0, 31, v0
	v_xor_b32_e32 v1, vcc_hi, v0
	v_xor_b32_e32 v0, vcc_lo, v0
	v_and_b32_e32 v4, v4, v1
	v_and_b32_e32 v12, v12, v0
	;; [unrolled: 9-line block ×3, first 2 shown]
	v_mbcnt_lo_u32_b32 v4, v0, 0
	v_mbcnt_hi_u32_b32 v12, v1, v4
	v_cmp_eq_u32_e32 vcc, 0, v12
	v_cmp_ne_u64_e64 s[0:1], 0, v[0:1]
	s_and_b64 s[4:5], s[0:1], vcc
	s_and_saveexec_b64 s[0:1], s[4:5]
; %bb.154:
	v_bcnt_u32_b32 v0, v0, 0
	v_bcnt_u32_b32 v0, v1, v0
	ds_write_b32 v10, v0 offset:16
; %bb.155:
	s_or_b64 exec, exec, s[0:1]
	s_waitcnt vmcnt(10)
	v_xor_b32_e32 v11, 0x80000000, v11
	v_lshrrev_b32_e32 v0, s64, v11
	v_and_b32_e32 v16, s11, v0
	v_mul_lo_u32 v0, v16, 20
	v_and_b32_e32 v4, 1, v16
	v_lshl_add_u32 v14, v20, 2, v0
	v_lshl_add_u64 v[0:1], v[4:5], 0, -1
	v_cmp_ne_u32_e32 vcc, 0, v4
	; wave barrier
	s_nop 1
	v_xor_b32_e32 v1, vcc_hi, v1
	v_xor_b32_e32 v0, vcc_lo, v0
	v_and_b32_e32 v4, exec_hi, v1
	v_and_b32_e32 v17, exec_lo, v0
	v_lshlrev_b32_e32 v1, 30, v16
	v_mov_b32_e32 v0, v5
	v_cmp_gt_i64_e32 vcc, 0, v[0:1]
	v_not_b32_e32 v0, v1
	v_ashrrev_i32_e32 v0, 31, v0
	v_xor_b32_e32 v1, vcc_hi, v0
	v_xor_b32_e32 v0, vcc_lo, v0
	v_and_b32_e32 v4, v4, v1
	v_and_b32_e32 v17, v17, v0
	v_lshlrev_b32_e32 v1, 29, v16
	v_mov_b32_e32 v0, v5
	v_cmp_gt_i64_e32 vcc, 0, v[0:1]
	v_not_b32_e32 v0, v1
	v_ashrrev_i32_e32 v0, 31, v0
	v_xor_b32_e32 v1, vcc_hi, v0
	v_xor_b32_e32 v0, vcc_lo, v0
	v_and_b32_e32 v4, v4, v1
	v_and_b32_e32 v17, v17, v0
	;; [unrolled: 9-line block ×6, first 2 shown]
	v_lshlrev_b32_e32 v1, 24, v16
	v_mov_b32_e32 v0, v5
	v_cmp_gt_i64_e32 vcc, 0, v[0:1]
	v_not_b32_e32 v0, v1
	v_ashrrev_i32_e32 v0, 31, v0
	v_xor_b32_e32 v1, vcc_hi, v0
	v_xor_b32_e32 v0, vcc_lo, v0
	ds_read_b32 v13, v14 offset:16
	v_and_b32_e32 v0, v17, v0
	v_and_b32_e32 v1, v4, v1
	v_mbcnt_lo_u32_b32 v4, v0, 0
	v_mbcnt_hi_u32_b32 v16, v1, v4
	v_cmp_eq_u32_e32 vcc, 0, v16
	v_cmp_ne_u64_e64 s[0:1], 0, v[0:1]
	s_and_b64 s[4:5], s[0:1], vcc
	; wave barrier
	s_and_saveexec_b64 s[0:1], s[4:5]
	s_cbranch_execz .LBB97_157
; %bb.156:
	v_bcnt_u32_b32 v0, v0, 0
	v_bcnt_u32_b32 v0, v1, v0
	s_waitcnt lgkmcnt(0)
	v_add_u32_e32 v0, v13, v0
	ds_write_b32 v14, v0 offset:16
.LBB97_157:
	s_or_b64 exec, exec, s[0:1]
	s_waitcnt vmcnt(9)
	v_xor_b32_e32 v15, 0x80000000, v15
	v_lshrrev_b32_e32 v0, s64, v15
	v_and_b32_e32 v22, s11, v0
	v_mul_lo_u32 v0, v22, 20
	v_lshl_add_u32 v18, v20, 2, v0
	v_and_b32_e32 v0, 1, v22
	v_mov_b32_e32 v1, 0
	v_lshl_add_u64 v[4:5], v[0:1], 0, -1
	v_cmp_ne_u32_e32 vcc, 0, v0
	; wave barrier
	s_nop 1
	v_xor_b32_e32 v4, vcc_lo, v4
	v_xor_b32_e32 v0, vcc_hi, v5
	v_and_b32_e32 v23, exec_lo, v4
	v_lshlrev_b32_e32 v5, 30, v22
	v_mov_b32_e32 v4, v1
	v_cmp_gt_i64_e32 vcc, 0, v[4:5]
	v_not_b32_e32 v4, v5
	v_ashrrev_i32_e32 v4, 31, v4
	v_and_b32_e32 v0, exec_hi, v0
	v_xor_b32_e32 v5, vcc_hi, v4
	v_xor_b32_e32 v4, vcc_lo, v4
	v_and_b32_e32 v0, v0, v5
	v_and_b32_e32 v23, v23, v4
	v_lshlrev_b32_e32 v5, 29, v22
	v_mov_b32_e32 v4, v1
	v_cmp_gt_i64_e32 vcc, 0, v[4:5]
	v_not_b32_e32 v4, v5
	v_ashrrev_i32_e32 v4, 31, v4
	v_xor_b32_e32 v5, vcc_hi, v4
	v_xor_b32_e32 v4, vcc_lo, v4
	v_and_b32_e32 v0, v0, v5
	v_and_b32_e32 v23, v23, v4
	v_lshlrev_b32_e32 v5, 28, v22
	v_mov_b32_e32 v4, v1
	v_cmp_gt_i64_e32 vcc, 0, v[4:5]
	v_not_b32_e32 v4, v5
	v_ashrrev_i32_e32 v4, 31, v4
	;; [unrolled: 9-line block ×6, first 2 shown]
	v_xor_b32_e32 v5, vcc_hi, v4
	v_xor_b32_e32 v4, vcc_lo, v4
	ds_read_b32 v17, v18 offset:16
	v_and_b32_e32 v4, v23, v4
	v_and_b32_e32 v5, v0, v5
	v_mbcnt_lo_u32_b32 v0, v4, 0
	v_mbcnt_hi_u32_b32 v22, v5, v0
	v_cmp_eq_u32_e32 vcc, 0, v22
	v_cmp_ne_u64_e64 s[0:1], 0, v[4:5]
	s_and_b64 s[4:5], s[0:1], vcc
	; wave barrier
	s_and_saveexec_b64 s[0:1], s[4:5]
	s_cbranch_execz .LBB97_159
; %bb.158:
	v_bcnt_u32_b32 v0, v4, 0
	v_bcnt_u32_b32 v0, v5, v0
	s_waitcnt lgkmcnt(0)
	v_add_u32_e32 v0, v17, v0
	ds_write_b32 v18, v0 offset:16
.LBB97_159:
	s_or_b64 exec, exec, s[0:1]
	s_waitcnt vmcnt(8)
	v_xor_b32_e32 v21, 0x80000000, v21
	v_lshrrev_b32_e32 v0, s64, v21
	v_and_b32_e32 v27, s11, v0
	v_mul_lo_u32 v0, v27, 20
	v_lshl_add_u32 v24, v20, 2, v0
	v_and_b32_e32 v0, 1, v27
	v_lshl_add_u64 v[4:5], v[0:1], 0, -1
	v_cmp_ne_u32_e32 vcc, 0, v0
	; wave barrier
	s_nop 1
	v_xor_b32_e32 v4, vcc_lo, v4
	v_xor_b32_e32 v0, vcc_hi, v5
	v_and_b32_e32 v28, exec_lo, v4
	v_lshlrev_b32_e32 v5, 30, v27
	v_mov_b32_e32 v4, v1
	v_cmp_gt_i64_e32 vcc, 0, v[4:5]
	v_not_b32_e32 v4, v5
	v_ashrrev_i32_e32 v4, 31, v4
	v_and_b32_e32 v0, exec_hi, v0
	v_xor_b32_e32 v5, vcc_hi, v4
	v_xor_b32_e32 v4, vcc_lo, v4
	v_and_b32_e32 v0, v0, v5
	v_and_b32_e32 v28, v28, v4
	v_lshlrev_b32_e32 v5, 29, v27
	v_mov_b32_e32 v4, v1
	v_cmp_gt_i64_e32 vcc, 0, v[4:5]
	v_not_b32_e32 v4, v5
	v_ashrrev_i32_e32 v4, 31, v4
	v_xor_b32_e32 v5, vcc_hi, v4
	v_xor_b32_e32 v4, vcc_lo, v4
	v_and_b32_e32 v0, v0, v5
	v_and_b32_e32 v28, v28, v4
	v_lshlrev_b32_e32 v5, 28, v27
	v_mov_b32_e32 v4, v1
	v_cmp_gt_i64_e32 vcc, 0, v[4:5]
	v_not_b32_e32 v4, v5
	v_ashrrev_i32_e32 v4, 31, v4
	;; [unrolled: 9-line block ×5, first 2 shown]
	v_xor_b32_e32 v5, vcc_hi, v4
	v_xor_b32_e32 v4, vcc_lo, v4
	v_and_b32_e32 v0, v0, v5
	v_lshlrev_b32_e32 v5, 24, v27
	v_and_b32_e32 v28, v28, v4
	v_mov_b32_e32 v4, v1
	v_not_b32_e32 v1, v5
	v_cmp_gt_i64_e32 vcc, 0, v[4:5]
	v_ashrrev_i32_e32 v1, 31, v1
	ds_read_b32 v23, v24 offset:16
	v_xor_b32_e32 v4, vcc_hi, v1
	v_xor_b32_e32 v5, vcc_lo, v1
	v_and_b32_e32 v1, v0, v4
	v_and_b32_e32 v0, v28, v5
	v_mbcnt_lo_u32_b32 v4, v0, 0
	v_mbcnt_hi_u32_b32 v27, v1, v4
	v_cmp_eq_u32_e32 vcc, 0, v27
	v_cmp_ne_u64_e64 s[0:1], 0, v[0:1]
	s_and_b64 s[4:5], s[0:1], vcc
	; wave barrier
	s_and_saveexec_b64 s[0:1], s[4:5]
	s_cbranch_execz .LBB97_161
; %bb.160:
	v_bcnt_u32_b32 v0, v0, 0
	v_bcnt_u32_b32 v0, v1, v0
	s_waitcnt lgkmcnt(0)
	v_add_u32_e32 v0, v23, v0
	ds_write_b32 v24, v0 offset:16
.LBB97_161:
	s_or_b64 exec, exec, s[0:1]
	s_waitcnt vmcnt(7)
	v_xor_b32_e32 v26, 0x80000000, v26
	v_lshrrev_b32_e32 v0, s64, v26
	v_and_b32_e32 v32, s11, v0
	v_mul_lo_u32 v0, v32, 20
	v_lshl_add_u32 v29, v20, 2, v0
	v_and_b32_e32 v0, 1, v32
	v_mov_b32_e32 v1, 0
	v_lshl_add_u64 v[4:5], v[0:1], 0, -1
	v_cmp_ne_u32_e32 vcc, 0, v0
	; wave barrier
	s_nop 1
	v_xor_b32_e32 v4, vcc_lo, v4
	v_xor_b32_e32 v0, vcc_hi, v5
	v_and_b32_e32 v33, exec_lo, v4
	v_lshlrev_b32_e32 v5, 30, v32
	v_mov_b32_e32 v4, v1
	v_cmp_gt_i64_e32 vcc, 0, v[4:5]
	v_not_b32_e32 v4, v5
	v_ashrrev_i32_e32 v4, 31, v4
	v_and_b32_e32 v0, exec_hi, v0
	v_xor_b32_e32 v5, vcc_hi, v4
	v_xor_b32_e32 v4, vcc_lo, v4
	v_and_b32_e32 v0, v0, v5
	v_and_b32_e32 v33, v33, v4
	v_lshlrev_b32_e32 v5, 29, v32
	v_mov_b32_e32 v4, v1
	v_cmp_gt_i64_e32 vcc, 0, v[4:5]
	v_not_b32_e32 v4, v5
	v_ashrrev_i32_e32 v4, 31, v4
	v_xor_b32_e32 v5, vcc_hi, v4
	v_xor_b32_e32 v4, vcc_lo, v4
	v_and_b32_e32 v0, v0, v5
	v_and_b32_e32 v33, v33, v4
	v_lshlrev_b32_e32 v5, 28, v32
	v_mov_b32_e32 v4, v1
	v_cmp_gt_i64_e32 vcc, 0, v[4:5]
	v_not_b32_e32 v4, v5
	v_ashrrev_i32_e32 v4, 31, v4
	;; [unrolled: 9-line block ×6, first 2 shown]
	v_xor_b32_e32 v5, vcc_hi, v4
	v_xor_b32_e32 v4, vcc_lo, v4
	ds_read_b32 v28, v29 offset:16
	v_and_b32_e32 v4, v33, v4
	v_and_b32_e32 v5, v0, v5
	v_mbcnt_lo_u32_b32 v0, v4, 0
	v_mbcnt_hi_u32_b32 v32, v5, v0
	v_cmp_eq_u32_e32 vcc, 0, v32
	v_cmp_ne_u64_e64 s[0:1], 0, v[4:5]
	s_and_b64 s[4:5], s[0:1], vcc
	; wave barrier
	s_and_saveexec_b64 s[0:1], s[4:5]
	s_cbranch_execz .LBB97_163
; %bb.162:
	v_bcnt_u32_b32 v0, v4, 0
	v_bcnt_u32_b32 v0, v5, v0
	s_waitcnt lgkmcnt(0)
	v_add_u32_e32 v0, v28, v0
	ds_write_b32 v29, v0 offset:16
.LBB97_163:
	s_or_b64 exec, exec, s[0:1]
	s_waitcnt vmcnt(6)
	v_xor_b32_e32 v31, 0x80000000, v31
	v_lshrrev_b32_e32 v0, s64, v31
	v_and_b32_e32 v37, s11, v0
	v_mul_lo_u32 v0, v37, 20
	v_lshl_add_u32 v34, v20, 2, v0
	v_and_b32_e32 v0, 1, v37
	v_lshl_add_u64 v[4:5], v[0:1], 0, -1
	v_cmp_ne_u32_e32 vcc, 0, v0
	; wave barrier
	s_nop 1
	v_xor_b32_e32 v4, vcc_lo, v4
	v_xor_b32_e32 v0, vcc_hi, v5
	v_and_b32_e32 v38, exec_lo, v4
	v_lshlrev_b32_e32 v5, 30, v37
	v_mov_b32_e32 v4, v1
	v_cmp_gt_i64_e32 vcc, 0, v[4:5]
	v_not_b32_e32 v4, v5
	v_ashrrev_i32_e32 v4, 31, v4
	v_and_b32_e32 v0, exec_hi, v0
	v_xor_b32_e32 v5, vcc_hi, v4
	v_xor_b32_e32 v4, vcc_lo, v4
	v_and_b32_e32 v0, v0, v5
	v_and_b32_e32 v38, v38, v4
	v_lshlrev_b32_e32 v5, 29, v37
	v_mov_b32_e32 v4, v1
	v_cmp_gt_i64_e32 vcc, 0, v[4:5]
	v_not_b32_e32 v4, v5
	v_ashrrev_i32_e32 v4, 31, v4
	v_xor_b32_e32 v5, vcc_hi, v4
	v_xor_b32_e32 v4, vcc_lo, v4
	v_and_b32_e32 v0, v0, v5
	v_and_b32_e32 v38, v38, v4
	v_lshlrev_b32_e32 v5, 28, v37
	v_mov_b32_e32 v4, v1
	v_cmp_gt_i64_e32 vcc, 0, v[4:5]
	v_not_b32_e32 v4, v5
	v_ashrrev_i32_e32 v4, 31, v4
	;; [unrolled: 9-line block ×5, first 2 shown]
	v_xor_b32_e32 v5, vcc_hi, v4
	v_xor_b32_e32 v4, vcc_lo, v4
	v_and_b32_e32 v0, v0, v5
	v_lshlrev_b32_e32 v5, 24, v37
	v_and_b32_e32 v38, v38, v4
	v_mov_b32_e32 v4, v1
	v_not_b32_e32 v1, v5
	v_cmp_gt_i64_e32 vcc, 0, v[4:5]
	v_ashrrev_i32_e32 v1, 31, v1
	ds_read_b32 v33, v34 offset:16
	v_xor_b32_e32 v4, vcc_hi, v1
	v_xor_b32_e32 v5, vcc_lo, v1
	v_and_b32_e32 v1, v0, v4
	v_and_b32_e32 v0, v38, v5
	v_mbcnt_lo_u32_b32 v4, v0, 0
	v_mbcnt_hi_u32_b32 v37, v1, v4
	v_cmp_eq_u32_e32 vcc, 0, v37
	v_cmp_ne_u64_e64 s[0:1], 0, v[0:1]
	s_and_b64 s[4:5], s[0:1], vcc
	; wave barrier
	s_and_saveexec_b64 s[0:1], s[4:5]
	s_cbranch_execz .LBB97_165
; %bb.164:
	v_bcnt_u32_b32 v0, v0, 0
	v_bcnt_u32_b32 v0, v1, v0
	s_waitcnt lgkmcnt(0)
	v_add_u32_e32 v0, v33, v0
	ds_write_b32 v34, v0 offset:16
.LBB97_165:
	s_or_b64 exec, exec, s[0:1]
	s_waitcnt vmcnt(5)
	v_xor_b32_e32 v36, 0x80000000, v36
	v_lshrrev_b32_e32 v0, s64, v36
	v_and_b32_e32 v41, s11, v0
	v_mul_lo_u32 v0, v41, 20
	v_lshl_add_u32 v39, v20, 2, v0
	v_and_b32_e32 v0, 1, v41
	v_mov_b32_e32 v1, 0
	v_lshl_add_u64 v[4:5], v[0:1], 0, -1
	v_cmp_ne_u32_e32 vcc, 0, v0
	; wave barrier
	s_nop 1
	v_xor_b32_e32 v4, vcc_lo, v4
	v_xor_b32_e32 v0, vcc_hi, v5
	v_and_b32_e32 v42, exec_lo, v4
	v_lshlrev_b32_e32 v5, 30, v41
	v_mov_b32_e32 v4, v1
	v_cmp_gt_i64_e32 vcc, 0, v[4:5]
	v_not_b32_e32 v4, v5
	v_ashrrev_i32_e32 v4, 31, v4
	v_and_b32_e32 v0, exec_hi, v0
	v_xor_b32_e32 v5, vcc_hi, v4
	v_xor_b32_e32 v4, vcc_lo, v4
	v_and_b32_e32 v0, v0, v5
	v_and_b32_e32 v42, v42, v4
	v_lshlrev_b32_e32 v5, 29, v41
	v_mov_b32_e32 v4, v1
	v_cmp_gt_i64_e32 vcc, 0, v[4:5]
	v_not_b32_e32 v4, v5
	v_ashrrev_i32_e32 v4, 31, v4
	v_xor_b32_e32 v5, vcc_hi, v4
	v_xor_b32_e32 v4, vcc_lo, v4
	v_and_b32_e32 v0, v0, v5
	v_and_b32_e32 v42, v42, v4
	v_lshlrev_b32_e32 v5, 28, v41
	v_mov_b32_e32 v4, v1
	v_cmp_gt_i64_e32 vcc, 0, v[4:5]
	v_not_b32_e32 v4, v5
	v_ashrrev_i32_e32 v4, 31, v4
	;; [unrolled: 9-line block ×6, first 2 shown]
	v_xor_b32_e32 v5, vcc_hi, v4
	v_xor_b32_e32 v4, vcc_lo, v4
	ds_read_b32 v38, v39 offset:16
	v_and_b32_e32 v4, v42, v4
	v_and_b32_e32 v5, v0, v5
	v_mbcnt_lo_u32_b32 v0, v4, 0
	v_mbcnt_hi_u32_b32 v41, v5, v0
	v_cmp_eq_u32_e32 vcc, 0, v41
	v_cmp_ne_u64_e64 s[0:1], 0, v[4:5]
	s_and_b64 s[4:5], s[0:1], vcc
	; wave barrier
	s_and_saveexec_b64 s[0:1], s[4:5]
	s_cbranch_execz .LBB97_167
; %bb.166:
	v_bcnt_u32_b32 v0, v4, 0
	v_bcnt_u32_b32 v0, v5, v0
	s_waitcnt lgkmcnt(0)
	v_add_u32_e32 v0, v38, v0
	ds_write_b32 v39, v0 offset:16
.LBB97_167:
	s_or_b64 exec, exec, s[0:1]
	s_waitcnt vmcnt(4)
	v_xor_b32_e32 v40, 0x80000000, v40
	v_lshrrev_b32_e32 v0, s64, v40
	v_and_b32_e32 v44, s11, v0
	v_mul_lo_u32 v0, v44, 20
	v_lshl_add_u32 v43, v20, 2, v0
	v_and_b32_e32 v0, 1, v44
	v_lshl_add_u64 v[4:5], v[0:1], 0, -1
	v_cmp_ne_u32_e32 vcc, 0, v0
	; wave barrier
	s_nop 1
	v_xor_b32_e32 v4, vcc_lo, v4
	v_xor_b32_e32 v0, vcc_hi, v5
	v_and_b32_e32 v45, exec_lo, v4
	v_lshlrev_b32_e32 v5, 30, v44
	v_mov_b32_e32 v4, v1
	v_cmp_gt_i64_e32 vcc, 0, v[4:5]
	v_not_b32_e32 v4, v5
	v_ashrrev_i32_e32 v4, 31, v4
	v_and_b32_e32 v0, exec_hi, v0
	v_xor_b32_e32 v5, vcc_hi, v4
	v_xor_b32_e32 v4, vcc_lo, v4
	v_and_b32_e32 v0, v0, v5
	v_and_b32_e32 v45, v45, v4
	v_lshlrev_b32_e32 v5, 29, v44
	v_mov_b32_e32 v4, v1
	v_cmp_gt_i64_e32 vcc, 0, v[4:5]
	v_not_b32_e32 v4, v5
	v_ashrrev_i32_e32 v4, 31, v4
	v_xor_b32_e32 v5, vcc_hi, v4
	v_xor_b32_e32 v4, vcc_lo, v4
	v_and_b32_e32 v0, v0, v5
	v_and_b32_e32 v45, v45, v4
	v_lshlrev_b32_e32 v5, 28, v44
	v_mov_b32_e32 v4, v1
	v_cmp_gt_i64_e32 vcc, 0, v[4:5]
	v_not_b32_e32 v4, v5
	v_ashrrev_i32_e32 v4, 31, v4
	;; [unrolled: 9-line block ×5, first 2 shown]
	v_xor_b32_e32 v5, vcc_hi, v4
	v_xor_b32_e32 v4, vcc_lo, v4
	v_and_b32_e32 v0, v0, v5
	v_lshlrev_b32_e32 v5, 24, v44
	v_and_b32_e32 v45, v45, v4
	v_mov_b32_e32 v4, v1
	v_not_b32_e32 v1, v5
	v_cmp_gt_i64_e32 vcc, 0, v[4:5]
	v_ashrrev_i32_e32 v1, 31, v1
	ds_read_b32 v42, v43 offset:16
	v_xor_b32_e32 v4, vcc_hi, v1
	v_xor_b32_e32 v5, vcc_lo, v1
	v_and_b32_e32 v1, v0, v4
	v_and_b32_e32 v0, v45, v5
	v_mbcnt_lo_u32_b32 v4, v0, 0
	v_mbcnt_hi_u32_b32 v44, v1, v4
	v_cmp_eq_u32_e32 vcc, 0, v44
	v_cmp_ne_u64_e64 s[0:1], 0, v[0:1]
	s_and_b64 s[4:5], s[0:1], vcc
	; wave barrier
	s_and_saveexec_b64 s[0:1], s[4:5]
	s_cbranch_execz .LBB97_169
; %bb.168:
	v_bcnt_u32_b32 v0, v0, 0
	v_bcnt_u32_b32 v0, v1, v0
	s_waitcnt lgkmcnt(0)
	v_add_u32_e32 v0, v42, v0
	ds_write_b32 v43, v0 offset:16
.LBB97_169:
	s_or_b64 exec, exec, s[0:1]
	s_waitcnt vmcnt(3)
	v_xor_b32_e32 v35, 0x80000000, v35
	v_lshrrev_b32_e32 v0, s64, v35
	v_and_b32_e32 v47, s11, v0
	v_mul_lo_u32 v0, v47, 20
	v_lshl_add_u32 v46, v20, 2, v0
	v_and_b32_e32 v0, 1, v47
	v_mov_b32_e32 v1, 0
	v_lshl_add_u64 v[4:5], v[0:1], 0, -1
	v_cmp_ne_u32_e32 vcc, 0, v0
	; wave barrier
	s_nop 1
	v_xor_b32_e32 v4, vcc_lo, v4
	v_xor_b32_e32 v0, vcc_hi, v5
	v_and_b32_e32 v48, exec_lo, v4
	v_lshlrev_b32_e32 v5, 30, v47
	v_mov_b32_e32 v4, v1
	v_cmp_gt_i64_e32 vcc, 0, v[4:5]
	v_not_b32_e32 v4, v5
	v_ashrrev_i32_e32 v4, 31, v4
	v_and_b32_e32 v0, exec_hi, v0
	v_xor_b32_e32 v5, vcc_hi, v4
	v_xor_b32_e32 v4, vcc_lo, v4
	v_and_b32_e32 v0, v0, v5
	v_and_b32_e32 v48, v48, v4
	v_lshlrev_b32_e32 v5, 29, v47
	v_mov_b32_e32 v4, v1
	v_cmp_gt_i64_e32 vcc, 0, v[4:5]
	v_not_b32_e32 v4, v5
	v_ashrrev_i32_e32 v4, 31, v4
	v_xor_b32_e32 v5, vcc_hi, v4
	v_xor_b32_e32 v4, vcc_lo, v4
	v_and_b32_e32 v0, v0, v5
	v_and_b32_e32 v48, v48, v4
	v_lshlrev_b32_e32 v5, 28, v47
	v_mov_b32_e32 v4, v1
	v_cmp_gt_i64_e32 vcc, 0, v[4:5]
	v_not_b32_e32 v4, v5
	v_ashrrev_i32_e32 v4, 31, v4
	;; [unrolled: 9-line block ×6, first 2 shown]
	v_xor_b32_e32 v5, vcc_hi, v4
	v_xor_b32_e32 v4, vcc_lo, v4
	ds_read_b32 v45, v46 offset:16
	v_and_b32_e32 v4, v48, v4
	v_and_b32_e32 v5, v0, v5
	v_mbcnt_lo_u32_b32 v0, v4, 0
	v_mbcnt_hi_u32_b32 v47, v5, v0
	v_cmp_eq_u32_e32 vcc, 0, v47
	v_cmp_ne_u64_e64 s[0:1], 0, v[4:5]
	s_and_b64 s[4:5], s[0:1], vcc
	; wave barrier
	s_and_saveexec_b64 s[0:1], s[4:5]
	s_cbranch_execz .LBB97_171
; %bb.170:
	v_bcnt_u32_b32 v0, v4, 0
	v_bcnt_u32_b32 v0, v5, v0
	s_waitcnt lgkmcnt(0)
	v_add_u32_e32 v0, v45, v0
	ds_write_b32 v46, v0 offset:16
.LBB97_171:
	s_or_b64 exec, exec, s[0:1]
	s_waitcnt vmcnt(2)
	v_xor_b32_e32 v30, 0x80000000, v30
	v_lshrrev_b32_e32 v0, s64, v30
	v_and_b32_e32 v50, s11, v0
	v_mul_lo_u32 v0, v50, 20
	v_lshl_add_u32 v49, v20, 2, v0
	v_and_b32_e32 v0, 1, v50
	v_lshl_add_u64 v[4:5], v[0:1], 0, -1
	v_cmp_ne_u32_e32 vcc, 0, v0
	; wave barrier
	s_nop 1
	v_xor_b32_e32 v4, vcc_lo, v4
	v_xor_b32_e32 v0, vcc_hi, v5
	v_and_b32_e32 v51, exec_lo, v4
	v_lshlrev_b32_e32 v5, 30, v50
	v_mov_b32_e32 v4, v1
	v_cmp_gt_i64_e32 vcc, 0, v[4:5]
	v_not_b32_e32 v4, v5
	v_ashrrev_i32_e32 v4, 31, v4
	v_and_b32_e32 v0, exec_hi, v0
	v_xor_b32_e32 v5, vcc_hi, v4
	v_xor_b32_e32 v4, vcc_lo, v4
	v_and_b32_e32 v0, v0, v5
	v_and_b32_e32 v51, v51, v4
	v_lshlrev_b32_e32 v5, 29, v50
	v_mov_b32_e32 v4, v1
	v_cmp_gt_i64_e32 vcc, 0, v[4:5]
	v_not_b32_e32 v4, v5
	v_ashrrev_i32_e32 v4, 31, v4
	v_xor_b32_e32 v5, vcc_hi, v4
	v_xor_b32_e32 v4, vcc_lo, v4
	v_and_b32_e32 v0, v0, v5
	v_and_b32_e32 v51, v51, v4
	v_lshlrev_b32_e32 v5, 28, v50
	v_mov_b32_e32 v4, v1
	v_cmp_gt_i64_e32 vcc, 0, v[4:5]
	v_not_b32_e32 v4, v5
	v_ashrrev_i32_e32 v4, 31, v4
	;; [unrolled: 9-line block ×5, first 2 shown]
	v_xor_b32_e32 v5, vcc_hi, v4
	v_xor_b32_e32 v4, vcc_lo, v4
	v_and_b32_e32 v0, v0, v5
	v_lshlrev_b32_e32 v5, 24, v50
	v_and_b32_e32 v51, v51, v4
	v_mov_b32_e32 v4, v1
	v_not_b32_e32 v1, v5
	v_cmp_gt_i64_e32 vcc, 0, v[4:5]
	v_ashrrev_i32_e32 v1, 31, v1
	ds_read_b32 v48, v49 offset:16
	v_xor_b32_e32 v4, vcc_hi, v1
	v_xor_b32_e32 v5, vcc_lo, v1
	v_and_b32_e32 v1, v0, v4
	v_and_b32_e32 v0, v51, v5
	v_mbcnt_lo_u32_b32 v4, v0, 0
	v_mbcnt_hi_u32_b32 v51, v1, v4
	v_cmp_eq_u32_e32 vcc, 0, v51
	v_cmp_ne_u64_e64 s[0:1], 0, v[0:1]
	s_and_b64 s[4:5], s[0:1], vcc
	; wave barrier
	s_and_saveexec_b64 s[0:1], s[4:5]
	s_cbranch_execz .LBB97_173
; %bb.172:
	v_bcnt_u32_b32 v0, v0, 0
	v_bcnt_u32_b32 v0, v1, v0
	s_waitcnt lgkmcnt(0)
	v_add_u32_e32 v0, v48, v0
	ds_write_b32 v49, v0 offset:16
.LBB97_173:
	s_or_b64 exec, exec, s[0:1]
	s_waitcnt vmcnt(1)
	v_xor_b32_e32 v50, 0x80000000, v25
	v_lshrrev_b32_e32 v0, s64, v50
	v_and_b32_e32 v53, s11, v0
	v_mul_lo_u32 v0, v53, 20
	v_lshl_add_u32 v25, v20, 2, v0
	v_and_b32_e32 v0, 1, v53
	v_mov_b32_e32 v1, 0
	v_lshl_add_u64 v[4:5], v[0:1], 0, -1
	v_cmp_ne_u32_e32 vcc, 0, v0
	; wave barrier
	s_nop 1
	v_xor_b32_e32 v4, vcc_lo, v4
	v_xor_b32_e32 v0, vcc_hi, v5
	v_and_b32_e32 v54, exec_lo, v4
	v_lshlrev_b32_e32 v5, 30, v53
	v_mov_b32_e32 v4, v1
	v_cmp_gt_i64_e32 vcc, 0, v[4:5]
	v_not_b32_e32 v4, v5
	v_ashrrev_i32_e32 v4, 31, v4
	v_and_b32_e32 v0, exec_hi, v0
	v_xor_b32_e32 v5, vcc_hi, v4
	v_xor_b32_e32 v4, vcc_lo, v4
	v_and_b32_e32 v0, v0, v5
	v_and_b32_e32 v54, v54, v4
	v_lshlrev_b32_e32 v5, 29, v53
	v_mov_b32_e32 v4, v1
	v_cmp_gt_i64_e32 vcc, 0, v[4:5]
	v_not_b32_e32 v4, v5
	v_ashrrev_i32_e32 v4, 31, v4
	v_xor_b32_e32 v5, vcc_hi, v4
	v_xor_b32_e32 v4, vcc_lo, v4
	v_and_b32_e32 v0, v0, v5
	v_and_b32_e32 v54, v54, v4
	v_lshlrev_b32_e32 v5, 28, v53
	v_mov_b32_e32 v4, v1
	v_cmp_gt_i64_e32 vcc, 0, v[4:5]
	v_not_b32_e32 v4, v5
	v_ashrrev_i32_e32 v4, 31, v4
	;; [unrolled: 9-line block ×6, first 2 shown]
	v_xor_b32_e32 v5, vcc_hi, v4
	v_xor_b32_e32 v4, vcc_lo, v4
	ds_read_b32 v52, v25 offset:16
	v_and_b32_e32 v4, v54, v4
	v_and_b32_e32 v5, v0, v5
	v_mbcnt_lo_u32_b32 v0, v4, 0
	v_mbcnt_hi_u32_b32 v54, v5, v0
	v_cmp_eq_u32_e32 vcc, 0, v54
	v_cmp_ne_u64_e64 s[0:1], 0, v[4:5]
	s_and_b64 s[4:5], s[0:1], vcc
	; wave barrier
	s_and_saveexec_b64 s[0:1], s[4:5]
	s_cbranch_execz .LBB97_175
; %bb.174:
	v_bcnt_u32_b32 v0, v4, 0
	v_bcnt_u32_b32 v0, v5, v0
	s_waitcnt lgkmcnt(0)
	v_add_u32_e32 v0, v52, v0
	ds_write_b32 v25, v0 offset:16
.LBB97_175:
	s_or_b64 exec, exec, s[0:1]
	s_waitcnt vmcnt(0)
	v_xor_b32_e32 v53, 0x80000000, v19
	v_lshrrev_b32_e32 v0, s64, v53
	v_and_b32_e32 v56, s11, v0
	v_mul_lo_u32 v0, v56, 20
	v_lshl_add_u32 v19, v20, 2, v0
	v_and_b32_e32 v0, 1, v56
	v_lshl_add_u64 v[4:5], v[0:1], 0, -1
	v_cmp_ne_u32_e32 vcc, 0, v0
	; wave barrier
	s_nop 1
	v_xor_b32_e32 v4, vcc_lo, v4
	v_xor_b32_e32 v0, vcc_hi, v5
	v_and_b32_e32 v20, exec_lo, v4
	v_lshlrev_b32_e32 v5, 30, v56
	v_mov_b32_e32 v4, v1
	v_cmp_gt_i64_e32 vcc, 0, v[4:5]
	v_not_b32_e32 v4, v5
	v_ashrrev_i32_e32 v4, 31, v4
	v_and_b32_e32 v0, exec_hi, v0
	v_xor_b32_e32 v5, vcc_hi, v4
	v_xor_b32_e32 v4, vcc_lo, v4
	v_and_b32_e32 v0, v0, v5
	v_and_b32_e32 v20, v20, v4
	v_lshlrev_b32_e32 v5, 29, v56
	v_mov_b32_e32 v4, v1
	v_cmp_gt_i64_e32 vcc, 0, v[4:5]
	v_not_b32_e32 v4, v5
	v_ashrrev_i32_e32 v4, 31, v4
	v_xor_b32_e32 v5, vcc_hi, v4
	v_xor_b32_e32 v4, vcc_lo, v4
	v_and_b32_e32 v0, v0, v5
	v_and_b32_e32 v20, v20, v4
	v_lshlrev_b32_e32 v5, 28, v56
	v_mov_b32_e32 v4, v1
	v_cmp_gt_i64_e32 vcc, 0, v[4:5]
	v_not_b32_e32 v4, v5
	v_ashrrev_i32_e32 v4, 31, v4
	;; [unrolled: 9-line block ×5, first 2 shown]
	v_xor_b32_e32 v5, vcc_hi, v4
	v_xor_b32_e32 v4, vcc_lo, v4
	v_and_b32_e32 v0, v0, v5
	v_lshlrev_b32_e32 v5, 24, v56
	v_and_b32_e32 v20, v20, v4
	v_mov_b32_e32 v4, v1
	v_not_b32_e32 v1, v5
	v_cmp_gt_i64_e32 vcc, 0, v[4:5]
	v_ashrrev_i32_e32 v1, 31, v1
	ds_read_b32 v55, v19 offset:16
	v_xor_b32_e32 v4, vcc_hi, v1
	v_xor_b32_e32 v5, vcc_lo, v1
	v_and_b32_e32 v1, v0, v4
	v_and_b32_e32 v0, v20, v5
	v_mbcnt_lo_u32_b32 v4, v0, 0
	v_mbcnt_hi_u32_b32 v56, v1, v4
	v_cmp_eq_u32_e32 vcc, 0, v56
	v_cmp_ne_u64_e64 s[0:1], 0, v[0:1]
	s_and_b64 s[4:5], s[0:1], vcc
	; wave barrier
	s_and_saveexec_b64 s[0:1], s[4:5]
	s_cbranch_execz .LBB97_177
; %bb.176:
	v_bcnt_u32_b32 v0, v0, 0
	v_bcnt_u32_b32 v0, v1, v0
	s_waitcnt lgkmcnt(0)
	v_add_u32_e32 v0, v55, v0
	ds_write_b32 v19, v0 offset:16
.LBB97_177:
	s_or_b64 exec, exec, s[0:1]
	; wave barrier
	s_waitcnt lgkmcnt(0)
	s_barrier
	ds_read2_b32 v[4:5], v6 offset0:4 offset1:5
	ds_read2_b32 v[0:1], v6 offset0:6 offset1:7
	ds_read_b32 v20, v6 offset:32
	v_min_u32_e32 v8, 0xc0, v8
	v_or_b32_e32 v8, 63, v8
	s_waitcnt lgkmcnt(1)
	v_add3_u32 v57, v5, v4, v0
	s_waitcnt lgkmcnt(0)
	v_add3_u32 v20, v57, v1, v20
	v_and_b32_e32 v57, 15, v9
	v_cmp_ne_u32_e32 vcc, 0, v57
	v_mov_b32_dpp v58, v20 row_shr:1 row_mask:0xf bank_mask:0xf
	s_nop 0
	v_cndmask_b32_e32 v58, 0, v58, vcc
	v_add_u32_e32 v20, v58, v20
	v_cmp_lt_u32_e32 vcc, 1, v57
	s_nop 0
	v_mov_b32_dpp v58, v20 row_shr:2 row_mask:0xf bank_mask:0xf
	v_cndmask_b32_e32 v58, 0, v58, vcc
	v_add_u32_e32 v20, v20, v58
	v_cmp_lt_u32_e32 vcc, 3, v57
	s_nop 0
	v_mov_b32_dpp v58, v20 row_shr:4 row_mask:0xf bank_mask:0xf
	v_cndmask_b32_e32 v58, 0, v58, vcc
	v_add_u32_e32 v20, v20, v58
	v_cmp_lt_u32_e32 vcc, 7, v57
	s_nop 0
	v_mov_b32_dpp v58, v20 row_shr:8 row_mask:0xf bank_mask:0xf
	v_cndmask_b32_e32 v57, 0, v58, vcc
	v_add_u32_e32 v20, v20, v57
	v_bfe_i32 v58, v9, 4, 1
	v_cmp_lt_u32_e32 vcc, 31, v9
	v_mov_b32_dpp v57, v20 row_bcast:15 row_mask:0xf bank_mask:0xf
	v_and_b32_e32 v57, v58, v57
	v_add_u32_e32 v20, v20, v57
	s_nop 1
	v_mov_b32_dpp v57, v20 row_bcast:31 row_mask:0xf bank_mask:0xf
	v_cndmask_b32_e32 v57, 0, v57, vcc
	v_add_u32_e32 v20, v20, v57
	v_lshrrev_b32_e32 v57, 6, v2
	v_cmp_eq_u32_e32 vcc, v2, v8
	s_and_saveexec_b64 s[0:1], vcc
; %bb.178:
	v_lshlrev_b32_e32 v8, 2, v57
	ds_write_b32 v8, v20
; %bb.179:
	s_or_b64 exec, exec, s[0:1]
	v_cmp_gt_u32_e32 vcc, 4, v2
	v_lshlrev_b32_e32 v8, 2, v2
	s_waitcnt lgkmcnt(0)
	s_barrier
	s_and_saveexec_b64 s[0:1], vcc
	s_cbranch_execz .LBB97_181
; %bb.180:
	ds_read_b32 v58, v8
	v_and_b32_e32 v59, 3, v9
	v_cmp_ne_u32_e32 vcc, 0, v59
	s_waitcnt lgkmcnt(0)
	v_mov_b32_dpp v60, v58 row_shr:1 row_mask:0xf bank_mask:0xf
	v_cndmask_b32_e32 v60, 0, v60, vcc
	v_add_u32_e32 v58, v60, v58
	v_cmp_lt_u32_e32 vcc, 1, v59
	s_nop 0
	v_mov_b32_dpp v60, v58 row_shr:2 row_mask:0xf bank_mask:0xf
	v_cndmask_b32_e32 v59, 0, v60, vcc
	v_add_u32_e32 v58, v58, v59
	ds_write_b32 v8, v58
.LBB97_181:
	s_or_b64 exec, exec, s[0:1]
	v_cmp_lt_u32_e32 vcc, 63, v2
	v_mov_b32_e32 v58, 0
	s_waitcnt lgkmcnt(0)
	s_barrier
	s_and_saveexec_b64 s[0:1], vcc
; %bb.182:
	v_lshl_add_u32 v57, v57, 2, -4
	ds_read_b32 v58, v57
; %bb.183:
	s_or_b64 exec, exec, s[0:1]
	v_add_u32_e32 v57, -1, v9
	v_and_b32_e32 v59, 64, v9
	v_cmp_lt_i32_e32 vcc, v57, v59
	s_waitcnt lgkmcnt(0)
	v_add_u32_e32 v20, v58, v20
	s_movk_i32 s0, 0x100
	v_cndmask_b32_e32 v57, v57, v9, vcc
	v_lshlrev_b32_e32 v57, 2, v57
	ds_bpermute_b32 v20, v57, v20
	v_cmp_eq_u32_e32 vcc, 0, v9
	s_waitcnt lgkmcnt(0)
	s_nop 0
	v_cndmask_b32_e32 v20, v20, v58, vcc
	v_cmp_ne_u32_e32 vcc, 0, v2
	s_nop 1
	v_cndmask_b32_e32 v20, 0, v20, vcc
	v_add_u32_e32 v4, v20, v4
	v_add_u32_e32 v5, v4, v5
	;; [unrolled: 1-line block ×4, first 2 shown]
	ds_write2_b32 v6, v20, v4 offset0:4 offset1:5
	ds_write2_b32 v6, v5, v0 offset0:6 offset1:7
	ds_write_b32 v6, v1 offset:32
	s_waitcnt lgkmcnt(0)
	s_barrier
	ds_read_b32 v4, v43 offset:16
	ds_read_b32 v5, v46 offset:16
	;; [unrolled: 1-line block ×13, first 2 shown]
	v_add_u32_e32 v6, 1, v2
	v_cmp_ne_u32_e32 vcc, s0, v6
	v_mov_b32_e32 v1, 0xc00
	s_and_saveexec_b64 s[0:1], vcc
; %bb.184:
	v_mul_u32_u24_e32 v1, 20, v6
	ds_read_b32 v1, v1 offset:16
; %bb.185:
	s_or_b64 exec, exec, s[0:1]
	s_waitcnt lgkmcnt(7)
	v_add_u32_e32 v29, v10, v12
	s_waitcnt lgkmcnt(6)
	v_add3_u32 v25, v16, v13, v14
	s_waitcnt lgkmcnt(5)
	v_add3_u32 v24, v22, v17, v18
	v_add3_u32 v18, v44, v42, v4
	v_lshlrev_b32_e32 v4, 2, v29
	s_waitcnt lgkmcnt(0)
	s_barrier
	ds_write_b32 v4, v7 offset:2048
	v_lshlrev_b32_e32 v4, 2, v25
	v_add3_u32 v23, v27, v23, v19
	ds_write_b32 v4, v11 offset:2048
	v_lshlrev_b32_e32 v4, 2, v24
	v_add3_u32 v22, v32, v28, v20
	ds_write_b32 v4, v15 offset:2048
	v_lshlrev_b32_e32 v4, 2, v23
	v_add3_u32 v20, v37, v33, v34
	ds_write_b32 v4, v21 offset:2048
	v_lshlrev_b32_e32 v4, 2, v22
	v_add3_u32 v19, v41, v38, v39
	ds_write_b32 v4, v26 offset:2048
	v_lshlrev_b32_e32 v4, 2, v20
	ds_write_b32 v4, v31 offset:2048
	v_lshlrev_b32_e32 v4, 2, v19
	v_add3_u32 v17, v47, v45, v5
	ds_write_b32 v4, v36 offset:2048
	v_lshlrev_b32_e32 v4, 2, v18
	v_add3_u32 v16, v51, v48, v43
	ds_write_b32 v4, v40 offset:2048
	v_lshlrev_b32_e32 v4, 2, v17
	v_add3_u32 v14, v54, v52, v46
	ds_write_b32 v4, v35 offset:2048
	v_lshlrev_b32_e32 v4, 2, v16
	v_add3_u32 v5, v56, v55, v49
	ds_write_b32 v4, v30 offset:2048
	v_lshlrev_b32_e32 v4, 2, v14
	ds_write_b32 v4, v50 offset:2048
	v_lshlrev_b32_e32 v4, 2, v5
	ds_write_b32 v4, v53 offset:2048
	v_sub_u32_e32 v4, v1, v0
	v_lshl_add_u32 v6, s2, 8, v2
	v_mov_b32_e32 v7, 0
	v_lshl_add_u64 v[10:11], v[6:7], 2, s[70:71]
	v_or_b32_e32 v1, 2.0, v4
	s_mov_b64 s[0:1], 0
	s_brev_b32 s8, -4
	v_mov_b32_e32 v15, 0
	s_waitcnt lgkmcnt(0)
	s_barrier
	global_store_dword v[10:11], v1, off sc1
                                        ; implicit-def: $sgpr4_sgpr5
	s_branch .LBB97_188
.LBB97_186:                             ;   in Loop: Header=BB97_188 Depth=1
	s_or_b64 exec, exec, s[6:7]
.LBB97_187:                             ;   in Loop: Header=BB97_188 Depth=1
	s_or_b64 exec, exec, s[4:5]
	v_and_b32_e32 v6, 0x3fffffff, v1
	v_add_u32_e32 v15, v6, v15
	v_cmp_gt_i32_e64 s[4:5], -2.0, v1
	s_and_b64 s[6:7], exec, s[4:5]
	s_or_b64 s[0:1], s[6:7], s[0:1]
	s_andn2_b64 exec, exec, s[0:1]
	s_cbranch_execz .LBB97_193
.LBB97_188:                             ; =>This Loop Header: Depth=1
                                        ;     Child Loop BB97_191 Depth 2
	s_or_b64 s[4:5], s[4:5], exec
	s_cmp_eq_u32 s3, 0
	s_cbranch_scc1 .LBB97_192
; %bb.189:                              ;   in Loop: Header=BB97_188 Depth=1
	s_add_i32 s3, s3, -1
	v_lshl_add_u32 v6, s3, 8, v2
	v_lshl_add_u64 v[12:13], v[6:7], 2, s[70:71]
	global_load_dword v1, v[12:13], off sc1
	s_waitcnt vmcnt(0)
	v_cmp_gt_u32_e32 vcc, 2.0, v1
	s_and_saveexec_b64 s[4:5], vcc
	s_cbranch_execz .LBB97_187
; %bb.190:                              ;   in Loop: Header=BB97_188 Depth=1
	s_mov_b64 s[6:7], 0
.LBB97_191:                             ;   Parent Loop BB97_188 Depth=1
                                        ; =>  This Inner Loop Header: Depth=2
	global_load_dword v1, v[12:13], off sc1
	s_waitcnt vmcnt(0)
	v_cmp_lt_u32_e32 vcc, s8, v1
	s_or_b64 s[6:7], vcc, s[6:7]
	s_andn2_b64 exec, exec, s[6:7]
	s_cbranch_execnz .LBB97_191
	s_branch .LBB97_186
.LBB97_192:                             ;   in Loop: Header=BB97_188 Depth=1
                                        ; implicit-def: $sgpr3
	s_and_b64 s[6:7], exec, s[4:5]
	s_or_b64 s[0:1], s[6:7], s[0:1]
	s_andn2_b64 exec, exec, s[0:1]
	s_cbranch_execnz .LBB97_188
.LBB97_193:
	s_or_b64 exec, exec, s[0:1]
	v_add_u32_e32 v1, v15, v4
	v_or_b32_e32 v1, 0x80000000, v1
	v_lshlrev_b32_e32 v6, 3, v2
	global_store_dword v[10:11], v1, off sc1
	global_load_dwordx2 v[10:11], v6, s[60:61]
	v_sub_co_u32_e32 v12, vcc, v15, v0
	v_mov_b32_e32 v1, 0
	s_nop 0
	v_subb_co_u32_e64 v13, s[0:1], 0, 0, vcc
	s_lshl_b64 s[0:1], s[68:69], 3
	s_add_u32 s0, s56, s0
	v_lshlrev_b32_e32 v26, 3, v9
	v_mov_b32_e32 v27, v1
	s_addc_u32 s1, s57, s1
	v_lshlrev_b32_e32 v30, 3, v3
	v_sub_u32_e32 v3, v6, v8
	v_mov_b32_e32 v31, v1
	v_lshl_add_u64 v[26:27], s[0:1], 0, v[26:27]
	v_lshl_add_u64 v[26:27], v[26:27], 0, v[30:31]
	v_or_b32_e32 v21, 0x400, v2
	v_add_u32_e32 v28, 0x500, v2
	v_mov_b32_e32 v9, v1
	v_lshlrev_b32_e32 v32, 2, v21
	v_mov_b32_e32 v33, v1
	v_lshlrev_b32_e32 v34, 2, v28
	v_mov_b32_e32 v35, v1
	s_movk_i32 s0, 0x1000
	v_add_u32_e32 v60, 0x600, v2
	v_lshlrev_b32_e32 v36, 2, v60
	v_or_b32_e32 v69, 0x800, v2
	v_mov_b32_e32 v7, v1
	s_add_i32 s10, s10, -1
	s_cmp_lg_u32 s2, s10
	s_waitcnt vmcnt(0)
	v_lshl_add_u64 v[10:11], v[12:13], 0, v[10:11]
	ds_write_b64 v6, v[10:11]
	s_waitcnt lgkmcnt(0)
	s_barrier
	ds_read2st64_b32 v[10:11], v3 offset0:8 offset1:12
	ds_read2st64_b32 v[12:13], v3 offset0:16 offset1:20
	;; [unrolled: 1-line block ×4, first 2 shown]
	global_load_dwordx2 v[40:41], v[26:27], off
	global_load_dwordx2 v[42:43], v[26:27], off offset:512
	global_load_dwordx2 v[44:45], v[26:27], off offset:1024
	s_waitcnt lgkmcnt(3)
	v_lshrrev_b32_e32 v15, s64, v10
	v_xor_b32_e32 v37, 0x80000000, v10
	v_lshrrev_b32_e32 v10, s64, v11
	v_xor_b32_e32 v56, 0x80000000, v11
	s_waitcnt lgkmcnt(2)
	v_lshrrev_b32_e32 v11, s64, v12
	v_xor_b32_e32 v57, 0x80000000, v12
	v_lshrrev_b32_e32 v12, s64, v13
	v_xor_b32_e32 v58, 0x80000000, v13
	;; [unrolled: 5-line block ×3, first 2 shown]
	s_waitcnt lgkmcnt(0)
	v_lshrrev_b32_e32 v31, s64, v38
	v_lshrrev_b32_e32 v46, s64, v39
	v_and_b32_e32 v15, s11, v15
	v_and_b32_e32 v10, s11, v10
	v_and_b32_e32 v11, s11, v11
	v_and_b32_e32 v12, s11, v12
	v_and_b32_e32 v13, s11, v13
	v_and_b32_e32 v30, s11, v30
	v_and_b32_e32 v31, s11, v31
	v_and_b32_e32 v46, s11, v46
	v_lshlrev_b32_e32 v15, 3, v15
	v_lshlrev_b32_e32 v62, 3, v10
	;; [unrolled: 1-line block ×8, first 2 shown]
	ds_read_b64 v[10:11], v15
	ds_read_b64 v[12:13], v62
	ds_read_b64 v[30:31], v63
	ds_read_b64 v[46:47], v64
	ds_read_b64 v[48:49], v65
	ds_read_b64 v[50:51], v66
	ds_read_b64 v[52:53], v67
	ds_read_b64 v[54:55], v68
	s_waitcnt lgkmcnt(7)
	v_lshl_add_u64 v[10:11], v[10:11], 2, s[54:55]
	s_waitcnt lgkmcnt(6)
	v_lshl_add_u64 v[12:13], v[12:13], 2, s[54:55]
	;; [unrolled: 2-line block ×6, first 2 shown]
	v_lshl_add_u64 v[10:11], v[10:11], 0, v[8:9]
	v_lshl_add_u64 v[12:13], v[12:13], 0, v[8:9]
	;; [unrolled: 1-line block ×6, first 2 shown]
	global_store_dword v[10:11], v37, off
	global_store_dword v[12:13], v56, off offset:1024
	global_store_dword v[30:31], v57, off offset:2048
	;; [unrolled: 1-line block ×3, first 2 shown]
	global_store_dword v[32:33], v59, off
	global_store_dword v[34:35], v61, off
	global_load_dwordx2 v[8:9], v[26:27], off offset:1536
	s_nop 0
	global_load_dwordx2 v[10:11], v[26:27], off offset:2048
	global_load_dwordx2 v[12:13], v[26:27], off offset:2560
	;; [unrolled: 1-line block ×4, first 2 shown]
	v_add_co_u32_e32 v26, vcc, s0, v26
	ds_read2st64_b32 v[50:51], v3 offset0:40 offset1:44
	s_nop 0
	v_addc_co_u32_e32 v27, vcc, 0, v27, vcc
	global_load_dwordx2 v[34:35], v[26:27], off
	global_load_dwordx2 v[46:47], v[26:27], off offset:512
	global_load_dwordx2 v[48:49], v[26:27], off offset:1024
	s_waitcnt lgkmcnt(2)
	v_lshl_add_u64 v[52:53], v[52:53], 2, s[54:55]
	global_load_dwordx2 v[26:27], v[26:27], off offset:1536
	v_mov_b32_e32 v37, v1
	v_xor_b32_e32 v38, 0x80000000, v38
	v_lshl_add_u64 v[36:37], v[52:53], 0, v[36:37]
	v_add_u32_e32 v61, 0x700, v2
	global_store_dword v[36:37], v38, off
	v_xor_b32_e32 v52, 0x80000000, v39
	s_waitcnt lgkmcnt(1)
	v_lshl_add_u64 v[36:37], v[54:55], 2, s[54:55]
	v_lshlrev_b32_e32 v38, 2, v61
	v_mov_b32_e32 v39, v1
	v_lshl_add_u64 v[36:37], v[36:37], 0, v[38:39]
	global_store_dword v[36:37], v52, off
	s_waitcnt lgkmcnt(0)
	v_lshrrev_b32_e32 v36, s64, v50
	v_and_b32_e32 v36, s11, v36
	v_lshlrev_b32_e32 v70, 3, v36
	ds_read2st64_b32 v[36:37], v3 offset0:48 offset1:52
	ds_read_b64 v[38:39], v70
	v_lshrrev_b32_e32 v3, s64, v51
	v_and_b32_e32 v3, s11, v3
	v_lshlrev_b32_e32 v71, 3, v3
	s_waitcnt lgkmcnt(1)
	v_lshrrev_b32_e32 v3, s64, v36
	v_and_b32_e32 v3, s11, v3
	v_lshlrev_b32_e32 v72, 3, v3
	v_lshrrev_b32_e32 v3, s64, v37
	v_and_b32_e32 v3, s11, v3
	v_lshlrev_b32_e32 v73, 3, v3
	ds_read_b64 v[52:53], v71
	ds_read_b64 v[54:55], v72
	;; [unrolled: 1-line block ×3, first 2 shown]
	s_waitcnt lgkmcnt(3)
	v_lshl_add_u64 v[38:39], v[38:39], 2, s[54:55]
	v_lshlrev_b32_e32 v58, 2, v69
	v_mov_b32_e32 v59, v1
	v_xor_b32_e32 v50, 0x80000000, v50
	v_lshl_add_u64 v[38:39], v[38:39], 0, v[58:59]
	v_add_u32_e32 v58, 0x900, v2
	global_store_dword v[38:39], v50, off
	v_xor_b32_e32 v3, 0x80000000, v51
	s_waitcnt lgkmcnt(2)
	v_lshl_add_u64 v[38:39], v[52:53], 2, s[54:55]
	v_lshlrev_b32_e32 v50, 2, v58
	v_mov_b32_e32 v51, v1
	v_lshl_add_u64 v[38:39], v[38:39], 0, v[50:51]
	v_add_u32_e32 v52, 0xa00, v2
	global_store_dword v[38:39], v3, off
	s_waitcnt lgkmcnt(1)
	v_lshl_add_u64 v[38:39], v[54:55], 2, s[54:55]
	v_lshlrev_b32_e32 v50, 2, v52
	v_xor_b32_e32 v3, 0x80000000, v36
	v_lshl_add_u64 v[38:39], v[38:39], 0, v[50:51]
	global_store_dword v[38:39], v3, off
	v_add_u32_e32 v38, 0xb00, v2
	v_xor_b32_e32 v39, 0x80000000, v37
	s_waitcnt lgkmcnt(0)
	v_lshl_add_u64 v[2:3], v[56:57], 2, s[54:55]
	v_lshlrev_b32_e32 v36, 2, v38
	v_mov_b32_e32 v37, v1
	v_lshl_add_u64 v[2:3], v[2:3], 0, v[36:37]
	global_store_dword v[2:3], v39, off
	v_lshlrev_b32_e32 v2, 3, v29
	s_barrier
	s_waitcnt vmcnt(23)
	ds_write_b64 v2, v[40:41] offset:2048
	v_lshlrev_b32_e32 v2, 3, v25
	s_waitcnt vmcnt(22)
	ds_write_b64 v2, v[42:43] offset:2048
	v_lshlrev_b32_e32 v2, 3, v24
	;; [unrolled: 3-line block ×11, first 2 shown]
	s_waitcnt vmcnt(6)
	ds_write_b64 v2, v[26:27] offset:2048
	s_waitcnt lgkmcnt(0)
	s_barrier
	ds_read_b64 v[2:3], v15
	ds_read2st64_b64 v[8:11], v6 offset0:4 offset1:8
	ds_read_b64 v[12:13], v62
	ds_read_b64 v[14:15], v63
	;; [unrolled: 1-line block ×3, first 2 shown]
	s_waitcnt lgkmcnt(4)
	v_lshl_add_u64 v[2:3], v[2:3], 3, s[58:59]
	v_lshl_add_u64 v[2:3], v[2:3], 0, v[6:7]
	s_waitcnt lgkmcnt(3)
	global_store_dwordx2 v[2:3], v[8:9], off
	s_waitcnt lgkmcnt(2)
	v_lshl_add_u64 v[2:3], v[12:13], 3, s[58:59]
	v_lshl_add_u64 v[2:3], v[2:3], 0, v[6:7]
	global_store_dwordx2 v[2:3], v[10:11], off offset:2048
	ds_read2st64_b64 v[8:11], v6 offset0:12 offset1:16
	s_waitcnt lgkmcnt(2)
	v_lshl_add_u64 v[2:3], v[14:15], 3, s[58:59]
	v_add_u32_e32 v12, 0x1000, v6
	v_mov_b32_e32 v13, v1
	v_lshl_add_u64 v[2:3], v[2:3], 0, v[12:13]
	s_waitcnt lgkmcnt(0)
	global_store_dwordx2 v[2:3], v[8:9], off
	v_lshl_add_u64 v[2:3], v[16:17], 3, s[58:59]
	v_add_u32_e32 v8, 0x1800, v6
	v_mov_b32_e32 v9, v1
	v_lshl_add_u64 v[2:3], v[2:3], 0, v[8:9]
	global_store_dwordx2 v[2:3], v[10:11], off
	ds_read_b64 v[2:3], v65
	ds_read2st64_b64 v[8:11], v6 offset0:20 offset1:24
	ds_read_b64 v[12:13], v66
	ds_read_b64 v[14:15], v67
	;; [unrolled: 1-line block ×3, first 2 shown]
	s_waitcnt lgkmcnt(4)
	v_lshl_add_u64 v[2:3], v[2:3], 3, s[58:59]
	v_lshlrev_b32_e32 v18, 3, v21
	v_mov_b32_e32 v19, v1
	v_lshl_add_u64 v[2:3], v[2:3], 0, v[18:19]
	s_waitcnt lgkmcnt(3)
	global_store_dwordx2 v[2:3], v[8:9], off
	s_waitcnt lgkmcnt(2)
	v_lshl_add_u64 v[2:3], v[12:13], 3, s[58:59]
	v_lshlrev_b32_e32 v8, 3, v28
	v_mov_b32_e32 v9, v1
	v_lshl_add_u64 v[2:3], v[2:3], 0, v[8:9]
	global_store_dwordx2 v[2:3], v[10:11], off
	ds_read2st64_b64 v[8:11], v6 offset0:28 offset1:32
	s_waitcnt lgkmcnt(2)
	v_lshl_add_u64 v[2:3], v[14:15], 3, s[58:59]
	v_lshlrev_b32_e32 v12, 3, v60
	v_mov_b32_e32 v13, v1
	v_lshl_add_u64 v[2:3], v[2:3], 0, v[12:13]
	s_waitcnt lgkmcnt(0)
	global_store_dwordx2 v[2:3], v[8:9], off
	v_lshl_add_u64 v[2:3], v[16:17], 3, s[58:59]
	v_lshlrev_b32_e32 v8, 3, v61
	v_mov_b32_e32 v9, v1
	v_lshl_add_u64 v[2:3], v[2:3], 0, v[8:9]
	global_store_dwordx2 v[2:3], v[10:11], off
	ds_read_b64 v[2:3], v70
	ds_read2st64_b64 v[8:11], v6 offset0:36 offset1:40
	ds_read_b64 v[12:13], v71
	ds_read_b64 v[14:15], v72
	;; [unrolled: 1-line block ×3, first 2 shown]
	s_waitcnt lgkmcnt(4)
	v_lshl_add_u64 v[2:3], v[2:3], 3, s[58:59]
	v_lshlrev_b32_e32 v18, 3, v69
	v_lshl_add_u64 v[2:3], v[2:3], 0, v[18:19]
	s_waitcnt lgkmcnt(3)
	global_store_dwordx2 v[2:3], v[8:9], off
	s_waitcnt lgkmcnt(2)
	v_lshl_add_u64 v[2:3], v[12:13], 3, s[58:59]
	v_lshlrev_b32_e32 v8, 3, v58
	v_mov_b32_e32 v9, v1
	v_lshl_add_u64 v[2:3], v[2:3], 0, v[8:9]
	global_store_dwordx2 v[2:3], v[10:11], off
	ds_read2st64_b64 v[8:11], v6 offset0:44 offset1:48
	s_waitcnt lgkmcnt(2)
	v_lshl_add_u64 v[2:3], v[14:15], 3, s[58:59]
	v_lshlrev_b32_e32 v12, 3, v52
	v_mov_b32_e32 v13, v1
	v_lshl_add_u64 v[2:3], v[2:3], 0, v[12:13]
	s_waitcnt lgkmcnt(0)
	global_store_dwordx2 v[2:3], v[8:9], off
	v_lshl_add_u64 v[2:3], v[16:17], 3, s[58:59]
	v_lshlrev_b32_e32 v8, 3, v38
	v_mov_b32_e32 v9, v1
	v_lshl_add_u64 v[2:3], v[2:3], 0, v[8:9]
	global_store_dwordx2 v[2:3], v[10:11], off
	s_cbranch_scc1 .LBB97_195
; %bb.194:
	ds_read_b64 v[2:3], v6
	v_mov_b32_e32 v5, v1
	v_lshl_add_u64 v[0:1], v[4:5], 0, v[0:1]
	s_waitcnt lgkmcnt(0)
	v_lshl_add_u64 v[0:1], v[0:1], 0, v[2:3]
	global_store_dwordx2 v6, v[0:1], s[62:63]
.LBB97_195:
	s_endpgm
.LBB97_196:
	s_or_b64 exec, exec, s[4:5]
	s_and_saveexec_b64 s[4:5], s[26:27]
	s_cbranch_execz .LBB97_139
.LBB97_197:
	v_lshlrev_b32_e32 v2, 3, v38
	ds_read_b64 v[22:23], v2
	ds_read_b64 v[24:25], v8 offset:4096
	v_mov_b32_e32 v9, 0
	s_waitcnt lgkmcnt(1)
	v_lshl_add_u64 v[22:23], v[22:23], 3, s[58:59]
	v_lshl_add_u64 v[22:23], v[22:23], 0, v[8:9]
	s_waitcnt lgkmcnt(0)
	global_store_dwordx2 v[22:23], v[24:25], off offset:2048
	s_or_b64 exec, exec, s[4:5]
	s_and_saveexec_b64 s[4:5], s[28:29]
	s_cbranch_execnz .LBB97_140
.LBB97_198:
	s_or_b64 exec, exec, s[4:5]
	s_and_saveexec_b64 s[4:5], s[30:31]
	s_cbranch_execz .LBB97_141
.LBB97_199:
	v_lshlrev_b32_e32 v2, 3, v36
	ds_read_b64 v[22:23], v2
	ds_read_b64 v[24:25], v8 offset:8192
	v_lshlrev_b32_e32 v12, 3, v13
	v_mov_b32_e32 v13, 0
	s_waitcnt lgkmcnt(1)
	v_lshl_add_u64 v[22:23], v[22:23], 3, s[58:59]
	v_lshl_add_u64 v[12:13], v[22:23], 0, v[12:13]
	s_waitcnt lgkmcnt(0)
	global_store_dwordx2 v[12:13], v[24:25], off
	s_or_b64 exec, exec, s[4:5]
	s_and_saveexec_b64 s[4:5], s[34:35]
	s_cbranch_execnz .LBB97_142
.LBB97_200:
	s_or_b64 exec, exec, s[4:5]
	s_and_saveexec_b64 s[4:5], s[36:37]
	s_cbranch_execz .LBB97_143
.LBB97_201:
	v_lshlrev_b32_e32 v2, 3, v34
	ds_read_b64 v[12:13], v2
	ds_read_b64 v[22:23], v8 offset:12288
	v_lshlrev_b32_e32 v24, 3, v16
	v_mov_b32_e32 v25, 0
	s_waitcnt lgkmcnt(1)
	v_lshl_add_u64 v[12:13], v[12:13], 3, s[58:59]
	v_lshl_add_u64 v[12:13], v[12:13], 0, v[24:25]
	s_waitcnt lgkmcnt(0)
	global_store_dwordx2 v[12:13], v[22:23], off
	s_or_b64 exec, exec, s[4:5]
	s_and_saveexec_b64 s[4:5], s[38:39]
	s_cbranch_execnz .LBB97_144
.LBB97_202:
	s_or_b64 exec, exec, s[4:5]
	s_and_saveexec_b64 s[4:5], s[40:41]
	s_cbranch_execz .LBB97_145
.LBB97_203:
	v_lshlrev_b32_e32 v2, 3, v11
	ds_read_b64 v[12:13], v2
	ds_read_b64 v[16:17], v8 offset:16384
	v_lshlrev_b32_e32 v18, 3, v18
	v_mov_b32_e32 v19, 0
	s_waitcnt lgkmcnt(1)
	v_lshl_add_u64 v[12:13], v[12:13], 3, s[58:59]
	v_lshl_add_u64 v[12:13], v[12:13], 0, v[18:19]
	s_waitcnt lgkmcnt(0)
	global_store_dwordx2 v[12:13], v[16:17], off
	s_or_b64 exec, exec, s[4:5]
	s_and_saveexec_b64 s[4:5], s[42:43]
	s_cbranch_execnz .LBB97_146
.LBB97_204:
	s_or_b64 exec, exec, s[4:5]
	s_and_saveexec_b64 s[4:5], s[44:45]
	s_cbranch_execz .LBB97_147
.LBB97_205:
	v_lshlrev_b32_e32 v2, 3, v10
	ds_read_b64 v[10:11], v2
	ds_read_b64 v[12:13], v8 offset:20480
	v_lshlrev_b32_e32 v16, 3, v21
	v_mov_b32_e32 v17, 0
	s_waitcnt lgkmcnt(1)
	v_lshl_add_u64 v[10:11], v[10:11], 3, s[58:59]
	v_lshl_add_u64 v[10:11], v[10:11], 0, v[16:17]
	s_waitcnt lgkmcnt(0)
	global_store_dwordx2 v[10:11], v[12:13], off
	s_or_b64 exec, exec, s[4:5]
	s_and_saveexec_b64 s[4:5], s[46:47]
	s_cbranch_execnz .LBB97_148
.LBB97_206:
	s_or_b64 exec, exec, s[4:5]
	s_and_saveexec_b64 s[4:5], s[48:49]
	s_cbranch_execz .LBB97_149
.LBB97_207:
	v_lshlrev_b32_e32 v2, 3, v3
	ds_read_b64 v[2:3], v2
	ds_read_b64 v[10:11], v8 offset:24576
	v_lshlrev_b32_e32 v12, 3, v31
	v_mov_b32_e32 v13, 0
	s_waitcnt lgkmcnt(1)
	v_lshl_add_u64 v[2:3], v[2:3], 3, s[58:59]
	v_lshl_add_u64 v[2:3], v[2:3], 0, v[12:13]
	s_waitcnt lgkmcnt(0)
	global_store_dwordx2 v[2:3], v[10:11], off
	s_or_b64 exec, exec, s[4:5]
	s_add_i32 s33, s33, -1
	s_cmp_eq_u32 s2, s33
	s_cbranch_scc1 .LBB97_150
	s_branch .LBB97_151
	.section	.rodata,"a",@progbits
	.p2align	6, 0x0
	.amdhsa_kernel _ZN7rocprim17ROCPRIM_304000_NS6detail25onesweep_iteration_kernelINS1_34wrapped_radix_sort_onesweep_configINS0_14default_configEiN2at4cuda3cub6detail10OpaqueTypeILi8EEEEELb0EPiSC_PSA_SD_mNS0_19identity_decomposerEEEvT1_T2_T3_T4_jPT5_SK_PNS1_23onesweep_lookback_stateET6_jjj
		.amdhsa_group_segment_fixed_size 26624
		.amdhsa_private_segment_fixed_size 0
		.amdhsa_kernarg_size 336
		.amdhsa_user_sgpr_count 2
		.amdhsa_user_sgpr_dispatch_ptr 0
		.amdhsa_user_sgpr_queue_ptr 0
		.amdhsa_user_sgpr_kernarg_segment_ptr 1
		.amdhsa_user_sgpr_dispatch_id 0
		.amdhsa_user_sgpr_kernarg_preload_length 0
		.amdhsa_user_sgpr_kernarg_preload_offset 0
		.amdhsa_user_sgpr_private_segment_size 0
		.amdhsa_uses_dynamic_stack 0
		.amdhsa_enable_private_segment 0
		.amdhsa_system_sgpr_workgroup_id_x 1
		.amdhsa_system_sgpr_workgroup_id_y 0
		.amdhsa_system_sgpr_workgroup_id_z 0
		.amdhsa_system_sgpr_workgroup_info 0
		.amdhsa_system_vgpr_workitem_id 2
		.amdhsa_next_free_vgpr 74
		.amdhsa_next_free_sgpr 91
		.amdhsa_accum_offset 76
		.amdhsa_reserve_vcc 1
		.amdhsa_float_round_mode_32 0
		.amdhsa_float_round_mode_16_64 0
		.amdhsa_float_denorm_mode_32 3
		.amdhsa_float_denorm_mode_16_64 3
		.amdhsa_dx10_clamp 1
		.amdhsa_ieee_mode 1
		.amdhsa_fp16_overflow 0
		.amdhsa_tg_split 0
		.amdhsa_exception_fp_ieee_invalid_op 0
		.amdhsa_exception_fp_denorm_src 0
		.amdhsa_exception_fp_ieee_div_zero 0
		.amdhsa_exception_fp_ieee_overflow 0
		.amdhsa_exception_fp_ieee_underflow 0
		.amdhsa_exception_fp_ieee_inexact 0
		.amdhsa_exception_int_div_zero 0
	.end_amdhsa_kernel
	.section	.text._ZN7rocprim17ROCPRIM_304000_NS6detail25onesweep_iteration_kernelINS1_34wrapped_radix_sort_onesweep_configINS0_14default_configEiN2at4cuda3cub6detail10OpaqueTypeILi8EEEEELb0EPiSC_PSA_SD_mNS0_19identity_decomposerEEEvT1_T2_T3_T4_jPT5_SK_PNS1_23onesweep_lookback_stateET6_jjj,"axG",@progbits,_ZN7rocprim17ROCPRIM_304000_NS6detail25onesweep_iteration_kernelINS1_34wrapped_radix_sort_onesweep_configINS0_14default_configEiN2at4cuda3cub6detail10OpaqueTypeILi8EEEEELb0EPiSC_PSA_SD_mNS0_19identity_decomposerEEEvT1_T2_T3_T4_jPT5_SK_PNS1_23onesweep_lookback_stateET6_jjj,comdat
.Lfunc_end97:
	.size	_ZN7rocprim17ROCPRIM_304000_NS6detail25onesweep_iteration_kernelINS1_34wrapped_radix_sort_onesweep_configINS0_14default_configEiN2at4cuda3cub6detail10OpaqueTypeILi8EEEEELb0EPiSC_PSA_SD_mNS0_19identity_decomposerEEEvT1_T2_T3_T4_jPT5_SK_PNS1_23onesweep_lookback_stateET6_jjj, .Lfunc_end97-_ZN7rocprim17ROCPRIM_304000_NS6detail25onesweep_iteration_kernelINS1_34wrapped_radix_sort_onesweep_configINS0_14default_configEiN2at4cuda3cub6detail10OpaqueTypeILi8EEEEELb0EPiSC_PSA_SD_mNS0_19identity_decomposerEEEvT1_T2_T3_T4_jPT5_SK_PNS1_23onesweep_lookback_stateET6_jjj
                                        ; -- End function
	.set _ZN7rocprim17ROCPRIM_304000_NS6detail25onesweep_iteration_kernelINS1_34wrapped_radix_sort_onesweep_configINS0_14default_configEiN2at4cuda3cub6detail10OpaqueTypeILi8EEEEELb0EPiSC_PSA_SD_mNS0_19identity_decomposerEEEvT1_T2_T3_T4_jPT5_SK_PNS1_23onesweep_lookback_stateET6_jjj.num_vgpr, 74
	.set _ZN7rocprim17ROCPRIM_304000_NS6detail25onesweep_iteration_kernelINS1_34wrapped_radix_sort_onesweep_configINS0_14default_configEiN2at4cuda3cub6detail10OpaqueTypeILi8EEEEELb0EPiSC_PSA_SD_mNS0_19identity_decomposerEEEvT1_T2_T3_T4_jPT5_SK_PNS1_23onesweep_lookback_stateET6_jjj.num_agpr, 0
	.set _ZN7rocprim17ROCPRIM_304000_NS6detail25onesweep_iteration_kernelINS1_34wrapped_radix_sort_onesweep_configINS0_14default_configEiN2at4cuda3cub6detail10OpaqueTypeILi8EEEEELb0EPiSC_PSA_SD_mNS0_19identity_decomposerEEEvT1_T2_T3_T4_jPT5_SK_PNS1_23onesweep_lookback_stateET6_jjj.numbered_sgpr, 73
	.set _ZN7rocprim17ROCPRIM_304000_NS6detail25onesweep_iteration_kernelINS1_34wrapped_radix_sort_onesweep_configINS0_14default_configEiN2at4cuda3cub6detail10OpaqueTypeILi8EEEEELb0EPiSC_PSA_SD_mNS0_19identity_decomposerEEEvT1_T2_T3_T4_jPT5_SK_PNS1_23onesweep_lookback_stateET6_jjj.num_named_barrier, 0
	.set _ZN7rocprim17ROCPRIM_304000_NS6detail25onesweep_iteration_kernelINS1_34wrapped_radix_sort_onesweep_configINS0_14default_configEiN2at4cuda3cub6detail10OpaqueTypeILi8EEEEELb0EPiSC_PSA_SD_mNS0_19identity_decomposerEEEvT1_T2_T3_T4_jPT5_SK_PNS1_23onesweep_lookback_stateET6_jjj.private_seg_size, 0
	.set _ZN7rocprim17ROCPRIM_304000_NS6detail25onesweep_iteration_kernelINS1_34wrapped_radix_sort_onesweep_configINS0_14default_configEiN2at4cuda3cub6detail10OpaqueTypeILi8EEEEELb0EPiSC_PSA_SD_mNS0_19identity_decomposerEEEvT1_T2_T3_T4_jPT5_SK_PNS1_23onesweep_lookback_stateET6_jjj.uses_vcc, 1
	.set _ZN7rocprim17ROCPRIM_304000_NS6detail25onesweep_iteration_kernelINS1_34wrapped_radix_sort_onesweep_configINS0_14default_configEiN2at4cuda3cub6detail10OpaqueTypeILi8EEEEELb0EPiSC_PSA_SD_mNS0_19identity_decomposerEEEvT1_T2_T3_T4_jPT5_SK_PNS1_23onesweep_lookback_stateET6_jjj.uses_flat_scratch, 0
	.set _ZN7rocprim17ROCPRIM_304000_NS6detail25onesweep_iteration_kernelINS1_34wrapped_radix_sort_onesweep_configINS0_14default_configEiN2at4cuda3cub6detail10OpaqueTypeILi8EEEEELb0EPiSC_PSA_SD_mNS0_19identity_decomposerEEEvT1_T2_T3_T4_jPT5_SK_PNS1_23onesweep_lookback_stateET6_jjj.has_dyn_sized_stack, 0
	.set _ZN7rocprim17ROCPRIM_304000_NS6detail25onesweep_iteration_kernelINS1_34wrapped_radix_sort_onesweep_configINS0_14default_configEiN2at4cuda3cub6detail10OpaqueTypeILi8EEEEELb0EPiSC_PSA_SD_mNS0_19identity_decomposerEEEvT1_T2_T3_T4_jPT5_SK_PNS1_23onesweep_lookback_stateET6_jjj.has_recursion, 0
	.set _ZN7rocprim17ROCPRIM_304000_NS6detail25onesweep_iteration_kernelINS1_34wrapped_radix_sort_onesweep_configINS0_14default_configEiN2at4cuda3cub6detail10OpaqueTypeILi8EEEEELb0EPiSC_PSA_SD_mNS0_19identity_decomposerEEEvT1_T2_T3_T4_jPT5_SK_PNS1_23onesweep_lookback_stateET6_jjj.has_indirect_call, 0
	.section	.AMDGPU.csdata,"",@progbits
; Kernel info:
; codeLenInByte = 19188
; TotalNumSgprs: 79
; NumVgprs: 74
; NumAgprs: 0
; TotalNumVgprs: 74
; ScratchSize: 0
; MemoryBound: 0
; FloatMode: 240
; IeeeMode: 1
; LDSByteSize: 26624 bytes/workgroup (compile time only)
; SGPRBlocks: 12
; VGPRBlocks: 9
; NumSGPRsForWavesPerEU: 97
; NumVGPRsForWavesPerEU: 74
; AccumOffset: 76
; Occupancy: 6
; WaveLimiterHint : 1
; COMPUTE_PGM_RSRC2:SCRATCH_EN: 0
; COMPUTE_PGM_RSRC2:USER_SGPR: 2
; COMPUTE_PGM_RSRC2:TRAP_HANDLER: 0
; COMPUTE_PGM_RSRC2:TGID_X_EN: 1
; COMPUTE_PGM_RSRC2:TGID_Y_EN: 0
; COMPUTE_PGM_RSRC2:TGID_Z_EN: 0
; COMPUTE_PGM_RSRC2:TIDIG_COMP_CNT: 2
; COMPUTE_PGM_RSRC3_GFX90A:ACCUM_OFFSET: 18
; COMPUTE_PGM_RSRC3_GFX90A:TG_SPLIT: 0
	.section	.text._ZN7rocprim17ROCPRIM_304000_NS6detail28radix_sort_block_sort_kernelINS1_36wrapped_radix_sort_block_sort_configINS0_13kernel_configILj256ELj4ELj4294967295EEElN2at4cuda3cub6detail10OpaqueTypeILi8EEEEELb1EPKlPlPKSB_PSB_NS0_19identity_decomposerEEEvT1_T2_T3_T4_jT5_jj,"axG",@progbits,_ZN7rocprim17ROCPRIM_304000_NS6detail28radix_sort_block_sort_kernelINS1_36wrapped_radix_sort_block_sort_configINS0_13kernel_configILj256ELj4ELj4294967295EEElN2at4cuda3cub6detail10OpaqueTypeILi8EEEEELb1EPKlPlPKSB_PSB_NS0_19identity_decomposerEEEvT1_T2_T3_T4_jT5_jj,comdat
	.protected	_ZN7rocprim17ROCPRIM_304000_NS6detail28radix_sort_block_sort_kernelINS1_36wrapped_radix_sort_block_sort_configINS0_13kernel_configILj256ELj4ELj4294967295EEElN2at4cuda3cub6detail10OpaqueTypeILi8EEEEELb1EPKlPlPKSB_PSB_NS0_19identity_decomposerEEEvT1_T2_T3_T4_jT5_jj ; -- Begin function _ZN7rocprim17ROCPRIM_304000_NS6detail28radix_sort_block_sort_kernelINS1_36wrapped_radix_sort_block_sort_configINS0_13kernel_configILj256ELj4ELj4294967295EEElN2at4cuda3cub6detail10OpaqueTypeILi8EEEEELb1EPKlPlPKSB_PSB_NS0_19identity_decomposerEEEvT1_T2_T3_T4_jT5_jj
	.globl	_ZN7rocprim17ROCPRIM_304000_NS6detail28radix_sort_block_sort_kernelINS1_36wrapped_radix_sort_block_sort_configINS0_13kernel_configILj256ELj4ELj4294967295EEElN2at4cuda3cub6detail10OpaqueTypeILi8EEEEELb1EPKlPlPKSB_PSB_NS0_19identity_decomposerEEEvT1_T2_T3_T4_jT5_jj
	.p2align	8
	.type	_ZN7rocprim17ROCPRIM_304000_NS6detail28radix_sort_block_sort_kernelINS1_36wrapped_radix_sort_block_sort_configINS0_13kernel_configILj256ELj4ELj4294967295EEElN2at4cuda3cub6detail10OpaqueTypeILi8EEEEELb1EPKlPlPKSB_PSB_NS0_19identity_decomposerEEEvT1_T2_T3_T4_jT5_jj,@function
_ZN7rocprim17ROCPRIM_304000_NS6detail28radix_sort_block_sort_kernelINS1_36wrapped_radix_sort_block_sort_configINS0_13kernel_configILj256ELj4ELj4294967295EEElN2at4cuda3cub6detail10OpaqueTypeILi8EEEEELb1EPKlPlPKSB_PSB_NS0_19identity_decomposerEEEvT1_T2_T3_T4_jT5_jj: ; @_ZN7rocprim17ROCPRIM_304000_NS6detail28radix_sort_block_sort_kernelINS1_36wrapped_radix_sort_block_sort_configINS0_13kernel_configILj256ELj4ELj4294967295EEElN2at4cuda3cub6detail10OpaqueTypeILi8EEEEELb1EPKlPlPKSB_PSB_NS0_19identity_decomposerEEEvT1_T2_T3_T4_jT5_jj
; %bb.0:
	s_load_dword s8, s[0:1], 0x20
	s_load_dwordx8 s[36:43], s[0:1], 0x0
	s_lshl_b32 s4, s2, 10
	s_mov_b32 s5, 0
	v_and_b32_e32 v10, 0x3ff, v0
	s_waitcnt lgkmcnt(0)
	s_lshr_b32 s3, s8, 10
	s_cmp_lg_u32 s2, s3
	s_cselect_b64 s[30:31], -1, 0
	s_lshl_b64 s[28:29], s[4:5], 3
	v_mbcnt_lo_u32_b32 v1, -1, 0
	s_add_u32 s6, s36, s28
	v_mbcnt_hi_u32_b32 v1, -1, v1
	v_lshlrev_b32_e32 v11, 2, v10
	s_addc_u32 s7, s37, s29
	v_and_b32_e32 v18, 0x300, v11
	v_mov_b32_e32 v15, 0
	v_lshlrev_b32_e32 v14, 3, v1
	v_lshl_add_u64 v[2:3], s[6:7], 0, v[14:15]
	v_lshlrev_b32_e32 v12, 3, v18
	v_mov_b32_e32 v13, v15
	s_cmp_eq_u32 s2, s3
	v_lshl_add_u64 v[16:17], v[2:3], 0, v[12:13]
	s_cbranch_scc1 .LBB98_2
; %bb.1:
	s_add_u32 s2, s40, s28
	s_addc_u32 s3, s41, s29
	v_lshl_add_u64 v[20:21], s[2:3], 0, v[14:15]
	global_load_dwordx2 v[2:3], v[16:17], off
	global_load_dwordx2 v[4:5], v[16:17], off offset:512
	global_load_dwordx2 v[6:7], v[16:17], off offset:1024
	;; [unrolled: 1-line block ×3, first 2 shown]
	v_lshl_add_u64 v[20:21], v[20:21], 0, v[12:13]
	global_load_dwordx2 v[42:43], v[20:21], off
	global_load_dwordx2 v[44:45], v[20:21], off offset:512
	global_load_dwordx2 v[46:47], v[20:21], off offset:1024
	s_mov_b64 s[6:7], -1
	s_sub_i32 s33, s8, s4
	s_cbranch_execz .LBB98_3
	s_branch .LBB98_16
.LBB98_2:
	s_mov_b64 s[6:7], 0
                                        ; implicit-def: $vgpr2_vgpr3_vgpr4_vgpr5_vgpr6_vgpr7_vgpr8_vgpr9
                                        ; implicit-def: $vgpr42_vgpr43
                                        ; implicit-def: $vgpr46_vgpr47
	s_sub_i32 s33, s8, s4
.LBB98_3:
	v_add_u32_e32 v13, v1, v18
	s_waitcnt vmcnt(6)
	v_mov_b32_e32 v2, 0
	v_bfrev_b32_e32 v3, 1
	v_cmp_gt_u32_e32 vcc, s33, v13
	s_waitcnt vmcnt(5)
	v_mov_b32_e32 v4, v2
	v_mov_b32_e32 v5, v3
	s_waitcnt vmcnt(4)
	v_mov_b32_e32 v6, v2
	v_mov_b32_e32 v7, v3
	;; [unrolled: 3-line block ×3, first 2 shown]
	s_and_saveexec_b64 s[2:3], vcc
	s_cbranch_execz .LBB98_5
; %bb.4:
	global_load_dwordx2 v[18:19], v[16:17], off
	v_mov_b32_e32 v20, v2
	v_mov_b32_e32 v21, v3
	;; [unrolled: 1-line block ×6, first 2 shown]
	s_waitcnt vmcnt(0)
	v_mov_b64_e32 v[2:3], v[18:19]
	v_mov_b64_e32 v[4:5], v[20:21]
	;; [unrolled: 1-line block ×4, first 2 shown]
.LBB98_5:
	s_or_b64 exec, exec, s[2:3]
	v_add_u32_e32 v15, 64, v13
	v_cmp_gt_u32_e64 s[2:3], s33, v15
	s_and_saveexec_b64 s[4:5], s[2:3]
	s_cbranch_execz .LBB98_7
; %bb.6:
	global_load_dwordx2 v[4:5], v[16:17], off offset:512
.LBB98_7:
	s_or_b64 exec, exec, s[4:5]
	v_add_u32_e32 v15, 0x80, v13
	v_cmp_gt_u32_e64 s[4:5], s33, v15
	s_and_saveexec_b64 s[6:7], s[4:5]
	s_cbranch_execz .LBB98_9
; %bb.8:
	global_load_dwordx2 v[6:7], v[16:17], off offset:1024
.LBB98_9:
	;; [unrolled: 8-line block ×3, first 2 shown]
	s_or_b64 exec, exec, s[8:9]
	s_add_u32 s8, s40, s28
	s_addc_u32 s9, s41, s29
	v_mov_b32_e32 v15, 0
	v_lshl_add_u64 v[16:17], s[8:9], 0, v[14:15]
	v_mov_b32_e32 v13, v15
	v_lshl_add_u64 v[16:17], v[16:17], 0, v[12:13]
                                        ; implicit-def: $vgpr42_vgpr43
	s_and_saveexec_b64 s[8:9], vcc
	s_cbranch_execnz .LBB98_55
; %bb.12:
	s_or_b64 exec, exec, s[8:9]
	s_and_saveexec_b64 s[8:9], s[2:3]
	s_cbranch_execnz .LBB98_56
.LBB98_13:
	s_or_b64 exec, exec, s[8:9]
                                        ; implicit-def: $vgpr46_vgpr47
	s_and_saveexec_b64 s[2:3], s[4:5]
	s_cbranch_execz .LBB98_15
.LBB98_14:
	global_load_dwordx2 v[46:47], v[16:17], off offset:1024
.LBB98_15:
	s_or_b64 exec, exec, s[2:3]
.LBB98_16:
	s_and_saveexec_b64 s[2:3], s[6:7]
	s_cbranch_execz .LBB98_18
; %bb.17:
	s_add_u32 s4, s40, s28
	s_addc_u32 s5, s41, s29
	v_mov_b32_e32 v15, 0
	v_lshl_add_u64 v[16:17], s[4:5], 0, v[14:15]
	v_mov_b32_e32 v13, v15
	v_lshl_add_u64 v[14:15], v[16:17], 0, v[12:13]
	global_load_dwordx2 v[48:49], v[14:15], off offset:1536
.LBB98_18:
	s_or_b64 exec, exec, s[2:3]
	s_load_dwordx2 s[34:35], s[0:1], 0x28
	v_bfe_u32 v13, v0, 10, 10
	s_load_dword s0, s[0:1], 0x3c
	v_bfe_u32 v0, v0, 20, 10
	s_mov_b32 s26, 0
	s_mov_b32 s27, s26
	;; [unrolled: 1-line block ×3, first 2 shown]
	s_waitcnt lgkmcnt(0)
	s_lshr_b32 s1, s0, 16
	s_and_b32 s0, s0, 0xffff
	v_mad_u32_u24 v0, v0, s1, v13
	v_mad_u64_u32 v[14:15], s[0:1], v0, s0, v[10:11]
	v_lshrrev_b32_e32 v0, 4, v14
	v_and_b32_e32 v34, 0xffffffc, v0
	v_and_b32_e32 v0, 15, v1
	v_cmp_eq_u32_e64 s[0:1], 0, v0
	v_cmp_lt_u32_e64 s[2:3], 1, v0
	v_cmp_lt_u32_e64 s[4:5], 3, v0
	;; [unrolled: 1-line block ×3, first 2 shown]
	v_and_b32_e32 v0, 16, v1
	v_cmp_eq_u32_e64 s[8:9], 0, v0
	v_and_b32_e32 v0, 0x3c0, v10
	v_min_u32_e32 v0, 0xc0, v0
	v_or_b32_e32 v0, 63, v0
	v_cmp_eq_u32_e64 s[12:13], v10, v0
	v_subrev_co_u32_e64 v0, s[18:19], 1, v1
	v_and_b32_e32 v13, 64, v1
	v_cmp_lt_i32_e32 vcc, v0, v13
	v_lshlrev_b32_e32 v11, 2, v11
	v_and_b32_e32 v13, 3, v1
	v_cndmask_b32_e32 v0, v0, v1, vcc
	v_lshlrev_b32_e32 v35, 2, v0
	v_lshrrev_b32_e32 v0, 4, v10
	v_and_b32_e32 v36, 60, v0
	v_mul_i32_i24_e32 v0, -12, v10
	s_mov_b32 s41, s26
	s_waitcnt vmcnt(6)
	v_xor_b32_e32 v3, 0x7fffffff, v3
	v_xor_b32_e32 v2, -1, v2
	s_waitcnt vmcnt(0)
	v_xor_b32_e32 v5, 0x7fffffff, v5
	s_add_i32 s36, s35, s34
	v_xor_b32_e32 v4, -1, v4
	v_xor_b32_e32 v7, 0x7fffffff, v7
	v_xor_b32_e32 v6, -1, v6
	v_xor_b32_e32 v9, 0x7fffffff, v9
	v_xor_b32_e32 v8, -1, v8
	v_cmp_lt_u32_e64 s[10:11], 31, v1
	v_cmp_gt_u32_e64 s[14:15], 4, v10
	v_cmp_lt_u32_e64 s[16:17], 63, v10
	v_cmp_eq_u32_e64 s[20:21], 0, v10
	v_cmp_eq_u32_e64 s[22:23], 0, v13
	v_cmp_lt_u32_e64 s[24:25], 1, v13
	v_add_u32_e32 v37, -4, v36
	v_lshl_add_u32 v38, v1, 3, v12
	v_mov_b64_e32 v[20:21], s[26:27]
	v_mov_b64_e32 v[22:23], s[40:41]
	v_mov_b32_e32 v25, 0
	v_add_u32_e32 v39, v11, v0
	s_branch .LBB98_20
.LBB98_19:                              ;   in Loop: Header=BB98_20 Depth=1
	s_andn2_b64 vcc, exec, s[26:27]
	s_cbranch_vccz .LBB98_36
.LBB98_20:                              ; =>This Inner Loop Header: Depth=1
	v_mov_b64_e32 v[32:33], v[2:3]
	s_min_u32 s26, s35, 8
	s_lshl_b32 s37, -1, s26
	v_lshrrev_b64 v[0:1], s34, v[32:33]
	v_bitop3_b32 v2, v0, s37, v0 bitop3:0x30
	v_and_b32_e32 v24, 1, v2
	v_lshl_add_u64 v[0:1], v[24:25], 0, -1
	v_cmp_ne_u32_e32 vcc, 0, v24
	v_mov_b64_e32 v[30:31], v[4:5]
	v_lshlrev_b32_e32 v3, 4, v2
	v_xor_b32_e32 v1, vcc_hi, v1
	v_xor_b32_e32 v0, vcc_lo, v0
	v_and_b32_e32 v4, exec_hi, v1
	v_and_b32_e32 v5, exec_lo, v0
	v_lshlrev_b32_e32 v1, 30, v2
	v_mov_b32_e32 v0, v25
	v_cmp_gt_i64_e32 vcc, 0, v[0:1]
	v_not_b32_e32 v0, v1
	v_ashrrev_i32_e32 v0, 31, v0
	v_xor_b32_e32 v1, vcc_hi, v0
	v_xor_b32_e32 v0, vcc_lo, v0
	v_and_b32_e32 v4, v4, v1
	v_and_b32_e32 v5, v5, v0
	v_lshlrev_b32_e32 v1, 29, v2
	v_mov_b32_e32 v0, v25
	v_cmp_gt_i64_e32 vcc, 0, v[0:1]
	v_not_b32_e32 v0, v1
	v_ashrrev_i32_e32 v0, 31, v0
	v_xor_b32_e32 v1, vcc_hi, v0
	v_xor_b32_e32 v0, vcc_lo, v0
	v_and_b32_e32 v4, v4, v1
	v_and_b32_e32 v5, v5, v0
	;; [unrolled: 9-line block ×7, first 2 shown]
	v_mbcnt_lo_u32_b32 v2, v0, 0
	v_mbcnt_hi_u32_b32 v4, v1, v2
	v_cmp_eq_u32_e32 vcc, 0, v4
	v_cmp_ne_u64_e64 s[26:27], 0, v[0:1]
	v_mov_b64_e32 v[26:27], v[8:9]
	v_mov_b64_e32 v[28:29], v[6:7]
	v_mov_b64_e32 v[18:19], v[42:43]
	v_mov_b64_e32 v[16:17], v[44:45]
	v_mov_b64_e32 v[14:15], v[46:47]
	v_mov_b64_e32 v[12:13], v[48:49]
	s_and_b64 s[40:41], s[26:27], vcc
	v_add_u32_e32 v5, v34, v3
	ds_write2_b64 v11, v[20:21], v[22:23] offset0:2 offset1:3
	s_waitcnt lgkmcnt(0)
	s_barrier
	; wave barrier
	s_and_saveexec_b64 s[26:27], s[40:41]
; %bb.21:                               ;   in Loop: Header=BB98_20 Depth=1
	v_bcnt_u32_b32 v0, v0, 0
	v_bcnt_u32_b32 v0, v1, v0
	ds_write_b32 v5, v0 offset:16
; %bb.22:                               ;   in Loop: Header=BB98_20 Depth=1
	s_or_b64 exec, exec, s[26:27]
	s_not_b32 s37, s37
	v_lshrrev_b64 v[0:1], s34, v[30:31]
	v_and_b32_e32 v2, s37, v0
	v_lshlrev_b32_e32 v0, 4, v2
	v_and_b32_e32 v24, 1, v2
	v_add_u32_e32 v7, v34, v0
	v_lshl_add_u64 v[0:1], v[24:25], 0, -1
	v_cmp_ne_u32_e32 vcc, 0, v24
	; wave barrier
	s_nop 1
	v_xor_b32_e32 v1, vcc_hi, v1
	v_xor_b32_e32 v0, vcc_lo, v0
	v_and_b32_e32 v3, exec_hi, v1
	v_and_b32_e32 v8, exec_lo, v0
	v_lshlrev_b32_e32 v1, 30, v2
	v_mov_b32_e32 v0, v25
	v_cmp_gt_i64_e32 vcc, 0, v[0:1]
	v_not_b32_e32 v0, v1
	v_ashrrev_i32_e32 v0, 31, v0
	v_xor_b32_e32 v1, vcc_hi, v0
	v_xor_b32_e32 v0, vcc_lo, v0
	v_and_b32_e32 v3, v3, v1
	v_and_b32_e32 v8, v8, v0
	v_lshlrev_b32_e32 v1, 29, v2
	v_mov_b32_e32 v0, v25
	v_cmp_gt_i64_e32 vcc, 0, v[0:1]
	v_not_b32_e32 v0, v1
	v_ashrrev_i32_e32 v0, 31, v0
	v_xor_b32_e32 v1, vcc_hi, v0
	v_xor_b32_e32 v0, vcc_lo, v0
	v_and_b32_e32 v3, v3, v1
	v_and_b32_e32 v8, v8, v0
	;; [unrolled: 9-line block ×6, first 2 shown]
	v_lshlrev_b32_e32 v1, 24, v2
	v_mov_b32_e32 v0, v25
	v_cmp_gt_i64_e32 vcc, 0, v[0:1]
	v_not_b32_e32 v0, v1
	v_ashrrev_i32_e32 v0, 31, v0
	v_xor_b32_e32 v1, vcc_hi, v0
	v_xor_b32_e32 v0, vcc_lo, v0
	ds_read_b32 v6, v7 offset:16
	v_and_b32_e32 v0, v8, v0
	v_and_b32_e32 v1, v3, v1
	v_mbcnt_lo_u32_b32 v2, v0, 0
	v_mbcnt_hi_u32_b32 v8, v1, v2
	v_cmp_eq_u32_e32 vcc, 0, v8
	v_cmp_ne_u64_e64 s[26:27], 0, v[0:1]
	s_and_b64 s[40:41], s[26:27], vcc
	; wave barrier
	s_and_saveexec_b64 s[26:27], s[40:41]
	s_cbranch_execz .LBB98_24
; %bb.23:                               ;   in Loop: Header=BB98_20 Depth=1
	v_bcnt_u32_b32 v0, v0, 0
	v_bcnt_u32_b32 v0, v1, v0
	s_waitcnt lgkmcnt(0)
	v_add_u32_e32 v0, v6, v0
	ds_write_b32 v7, v0 offset:16
.LBB98_24:                              ;   in Loop: Header=BB98_20 Depth=1
	s_or_b64 exec, exec, s[26:27]
	v_lshrrev_b64 v[0:1], s34, v[28:29]
	v_and_b32_e32 v2, s37, v0
	v_lshlrev_b32_e32 v0, 4, v2
	v_and_b32_e32 v24, 1, v2
	v_add_u32_e32 v40, v34, v0
	v_lshl_add_u64 v[0:1], v[24:25], 0, -1
	v_cmp_ne_u32_e32 vcc, 0, v24
	; wave barrier
	s_nop 1
	v_xor_b32_e32 v1, vcc_hi, v1
	v_xor_b32_e32 v0, vcc_lo, v0
	v_and_b32_e32 v3, exec_hi, v1
	v_and_b32_e32 v24, exec_lo, v0
	v_lshlrev_b32_e32 v1, 30, v2
	v_mov_b32_e32 v0, v25
	v_cmp_gt_i64_e32 vcc, 0, v[0:1]
	v_not_b32_e32 v0, v1
	v_ashrrev_i32_e32 v0, 31, v0
	v_xor_b32_e32 v1, vcc_hi, v0
	v_xor_b32_e32 v0, vcc_lo, v0
	v_and_b32_e32 v3, v3, v1
	v_and_b32_e32 v24, v24, v0
	v_lshlrev_b32_e32 v1, 29, v2
	v_mov_b32_e32 v0, v25
	v_cmp_gt_i64_e32 vcc, 0, v[0:1]
	v_not_b32_e32 v0, v1
	v_ashrrev_i32_e32 v0, 31, v0
	v_xor_b32_e32 v1, vcc_hi, v0
	v_xor_b32_e32 v0, vcc_lo, v0
	v_and_b32_e32 v3, v3, v1
	v_and_b32_e32 v24, v24, v0
	;; [unrolled: 9-line block ×6, first 2 shown]
	v_lshlrev_b32_e32 v1, 24, v2
	v_mov_b32_e32 v0, v25
	v_cmp_gt_i64_e32 vcc, 0, v[0:1]
	v_not_b32_e32 v0, v1
	v_ashrrev_i32_e32 v0, 31, v0
	v_xor_b32_e32 v1, vcc_hi, v0
	v_xor_b32_e32 v0, vcc_lo, v0
	ds_read_b32 v9, v40 offset:16
	v_and_b32_e32 v0, v24, v0
	v_and_b32_e32 v1, v3, v1
	v_mbcnt_lo_u32_b32 v2, v0, 0
	v_mbcnt_hi_u32_b32 v41, v1, v2
	v_cmp_eq_u32_e32 vcc, 0, v41
	v_cmp_ne_u64_e64 s[26:27], 0, v[0:1]
	s_and_b64 s[40:41], s[26:27], vcc
	; wave barrier
	s_and_saveexec_b64 s[26:27], s[40:41]
	s_cbranch_execz .LBB98_26
; %bb.25:                               ;   in Loop: Header=BB98_20 Depth=1
	v_bcnt_u32_b32 v0, v0, 0
	v_bcnt_u32_b32 v0, v1, v0
	s_waitcnt lgkmcnt(0)
	v_add_u32_e32 v0, v9, v0
	ds_write_b32 v40, v0 offset:16
.LBB98_26:                              ;   in Loop: Header=BB98_20 Depth=1
	s_or_b64 exec, exec, s[26:27]
	v_lshrrev_b64 v[0:1], s34, v[26:27]
	v_and_b32_e32 v2, s37, v0
	v_lshlrev_b32_e32 v0, 4, v2
	v_and_b32_e32 v24, 1, v2
	v_add_u32_e32 v43, v34, v0
	v_lshl_add_u64 v[0:1], v[24:25], 0, -1
	v_cmp_ne_u32_e32 vcc, 0, v24
	; wave barrier
	s_nop 1
	v_xor_b32_e32 v1, vcc_hi, v1
	v_xor_b32_e32 v0, vcc_lo, v0
	v_and_b32_e32 v3, exec_hi, v1
	v_and_b32_e32 v24, exec_lo, v0
	v_lshlrev_b32_e32 v1, 30, v2
	v_mov_b32_e32 v0, v25
	v_cmp_gt_i64_e32 vcc, 0, v[0:1]
	v_not_b32_e32 v0, v1
	v_ashrrev_i32_e32 v0, 31, v0
	v_xor_b32_e32 v1, vcc_hi, v0
	v_xor_b32_e32 v0, vcc_lo, v0
	v_and_b32_e32 v3, v3, v1
	v_and_b32_e32 v24, v24, v0
	v_lshlrev_b32_e32 v1, 29, v2
	v_mov_b32_e32 v0, v25
	v_cmp_gt_i64_e32 vcc, 0, v[0:1]
	v_not_b32_e32 v0, v1
	v_ashrrev_i32_e32 v0, 31, v0
	v_xor_b32_e32 v1, vcc_hi, v0
	v_xor_b32_e32 v0, vcc_lo, v0
	v_and_b32_e32 v3, v3, v1
	v_and_b32_e32 v24, v24, v0
	;; [unrolled: 9-line block ×6, first 2 shown]
	v_lshlrev_b32_e32 v1, 24, v2
	v_mov_b32_e32 v0, v25
	v_cmp_gt_i64_e32 vcc, 0, v[0:1]
	v_not_b32_e32 v0, v1
	v_ashrrev_i32_e32 v0, 31, v0
	v_xor_b32_e32 v1, vcc_hi, v0
	v_xor_b32_e32 v0, vcc_lo, v0
	ds_read_b32 v42, v43 offset:16
	v_and_b32_e32 v0, v24, v0
	v_and_b32_e32 v1, v3, v1
	v_mbcnt_lo_u32_b32 v2, v0, 0
	v_mbcnt_hi_u32_b32 v24, v1, v2
	v_cmp_eq_u32_e32 vcc, 0, v24
	v_cmp_ne_u64_e64 s[26:27], 0, v[0:1]
	s_and_b64 s[40:41], s[26:27], vcc
	; wave barrier
	s_and_saveexec_b64 s[26:27], s[40:41]
	s_cbranch_execz .LBB98_28
; %bb.27:                               ;   in Loop: Header=BB98_20 Depth=1
	v_bcnt_u32_b32 v0, v0, 0
	v_bcnt_u32_b32 v0, v1, v0
	s_waitcnt lgkmcnt(0)
	v_add_u32_e32 v0, v42, v0
	ds_write_b32 v43, v0 offset:16
.LBB98_28:                              ;   in Loop: Header=BB98_20 Depth=1
	s_or_b64 exec, exec, s[26:27]
	; wave barrier
	s_waitcnt lgkmcnt(0)
	s_barrier
	ds_read2_b64 v[0:3], v11 offset0:2 offset1:3
	s_waitcnt lgkmcnt(0)
	v_add_u32_e32 v44, v1, v0
	v_add3_u32 v3, v44, v2, v3
	s_nop 1
	v_mov_b32_dpp v44, v3 row_shr:1 row_mask:0xf bank_mask:0xf
	v_cndmask_b32_e64 v44, v44, 0, s[0:1]
	v_add_u32_e32 v3, v44, v3
	s_nop 1
	v_mov_b32_dpp v44, v3 row_shr:2 row_mask:0xf bank_mask:0xf
	v_cndmask_b32_e64 v44, 0, v44, s[2:3]
	v_add_u32_e32 v3, v3, v44
	;; [unrolled: 4-line block ×4, first 2 shown]
	s_nop 1
	v_mov_b32_dpp v44, v3 row_bcast:15 row_mask:0xf bank_mask:0xf
	v_cndmask_b32_e64 v44, v44, 0, s[8:9]
	v_add_u32_e32 v3, v3, v44
	s_nop 1
	v_mov_b32_dpp v44, v3 row_bcast:31 row_mask:0xf bank_mask:0xf
	v_cndmask_b32_e64 v44, 0, v44, s[10:11]
	v_add_u32_e32 v3, v3, v44
	s_and_saveexec_b64 s[26:27], s[12:13]
; %bb.29:                               ;   in Loop: Header=BB98_20 Depth=1
	ds_write_b32 v36, v3
; %bb.30:                               ;   in Loop: Header=BB98_20 Depth=1
	s_or_b64 exec, exec, s[26:27]
	s_waitcnt lgkmcnt(0)
	s_barrier
	s_and_saveexec_b64 s[26:27], s[14:15]
	s_cbranch_execz .LBB98_32
; %bb.31:                               ;   in Loop: Header=BB98_20 Depth=1
	ds_read_b32 v44, v39
	s_waitcnt lgkmcnt(0)
	s_nop 0
	v_mov_b32_dpp v45, v44 row_shr:1 row_mask:0xf bank_mask:0xf
	v_cndmask_b32_e64 v45, v45, 0, s[22:23]
	v_add_u32_e32 v44, v45, v44
	s_nop 1
	v_mov_b32_dpp v45, v44 row_shr:2 row_mask:0xf bank_mask:0xf
	v_cndmask_b32_e64 v45, 0, v45, s[24:25]
	v_add_u32_e32 v44, v44, v45
	ds_write_b32 v39, v44
.LBB98_32:                              ;   in Loop: Header=BB98_20 Depth=1
	s_or_b64 exec, exec, s[26:27]
	v_mov_b32_e32 v44, 0
	s_waitcnt lgkmcnt(0)
	s_barrier
	s_and_saveexec_b64 s[26:27], s[16:17]
; %bb.33:                               ;   in Loop: Header=BB98_20 Depth=1
	ds_read_b32 v44, v37
; %bb.34:                               ;   in Loop: Header=BB98_20 Depth=1
	s_or_b64 exec, exec, s[26:27]
	s_waitcnt lgkmcnt(0)
	v_add_u32_e32 v3, v44, v3
	ds_bpermute_b32 v3, v35, v3
	v_lshlrev_b32_e32 v4, 3, v4
	s_add_i32 s34, s34, 8
	s_cmp_ge_u32 s34, s36
	s_mov_b64 s[26:27], -1
	s_waitcnt lgkmcnt(0)
	v_cndmask_b32_e64 v3, v3, v44, s[18:19]
	v_cndmask_b32_e64 v44, v3, 0, s[20:21]
	v_add_u32_e32 v45, v44, v0
	v_add_u32_e32 v0, v45, v1
	;; [unrolled: 1-line block ×3, first 2 shown]
	ds_write2_b64 v11, v[44:45], v[0:1] offset0:2 offset1:3
	s_waitcnt lgkmcnt(0)
	s_barrier
	ds_read_b32 v0, v5 offset:16
	ds_read_b32 v1, v7 offset:16
	;; [unrolled: 1-line block ×4, first 2 shown]
	v_lshlrev_b32_e32 v5, 3, v6
	s_waitcnt lgkmcnt(3)
	v_lshl_add_u32 v0, v0, 3, v4
	v_lshlrev_b32_e32 v4, 3, v8
	s_waitcnt lgkmcnt(2)
	v_lshlrev_b32_e32 v1, 3, v1
	v_add3_u32 v1, v4, v5, v1
	v_lshlrev_b32_e32 v4, 3, v41
	v_lshlrev_b32_e32 v5, 3, v9
	s_waitcnt lgkmcnt(1)
	v_lshlrev_b32_e32 v2, 3, v2
	v_add3_u32 v40, v4, v5, v2
	v_lshlrev_b32_e32 v2, 3, v24
	v_lshlrev_b32_e32 v4, 3, v42
	s_waitcnt lgkmcnt(0)
	v_lshlrev_b32_e32 v3, 3, v3
	v_add3_u32 v24, v2, v4, v3
                                        ; implicit-def: $vgpr8_vgpr9
                                        ; implicit-def: $vgpr4_vgpr5
                                        ; implicit-def: $vgpr42_vgpr43
                                        ; implicit-def: $vgpr46_vgpr47
	s_cbranch_scc1 .LBB98_19
; %bb.35:                               ;   in Loop: Header=BB98_20 Depth=1
	s_barrier
	ds_write_b64 v0, v[32:33]
	ds_write_b64 v1, v[30:31]
	;; [unrolled: 1-line block ×4, first 2 shown]
	s_waitcnt lgkmcnt(0)
	s_barrier
	ds_read2st64_b64 v[2:5], v38 offset1:1
	ds_read2st64_b64 v[6:9], v38 offset0:2 offset1:3
	s_waitcnt lgkmcnt(0)
	s_barrier
	ds_write_b64 v0, v[18:19]
	ds_write_b64 v1, v[16:17]
	;; [unrolled: 1-line block ×4, first 2 shown]
	s_waitcnt lgkmcnt(0)
	s_barrier
	ds_read2st64_b64 v[42:45], v38 offset1:1
	ds_read2st64_b64 v[46:49], v38 offset0:2 offset1:3
	s_add_i32 s35, s35, -8
	s_mov_b64 s[26:27], 0
	s_waitcnt lgkmcnt(0)
	s_barrier
	s_branch .LBB98_19
.LBB98_36:
	v_lshlrev_b32_e32 v8, 3, v10
	s_barrier
	ds_write_b64 v0, v[32:33]
	ds_write_b64 v1, v[30:31]
	;; [unrolled: 1-line block ×4, first 2 shown]
	s_waitcnt lgkmcnt(0)
	s_barrier
	ds_read2st64_b64 v[20:23], v8 offset1:4
	ds_read2st64_b64 v[26:29], v8 offset0:8 offset1:12
	s_waitcnt lgkmcnt(0)
	s_barrier
	ds_write_b64 v0, v[18:19]
	ds_write_b64 v1, v[16:17]
	;; [unrolled: 1-line block ×4, first 2 shown]
	s_waitcnt lgkmcnt(0)
	s_barrier
	ds_read2st64_b64 v[4:7], v8 offset1:4
	ds_read2st64_b64 v[0:3], v8 offset0:8 offset1:12
	s_add_u32 s0, s38, s28
	s_addc_u32 s1, s39, s29
	v_mov_b32_e32 v9, 0
	v_xor_b32_e32 v21, 0x7fffffff, v21
	v_xor_b32_e32 v20, -1, v20
	v_xor_b32_e32 v19, 0x7fffffff, v23
	v_xor_b32_e32 v18, -1, v22
	v_xor_b32_e32 v15, 0x7fffffff, v27
	v_xor_b32_e32 v14, -1, v26
	v_xor_b32_e32 v13, 0x7fffffff, v29
	v_xor_b32_e32 v12, -1, v28
	s_andn2_b64 vcc, exec, s[30:31]
	v_lshl_add_u64 v[16:17], s[0:1], 0, v[8:9]
	s_cbranch_vccnz .LBB98_38
; %bb.37:
	v_add_co_u32_e32 v22, vcc, 0x1000, v16
	s_add_u32 s0, s42, s28
	s_nop 0
	v_addc_co_u32_e32 v23, vcc, 0, v17, vcc
	s_addc_u32 s1, s43, s29
	global_store_dwordx2 v[16:17], v[20:21], off
	global_store_dwordx2 v[16:17], v[18:19], off offset:2048
	global_store_dwordx2 v[22:23], v[14:15], off
	global_store_dwordx2 v[22:23], v[12:13], off offset:2048
	v_lshl_add_u64 v[22:23], s[0:1], 0, v[8:9]
	v_add_co_u32_e32 v22, vcc, 0x1000, v22
	s_waitcnt lgkmcnt(1)
	global_store_dwordx2 v8, v[4:5], s[0:1]
	global_store_dwordx2 v8, v[6:7], s[0:1] offset:2048
	v_addc_co_u32_e32 v23, vcc, 0, v23, vcc
	s_mov_b64 s[6:7], -1
	s_waitcnt lgkmcnt(0)
	global_store_dwordx2 v[22:23], v[0:1], off
	s_cbranch_execz .LBB98_39
	s_branch .LBB98_52
.LBB98_38:
	s_mov_b64 s[6:7], 0
.LBB98_39:
	v_cmp_gt_u32_e64 s[0:1], s33, v10
	s_and_saveexec_b64 s[2:3], s[0:1]
	s_cbranch_execz .LBB98_41
; %bb.40:
	global_store_dwordx2 v[16:17], v[20:21], off
.LBB98_41:
	s_or_b64 exec, exec, s[2:3]
	v_add_u32_e32 v9, 0x100, v10
	v_cmp_gt_u32_e64 s[2:3], s33, v9
	s_and_saveexec_b64 s[4:5], s[2:3]
	s_cbranch_execz .LBB98_43
; %bb.42:
	global_store_dwordx2 v[16:17], v[18:19], off offset:2048
.LBB98_43:
	s_or_b64 exec, exec, s[4:5]
	v_add_u32_e32 v9, 0x200, v10
	v_cmp_gt_u32_e64 s[4:5], s33, v9
	s_and_saveexec_b64 s[6:7], s[4:5]
	s_cbranch_execz .LBB98_45
; %bb.44:
	v_add_co_u32_e32 v18, vcc, 0x1000, v16
	s_nop 1
	v_addc_co_u32_e32 v19, vcc, 0, v17, vcc
	global_store_dwordx2 v[18:19], v[14:15], off
.LBB98_45:
	s_or_b64 exec, exec, s[6:7]
	v_add_u32_e32 v9, 0x300, v10
	v_cmp_gt_u32_e64 s[6:7], s33, v9
	s_and_saveexec_b64 s[8:9], s[6:7]
	s_cbranch_execz .LBB98_47
; %bb.46:
	v_add_co_u32_e32 v10, vcc, 0x1000, v16
	s_nop 1
	v_addc_co_u32_e32 v11, vcc, 0, v17, vcc
	global_store_dwordx2 v[10:11], v[12:13], off offset:2048
.LBB98_47:
	s_or_b64 exec, exec, s[8:9]
	s_add_u32 s8, s42, s28
	s_addc_u32 s9, s43, s29
	v_mov_b32_e32 v9, 0
	v_lshl_add_u64 v[10:11], s[8:9], 0, v[8:9]
	s_and_saveexec_b64 s[8:9], s[0:1]
	s_cbranch_execnz .LBB98_57
; %bb.48:
	s_or_b64 exec, exec, s[8:9]
	s_and_saveexec_b64 s[0:1], s[2:3]
	s_cbranch_execnz .LBB98_58
.LBB98_49:
	s_or_b64 exec, exec, s[0:1]
	s_and_saveexec_b64 s[0:1], s[4:5]
	s_cbranch_execz .LBB98_51
.LBB98_50:
	s_waitcnt lgkmcnt(1)
	v_add_co_u32_e32 v4, vcc, 0x1000, v10
	s_nop 1
	v_addc_co_u32_e32 v5, vcc, 0, v11, vcc
	s_waitcnt lgkmcnt(0)
	global_store_dwordx2 v[4:5], v[0:1], off
.LBB98_51:
	s_or_b64 exec, exec, s[0:1]
.LBB98_52:
	s_and_saveexec_b64 s[0:1], s[6:7]
	s_cbranch_execnz .LBB98_54
; %bb.53:
	s_endpgm
.LBB98_54:
	s_add_u32 s0, s42, s28
	s_addc_u32 s1, s43, s29
	v_mov_b32_e32 v9, 0
	s_waitcnt lgkmcnt(0)
	v_lshl_add_u64 v[0:1], s[0:1], 0, v[8:9]
	v_add_co_u32_e32 v0, vcc, 0x1000, v0
	s_nop 1
	v_addc_co_u32_e32 v1, vcc, 0, v1, vcc
	global_store_dwordx2 v[0:1], v[2:3], off offset:2048
	s_endpgm
.LBB98_55:
	global_load_dwordx2 v[42:43], v[16:17], off
	s_or_b64 exec, exec, s[8:9]
	s_and_saveexec_b64 s[8:9], s[2:3]
	s_cbranch_execz .LBB98_13
.LBB98_56:
	global_load_dwordx2 v[44:45], v[16:17], off offset:512
	s_or_b64 exec, exec, s[8:9]
                                        ; implicit-def: $vgpr46_vgpr47
	s_and_saveexec_b64 s[2:3], s[4:5]
	s_cbranch_execnz .LBB98_14
	s_branch .LBB98_15
.LBB98_57:
	s_waitcnt lgkmcnt(1)
	global_store_dwordx2 v[10:11], v[4:5], off
	s_or_b64 exec, exec, s[8:9]
	s_and_saveexec_b64 s[0:1], s[2:3]
	s_cbranch_execz .LBB98_49
.LBB98_58:
	s_waitcnt lgkmcnt(1)
	global_store_dwordx2 v[10:11], v[6:7], off offset:2048
	s_or_b64 exec, exec, s[0:1]
	s_and_saveexec_b64 s[0:1], s[4:5]
	s_cbranch_execnz .LBB98_50
	s_branch .LBB98_51
	.section	.rodata,"a",@progbits
	.p2align	6, 0x0
	.amdhsa_kernel _ZN7rocprim17ROCPRIM_304000_NS6detail28radix_sort_block_sort_kernelINS1_36wrapped_radix_sort_block_sort_configINS0_13kernel_configILj256ELj4ELj4294967295EEElN2at4cuda3cub6detail10OpaqueTypeILi8EEEEELb1EPKlPlPKSB_PSB_NS0_19identity_decomposerEEEvT1_T2_T3_T4_jT5_jj
		.amdhsa_group_segment_fixed_size 8192
		.amdhsa_private_segment_fixed_size 0
		.amdhsa_kernarg_size 304
		.amdhsa_user_sgpr_count 2
		.amdhsa_user_sgpr_dispatch_ptr 0
		.amdhsa_user_sgpr_queue_ptr 0
		.amdhsa_user_sgpr_kernarg_segment_ptr 1
		.amdhsa_user_sgpr_dispatch_id 0
		.amdhsa_user_sgpr_kernarg_preload_length 0
		.amdhsa_user_sgpr_kernarg_preload_offset 0
		.amdhsa_user_sgpr_private_segment_size 0
		.amdhsa_uses_dynamic_stack 0
		.amdhsa_enable_private_segment 0
		.amdhsa_system_sgpr_workgroup_id_x 1
		.amdhsa_system_sgpr_workgroup_id_y 0
		.amdhsa_system_sgpr_workgroup_id_z 0
		.amdhsa_system_sgpr_workgroup_info 0
		.amdhsa_system_vgpr_workitem_id 2
		.amdhsa_next_free_vgpr 50
		.amdhsa_next_free_sgpr 44
		.amdhsa_accum_offset 52
		.amdhsa_reserve_vcc 1
		.amdhsa_float_round_mode_32 0
		.amdhsa_float_round_mode_16_64 0
		.amdhsa_float_denorm_mode_32 3
		.amdhsa_float_denorm_mode_16_64 3
		.amdhsa_dx10_clamp 1
		.amdhsa_ieee_mode 1
		.amdhsa_fp16_overflow 0
		.amdhsa_tg_split 0
		.amdhsa_exception_fp_ieee_invalid_op 0
		.amdhsa_exception_fp_denorm_src 0
		.amdhsa_exception_fp_ieee_div_zero 0
		.amdhsa_exception_fp_ieee_overflow 0
		.amdhsa_exception_fp_ieee_underflow 0
		.amdhsa_exception_fp_ieee_inexact 0
		.amdhsa_exception_int_div_zero 0
	.end_amdhsa_kernel
	.section	.text._ZN7rocprim17ROCPRIM_304000_NS6detail28radix_sort_block_sort_kernelINS1_36wrapped_radix_sort_block_sort_configINS0_13kernel_configILj256ELj4ELj4294967295EEElN2at4cuda3cub6detail10OpaqueTypeILi8EEEEELb1EPKlPlPKSB_PSB_NS0_19identity_decomposerEEEvT1_T2_T3_T4_jT5_jj,"axG",@progbits,_ZN7rocprim17ROCPRIM_304000_NS6detail28radix_sort_block_sort_kernelINS1_36wrapped_radix_sort_block_sort_configINS0_13kernel_configILj256ELj4ELj4294967295EEElN2at4cuda3cub6detail10OpaqueTypeILi8EEEEELb1EPKlPlPKSB_PSB_NS0_19identity_decomposerEEEvT1_T2_T3_T4_jT5_jj,comdat
.Lfunc_end98:
	.size	_ZN7rocprim17ROCPRIM_304000_NS6detail28radix_sort_block_sort_kernelINS1_36wrapped_radix_sort_block_sort_configINS0_13kernel_configILj256ELj4ELj4294967295EEElN2at4cuda3cub6detail10OpaqueTypeILi8EEEEELb1EPKlPlPKSB_PSB_NS0_19identity_decomposerEEEvT1_T2_T3_T4_jT5_jj, .Lfunc_end98-_ZN7rocprim17ROCPRIM_304000_NS6detail28radix_sort_block_sort_kernelINS1_36wrapped_radix_sort_block_sort_configINS0_13kernel_configILj256ELj4ELj4294967295EEElN2at4cuda3cub6detail10OpaqueTypeILi8EEEEELb1EPKlPlPKSB_PSB_NS0_19identity_decomposerEEEvT1_T2_T3_T4_jT5_jj
                                        ; -- End function
	.set _ZN7rocprim17ROCPRIM_304000_NS6detail28radix_sort_block_sort_kernelINS1_36wrapped_radix_sort_block_sort_configINS0_13kernel_configILj256ELj4ELj4294967295EEElN2at4cuda3cub6detail10OpaqueTypeILi8EEEEELb1EPKlPlPKSB_PSB_NS0_19identity_decomposerEEEvT1_T2_T3_T4_jT5_jj.num_vgpr, 50
	.set _ZN7rocprim17ROCPRIM_304000_NS6detail28radix_sort_block_sort_kernelINS1_36wrapped_radix_sort_block_sort_configINS0_13kernel_configILj256ELj4ELj4294967295EEElN2at4cuda3cub6detail10OpaqueTypeILi8EEEEELb1EPKlPlPKSB_PSB_NS0_19identity_decomposerEEEvT1_T2_T3_T4_jT5_jj.num_agpr, 0
	.set _ZN7rocprim17ROCPRIM_304000_NS6detail28radix_sort_block_sort_kernelINS1_36wrapped_radix_sort_block_sort_configINS0_13kernel_configILj256ELj4ELj4294967295EEElN2at4cuda3cub6detail10OpaqueTypeILi8EEEEELb1EPKlPlPKSB_PSB_NS0_19identity_decomposerEEEvT1_T2_T3_T4_jT5_jj.numbered_sgpr, 44
	.set _ZN7rocprim17ROCPRIM_304000_NS6detail28radix_sort_block_sort_kernelINS1_36wrapped_radix_sort_block_sort_configINS0_13kernel_configILj256ELj4ELj4294967295EEElN2at4cuda3cub6detail10OpaqueTypeILi8EEEEELb1EPKlPlPKSB_PSB_NS0_19identity_decomposerEEEvT1_T2_T3_T4_jT5_jj.num_named_barrier, 0
	.set _ZN7rocprim17ROCPRIM_304000_NS6detail28radix_sort_block_sort_kernelINS1_36wrapped_radix_sort_block_sort_configINS0_13kernel_configILj256ELj4ELj4294967295EEElN2at4cuda3cub6detail10OpaqueTypeILi8EEEEELb1EPKlPlPKSB_PSB_NS0_19identity_decomposerEEEvT1_T2_T3_T4_jT5_jj.private_seg_size, 0
	.set _ZN7rocprim17ROCPRIM_304000_NS6detail28radix_sort_block_sort_kernelINS1_36wrapped_radix_sort_block_sort_configINS0_13kernel_configILj256ELj4ELj4294967295EEElN2at4cuda3cub6detail10OpaqueTypeILi8EEEEELb1EPKlPlPKSB_PSB_NS0_19identity_decomposerEEEvT1_T2_T3_T4_jT5_jj.uses_vcc, 1
	.set _ZN7rocprim17ROCPRIM_304000_NS6detail28radix_sort_block_sort_kernelINS1_36wrapped_radix_sort_block_sort_configINS0_13kernel_configILj256ELj4ELj4294967295EEElN2at4cuda3cub6detail10OpaqueTypeILi8EEEEELb1EPKlPlPKSB_PSB_NS0_19identity_decomposerEEEvT1_T2_T3_T4_jT5_jj.uses_flat_scratch, 0
	.set _ZN7rocprim17ROCPRIM_304000_NS6detail28radix_sort_block_sort_kernelINS1_36wrapped_radix_sort_block_sort_configINS0_13kernel_configILj256ELj4ELj4294967295EEElN2at4cuda3cub6detail10OpaqueTypeILi8EEEEELb1EPKlPlPKSB_PSB_NS0_19identity_decomposerEEEvT1_T2_T3_T4_jT5_jj.has_dyn_sized_stack, 0
	.set _ZN7rocprim17ROCPRIM_304000_NS6detail28radix_sort_block_sort_kernelINS1_36wrapped_radix_sort_block_sort_configINS0_13kernel_configILj256ELj4ELj4294967295EEElN2at4cuda3cub6detail10OpaqueTypeILi8EEEEELb1EPKlPlPKSB_PSB_NS0_19identity_decomposerEEEvT1_T2_T3_T4_jT5_jj.has_recursion, 0
	.set _ZN7rocprim17ROCPRIM_304000_NS6detail28radix_sort_block_sort_kernelINS1_36wrapped_radix_sort_block_sort_configINS0_13kernel_configILj256ELj4ELj4294967295EEElN2at4cuda3cub6detail10OpaqueTypeILi8EEEEELb1EPKlPlPKSB_PSB_NS0_19identity_decomposerEEEvT1_T2_T3_T4_jT5_jj.has_indirect_call, 0
	.section	.AMDGPU.csdata,"",@progbits
; Kernel info:
; codeLenInByte = 3948
; TotalNumSgprs: 50
; NumVgprs: 50
; NumAgprs: 0
; TotalNumVgprs: 50
; ScratchSize: 0
; MemoryBound: 1
; FloatMode: 240
; IeeeMode: 1
; LDSByteSize: 8192 bytes/workgroup (compile time only)
; SGPRBlocks: 6
; VGPRBlocks: 6
; NumSGPRsForWavesPerEU: 50
; NumVGPRsForWavesPerEU: 50
; AccumOffset: 52
; Occupancy: 8
; WaveLimiterHint : 1
; COMPUTE_PGM_RSRC2:SCRATCH_EN: 0
; COMPUTE_PGM_RSRC2:USER_SGPR: 2
; COMPUTE_PGM_RSRC2:TRAP_HANDLER: 0
; COMPUTE_PGM_RSRC2:TGID_X_EN: 1
; COMPUTE_PGM_RSRC2:TGID_Y_EN: 0
; COMPUTE_PGM_RSRC2:TGID_Z_EN: 0
; COMPUTE_PGM_RSRC2:TIDIG_COMP_CNT: 2
; COMPUTE_PGM_RSRC3_GFX90A:ACCUM_OFFSET: 12
; COMPUTE_PGM_RSRC3_GFX90A:TG_SPLIT: 0
	.section	.text._ZN7rocprim17ROCPRIM_304000_NS6detail39device_merge_sort_compile_time_verifierINS1_36wrapped_merge_sort_block_sort_configINS1_28merge_sort_block_sort_configILj256ELj4ELNS0_20block_sort_algorithmE0EEElN2at4cuda3cub6detail10OpaqueTypeILi8EEEEENS1_37wrapped_merge_sort_block_merge_configINS0_14default_configElSC_EEEEvv,"axG",@progbits,_ZN7rocprim17ROCPRIM_304000_NS6detail39device_merge_sort_compile_time_verifierINS1_36wrapped_merge_sort_block_sort_configINS1_28merge_sort_block_sort_configILj256ELj4ELNS0_20block_sort_algorithmE0EEElN2at4cuda3cub6detail10OpaqueTypeILi8EEEEENS1_37wrapped_merge_sort_block_merge_configINS0_14default_configElSC_EEEEvv,comdat
	.protected	_ZN7rocprim17ROCPRIM_304000_NS6detail39device_merge_sort_compile_time_verifierINS1_36wrapped_merge_sort_block_sort_configINS1_28merge_sort_block_sort_configILj256ELj4ELNS0_20block_sort_algorithmE0EEElN2at4cuda3cub6detail10OpaqueTypeILi8EEEEENS1_37wrapped_merge_sort_block_merge_configINS0_14default_configElSC_EEEEvv ; -- Begin function _ZN7rocprim17ROCPRIM_304000_NS6detail39device_merge_sort_compile_time_verifierINS1_36wrapped_merge_sort_block_sort_configINS1_28merge_sort_block_sort_configILj256ELj4ELNS0_20block_sort_algorithmE0EEElN2at4cuda3cub6detail10OpaqueTypeILi8EEEEENS1_37wrapped_merge_sort_block_merge_configINS0_14default_configElSC_EEEEvv
	.globl	_ZN7rocprim17ROCPRIM_304000_NS6detail39device_merge_sort_compile_time_verifierINS1_36wrapped_merge_sort_block_sort_configINS1_28merge_sort_block_sort_configILj256ELj4ELNS0_20block_sort_algorithmE0EEElN2at4cuda3cub6detail10OpaqueTypeILi8EEEEENS1_37wrapped_merge_sort_block_merge_configINS0_14default_configElSC_EEEEvv
	.p2align	8
	.type	_ZN7rocprim17ROCPRIM_304000_NS6detail39device_merge_sort_compile_time_verifierINS1_36wrapped_merge_sort_block_sort_configINS1_28merge_sort_block_sort_configILj256ELj4ELNS0_20block_sort_algorithmE0EEElN2at4cuda3cub6detail10OpaqueTypeILi8EEEEENS1_37wrapped_merge_sort_block_merge_configINS0_14default_configElSC_EEEEvv,@function
_ZN7rocprim17ROCPRIM_304000_NS6detail39device_merge_sort_compile_time_verifierINS1_36wrapped_merge_sort_block_sort_configINS1_28merge_sort_block_sort_configILj256ELj4ELNS0_20block_sort_algorithmE0EEElN2at4cuda3cub6detail10OpaqueTypeILi8EEEEENS1_37wrapped_merge_sort_block_merge_configINS0_14default_configElSC_EEEEvv: ; @_ZN7rocprim17ROCPRIM_304000_NS6detail39device_merge_sort_compile_time_verifierINS1_36wrapped_merge_sort_block_sort_configINS1_28merge_sort_block_sort_configILj256ELj4ELNS0_20block_sort_algorithmE0EEElN2at4cuda3cub6detail10OpaqueTypeILi8EEEEENS1_37wrapped_merge_sort_block_merge_configINS0_14default_configElSC_EEEEvv
; %bb.0:
	s_endpgm
	.section	.rodata,"a",@progbits
	.p2align	6, 0x0
	.amdhsa_kernel _ZN7rocprim17ROCPRIM_304000_NS6detail39device_merge_sort_compile_time_verifierINS1_36wrapped_merge_sort_block_sort_configINS1_28merge_sort_block_sort_configILj256ELj4ELNS0_20block_sort_algorithmE0EEElN2at4cuda3cub6detail10OpaqueTypeILi8EEEEENS1_37wrapped_merge_sort_block_merge_configINS0_14default_configElSC_EEEEvv
		.amdhsa_group_segment_fixed_size 0
		.amdhsa_private_segment_fixed_size 0
		.amdhsa_kernarg_size 0
		.amdhsa_user_sgpr_count 0
		.amdhsa_user_sgpr_dispatch_ptr 0
		.amdhsa_user_sgpr_queue_ptr 0
		.amdhsa_user_sgpr_kernarg_segment_ptr 0
		.amdhsa_user_sgpr_dispatch_id 0
		.amdhsa_user_sgpr_kernarg_preload_length 0
		.amdhsa_user_sgpr_kernarg_preload_offset 0
		.amdhsa_user_sgpr_private_segment_size 0
		.amdhsa_uses_dynamic_stack 0
		.amdhsa_enable_private_segment 0
		.amdhsa_system_sgpr_workgroup_id_x 1
		.amdhsa_system_sgpr_workgroup_id_y 0
		.amdhsa_system_sgpr_workgroup_id_z 0
		.amdhsa_system_sgpr_workgroup_info 0
		.amdhsa_system_vgpr_workitem_id 0
		.amdhsa_next_free_vgpr 1
		.amdhsa_next_free_sgpr 0
		.amdhsa_accum_offset 4
		.amdhsa_reserve_vcc 0
		.amdhsa_float_round_mode_32 0
		.amdhsa_float_round_mode_16_64 0
		.amdhsa_float_denorm_mode_32 3
		.amdhsa_float_denorm_mode_16_64 3
		.amdhsa_dx10_clamp 1
		.amdhsa_ieee_mode 1
		.amdhsa_fp16_overflow 0
		.amdhsa_tg_split 0
		.amdhsa_exception_fp_ieee_invalid_op 0
		.amdhsa_exception_fp_denorm_src 0
		.amdhsa_exception_fp_ieee_div_zero 0
		.amdhsa_exception_fp_ieee_overflow 0
		.amdhsa_exception_fp_ieee_underflow 0
		.amdhsa_exception_fp_ieee_inexact 0
		.amdhsa_exception_int_div_zero 0
	.end_amdhsa_kernel
	.section	.text._ZN7rocprim17ROCPRIM_304000_NS6detail39device_merge_sort_compile_time_verifierINS1_36wrapped_merge_sort_block_sort_configINS1_28merge_sort_block_sort_configILj256ELj4ELNS0_20block_sort_algorithmE0EEElN2at4cuda3cub6detail10OpaqueTypeILi8EEEEENS1_37wrapped_merge_sort_block_merge_configINS0_14default_configElSC_EEEEvv,"axG",@progbits,_ZN7rocprim17ROCPRIM_304000_NS6detail39device_merge_sort_compile_time_verifierINS1_36wrapped_merge_sort_block_sort_configINS1_28merge_sort_block_sort_configILj256ELj4ELNS0_20block_sort_algorithmE0EEElN2at4cuda3cub6detail10OpaqueTypeILi8EEEEENS1_37wrapped_merge_sort_block_merge_configINS0_14default_configElSC_EEEEvv,comdat
.Lfunc_end99:
	.size	_ZN7rocprim17ROCPRIM_304000_NS6detail39device_merge_sort_compile_time_verifierINS1_36wrapped_merge_sort_block_sort_configINS1_28merge_sort_block_sort_configILj256ELj4ELNS0_20block_sort_algorithmE0EEElN2at4cuda3cub6detail10OpaqueTypeILi8EEEEENS1_37wrapped_merge_sort_block_merge_configINS0_14default_configElSC_EEEEvv, .Lfunc_end99-_ZN7rocprim17ROCPRIM_304000_NS6detail39device_merge_sort_compile_time_verifierINS1_36wrapped_merge_sort_block_sort_configINS1_28merge_sort_block_sort_configILj256ELj4ELNS0_20block_sort_algorithmE0EEElN2at4cuda3cub6detail10OpaqueTypeILi8EEEEENS1_37wrapped_merge_sort_block_merge_configINS0_14default_configElSC_EEEEvv
                                        ; -- End function
	.set _ZN7rocprim17ROCPRIM_304000_NS6detail39device_merge_sort_compile_time_verifierINS1_36wrapped_merge_sort_block_sort_configINS1_28merge_sort_block_sort_configILj256ELj4ELNS0_20block_sort_algorithmE0EEElN2at4cuda3cub6detail10OpaqueTypeILi8EEEEENS1_37wrapped_merge_sort_block_merge_configINS0_14default_configElSC_EEEEvv.num_vgpr, 0
	.set _ZN7rocprim17ROCPRIM_304000_NS6detail39device_merge_sort_compile_time_verifierINS1_36wrapped_merge_sort_block_sort_configINS1_28merge_sort_block_sort_configILj256ELj4ELNS0_20block_sort_algorithmE0EEElN2at4cuda3cub6detail10OpaqueTypeILi8EEEEENS1_37wrapped_merge_sort_block_merge_configINS0_14default_configElSC_EEEEvv.num_agpr, 0
	.set _ZN7rocprim17ROCPRIM_304000_NS6detail39device_merge_sort_compile_time_verifierINS1_36wrapped_merge_sort_block_sort_configINS1_28merge_sort_block_sort_configILj256ELj4ELNS0_20block_sort_algorithmE0EEElN2at4cuda3cub6detail10OpaqueTypeILi8EEEEENS1_37wrapped_merge_sort_block_merge_configINS0_14default_configElSC_EEEEvv.numbered_sgpr, 0
	.set _ZN7rocprim17ROCPRIM_304000_NS6detail39device_merge_sort_compile_time_verifierINS1_36wrapped_merge_sort_block_sort_configINS1_28merge_sort_block_sort_configILj256ELj4ELNS0_20block_sort_algorithmE0EEElN2at4cuda3cub6detail10OpaqueTypeILi8EEEEENS1_37wrapped_merge_sort_block_merge_configINS0_14default_configElSC_EEEEvv.num_named_barrier, 0
	.set _ZN7rocprim17ROCPRIM_304000_NS6detail39device_merge_sort_compile_time_verifierINS1_36wrapped_merge_sort_block_sort_configINS1_28merge_sort_block_sort_configILj256ELj4ELNS0_20block_sort_algorithmE0EEElN2at4cuda3cub6detail10OpaqueTypeILi8EEEEENS1_37wrapped_merge_sort_block_merge_configINS0_14default_configElSC_EEEEvv.private_seg_size, 0
	.set _ZN7rocprim17ROCPRIM_304000_NS6detail39device_merge_sort_compile_time_verifierINS1_36wrapped_merge_sort_block_sort_configINS1_28merge_sort_block_sort_configILj256ELj4ELNS0_20block_sort_algorithmE0EEElN2at4cuda3cub6detail10OpaqueTypeILi8EEEEENS1_37wrapped_merge_sort_block_merge_configINS0_14default_configElSC_EEEEvv.uses_vcc, 0
	.set _ZN7rocprim17ROCPRIM_304000_NS6detail39device_merge_sort_compile_time_verifierINS1_36wrapped_merge_sort_block_sort_configINS1_28merge_sort_block_sort_configILj256ELj4ELNS0_20block_sort_algorithmE0EEElN2at4cuda3cub6detail10OpaqueTypeILi8EEEEENS1_37wrapped_merge_sort_block_merge_configINS0_14default_configElSC_EEEEvv.uses_flat_scratch, 0
	.set _ZN7rocprim17ROCPRIM_304000_NS6detail39device_merge_sort_compile_time_verifierINS1_36wrapped_merge_sort_block_sort_configINS1_28merge_sort_block_sort_configILj256ELj4ELNS0_20block_sort_algorithmE0EEElN2at4cuda3cub6detail10OpaqueTypeILi8EEEEENS1_37wrapped_merge_sort_block_merge_configINS0_14default_configElSC_EEEEvv.has_dyn_sized_stack, 0
	.set _ZN7rocprim17ROCPRIM_304000_NS6detail39device_merge_sort_compile_time_verifierINS1_36wrapped_merge_sort_block_sort_configINS1_28merge_sort_block_sort_configILj256ELj4ELNS0_20block_sort_algorithmE0EEElN2at4cuda3cub6detail10OpaqueTypeILi8EEEEENS1_37wrapped_merge_sort_block_merge_configINS0_14default_configElSC_EEEEvv.has_recursion, 0
	.set _ZN7rocprim17ROCPRIM_304000_NS6detail39device_merge_sort_compile_time_verifierINS1_36wrapped_merge_sort_block_sort_configINS1_28merge_sort_block_sort_configILj256ELj4ELNS0_20block_sort_algorithmE0EEElN2at4cuda3cub6detail10OpaqueTypeILi8EEEEENS1_37wrapped_merge_sort_block_merge_configINS0_14default_configElSC_EEEEvv.has_indirect_call, 0
	.section	.AMDGPU.csdata,"",@progbits
; Kernel info:
; codeLenInByte = 4
; TotalNumSgprs: 6
; NumVgprs: 0
; NumAgprs: 0
; TotalNumVgprs: 0
; ScratchSize: 0
; MemoryBound: 0
; FloatMode: 240
; IeeeMode: 1
; LDSByteSize: 0 bytes/workgroup (compile time only)
; SGPRBlocks: 0
; VGPRBlocks: 0
; NumSGPRsForWavesPerEU: 6
; NumVGPRsForWavesPerEU: 1
; AccumOffset: 4
; Occupancy: 8
; WaveLimiterHint : 0
; COMPUTE_PGM_RSRC2:SCRATCH_EN: 0
; COMPUTE_PGM_RSRC2:USER_SGPR: 0
; COMPUTE_PGM_RSRC2:TRAP_HANDLER: 0
; COMPUTE_PGM_RSRC2:TGID_X_EN: 1
; COMPUTE_PGM_RSRC2:TGID_Y_EN: 0
; COMPUTE_PGM_RSRC2:TGID_Z_EN: 0
; COMPUTE_PGM_RSRC2:TIDIG_COMP_CNT: 0
; COMPUTE_PGM_RSRC3_GFX90A:ACCUM_OFFSET: 0
; COMPUTE_PGM_RSRC3_GFX90A:TG_SPLIT: 0
	.section	.text._ZN7rocprim17ROCPRIM_304000_NS6detail45device_block_merge_mergepath_partition_kernelINS1_37wrapped_merge_sort_block_merge_configINS0_14default_configElN2at4cuda3cub6detail10OpaqueTypeILi8EEEEEPljNS1_19radix_merge_compareILb1ELb0ElNS0_19identity_decomposerEEEEEvT0_T1_jPSH_T2_SH_,"axG",@progbits,_ZN7rocprim17ROCPRIM_304000_NS6detail45device_block_merge_mergepath_partition_kernelINS1_37wrapped_merge_sort_block_merge_configINS0_14default_configElN2at4cuda3cub6detail10OpaqueTypeILi8EEEEEPljNS1_19radix_merge_compareILb1ELb0ElNS0_19identity_decomposerEEEEEvT0_T1_jPSH_T2_SH_,comdat
	.protected	_ZN7rocprim17ROCPRIM_304000_NS6detail45device_block_merge_mergepath_partition_kernelINS1_37wrapped_merge_sort_block_merge_configINS0_14default_configElN2at4cuda3cub6detail10OpaqueTypeILi8EEEEEPljNS1_19radix_merge_compareILb1ELb0ElNS0_19identity_decomposerEEEEEvT0_T1_jPSH_T2_SH_ ; -- Begin function _ZN7rocprim17ROCPRIM_304000_NS6detail45device_block_merge_mergepath_partition_kernelINS1_37wrapped_merge_sort_block_merge_configINS0_14default_configElN2at4cuda3cub6detail10OpaqueTypeILi8EEEEEPljNS1_19radix_merge_compareILb1ELb0ElNS0_19identity_decomposerEEEEEvT0_T1_jPSH_T2_SH_
	.globl	_ZN7rocprim17ROCPRIM_304000_NS6detail45device_block_merge_mergepath_partition_kernelINS1_37wrapped_merge_sort_block_merge_configINS0_14default_configElN2at4cuda3cub6detail10OpaqueTypeILi8EEEEEPljNS1_19radix_merge_compareILb1ELb0ElNS0_19identity_decomposerEEEEEvT0_T1_jPSH_T2_SH_
	.p2align	8
	.type	_ZN7rocprim17ROCPRIM_304000_NS6detail45device_block_merge_mergepath_partition_kernelINS1_37wrapped_merge_sort_block_merge_configINS0_14default_configElN2at4cuda3cub6detail10OpaqueTypeILi8EEEEEPljNS1_19radix_merge_compareILb1ELb0ElNS0_19identity_decomposerEEEEEvT0_T1_jPSH_T2_SH_,@function
_ZN7rocprim17ROCPRIM_304000_NS6detail45device_block_merge_mergepath_partition_kernelINS1_37wrapped_merge_sort_block_merge_configINS0_14default_configElN2at4cuda3cub6detail10OpaqueTypeILi8EEEEEPljNS1_19radix_merge_compareILb1ELb0ElNS0_19identity_decomposerEEEEEvT0_T1_jPSH_T2_SH_: ; @_ZN7rocprim17ROCPRIM_304000_NS6detail45device_block_merge_mergepath_partition_kernelINS1_37wrapped_merge_sort_block_merge_configINS0_14default_configElN2at4cuda3cub6detail10OpaqueTypeILi8EEEEEPljNS1_19radix_merge_compareILb1ELb0ElNS0_19identity_decomposerEEEEEvT0_T1_jPSH_T2_SH_
; %bb.0:
	s_load_dwordx2 s[4:5], s[0:1], 0x8
	v_lshl_or_b32 v0, s2, 7, v0
	s_waitcnt lgkmcnt(0)
	v_cmp_gt_u32_e32 vcc, s5, v0
	s_and_saveexec_b64 s[2:3], vcc
	s_cbranch_execz .LBB100_6
; %bb.1:
	s_load_dword s2, s[0:1], 0x1c
	s_waitcnt lgkmcnt(0)
	s_lshr_b32 s3, s2, 9
	s_and_b32 s3, s3, 0x7ffffe
	s_add_i32 s5, s3, -1
	s_sub_i32 s3, 0, s3
	v_and_b32_e32 v1, s3, v0
	v_and_b32_e32 v2, s5, v0
	v_lshlrev_b32_e32 v1, 10, v1
	v_lshlrev_b32_e32 v3, 10, v2
	v_min_u32_e32 v2, s4, v1
	v_add_u32_e32 v1, s2, v1
	v_min_u32_e32 v4, s4, v1
	v_add_u32_e32 v1, s2, v4
	v_min_u32_e32 v1, s4, v1
	v_sub_u32_e32 v5, v1, v2
	v_min_u32_e32 v10, v5, v3
	v_sub_u32_e32 v3, v4, v2
	v_sub_u32_e32 v1, v1, v4
	v_sub_u32_e64 v1, v10, v1 clamp
	v_min_u32_e32 v11, v10, v3
	v_cmp_lt_u32_e32 vcc, v1, v11
	s_and_saveexec_b64 s[2:3], vcc
	s_cbranch_execz .LBB100_5
; %bb.2:
	s_load_dwordx2 s[4:5], s[0:1], 0x0
	v_mov_b32_e32 v5, 0
	v_mov_b32_e32 v3, v5
	s_waitcnt lgkmcnt(0)
	v_lshl_add_u64 v[6:7], v[2:3], 3, s[4:5]
	v_lshl_add_u64 v[8:9], v[4:5], 3, s[4:5]
	s_mov_b64 s[4:5], 0
.LBB100_3:                              ; =>This Inner Loop Header: Depth=1
	v_add_u32_e32 v3, v11, v1
	v_lshrrev_b32_e32 v4, 1, v3
	v_mov_b32_e32 v13, v5
	v_xad_u32 v12, v4, -1, v10
	v_lshl_add_u64 v[14:15], v[4:5], 3, v[6:7]
	v_lshl_add_u64 v[12:13], v[12:13], 3, v[8:9]
	global_load_dwordx2 v[16:17], v[14:15], off
	global_load_dwordx2 v[18:19], v[12:13], off
	v_add_u32_e32 v3, 1, v4
	s_waitcnt vmcnt(0)
	v_cmp_gt_i64_e32 vcc, v[18:19], v[16:17]
	s_nop 1
	v_cndmask_b32_e32 v11, v11, v4, vcc
	v_cndmask_b32_e32 v1, v3, v1, vcc
	v_cmp_ge_u32_e32 vcc, v1, v11
	s_or_b64 s[4:5], vcc, s[4:5]
	s_andn2_b64 exec, exec, s[4:5]
	s_cbranch_execnz .LBB100_3
; %bb.4:
	s_or_b64 exec, exec, s[4:5]
.LBB100_5:
	s_or_b64 exec, exec, s[2:3]
	s_load_dwordx2 s[0:1], s[0:1], 0x10
	v_add_u32_e32 v2, v1, v2
	v_mov_b32_e32 v1, 0
	s_waitcnt lgkmcnt(0)
	v_lshl_add_u64 v[0:1], v[0:1], 2, s[0:1]
	global_store_dword v[0:1], v2, off
.LBB100_6:
	s_endpgm
	.section	.rodata,"a",@progbits
	.p2align	6, 0x0
	.amdhsa_kernel _ZN7rocprim17ROCPRIM_304000_NS6detail45device_block_merge_mergepath_partition_kernelINS1_37wrapped_merge_sort_block_merge_configINS0_14default_configElN2at4cuda3cub6detail10OpaqueTypeILi8EEEEEPljNS1_19radix_merge_compareILb1ELb0ElNS0_19identity_decomposerEEEEEvT0_T1_jPSH_T2_SH_
		.amdhsa_group_segment_fixed_size 0
		.amdhsa_private_segment_fixed_size 0
		.amdhsa_kernarg_size 32
		.amdhsa_user_sgpr_count 2
		.amdhsa_user_sgpr_dispatch_ptr 0
		.amdhsa_user_sgpr_queue_ptr 0
		.amdhsa_user_sgpr_kernarg_segment_ptr 1
		.amdhsa_user_sgpr_dispatch_id 0
		.amdhsa_user_sgpr_kernarg_preload_length 0
		.amdhsa_user_sgpr_kernarg_preload_offset 0
		.amdhsa_user_sgpr_private_segment_size 0
		.amdhsa_uses_dynamic_stack 0
		.amdhsa_enable_private_segment 0
		.amdhsa_system_sgpr_workgroup_id_x 1
		.amdhsa_system_sgpr_workgroup_id_y 0
		.amdhsa_system_sgpr_workgroup_id_z 0
		.amdhsa_system_sgpr_workgroup_info 0
		.amdhsa_system_vgpr_workitem_id 0
		.amdhsa_next_free_vgpr 20
		.amdhsa_next_free_sgpr 6
		.amdhsa_accum_offset 20
		.amdhsa_reserve_vcc 1
		.amdhsa_float_round_mode_32 0
		.amdhsa_float_round_mode_16_64 0
		.amdhsa_float_denorm_mode_32 3
		.amdhsa_float_denorm_mode_16_64 3
		.amdhsa_dx10_clamp 1
		.amdhsa_ieee_mode 1
		.amdhsa_fp16_overflow 0
		.amdhsa_tg_split 0
		.amdhsa_exception_fp_ieee_invalid_op 0
		.amdhsa_exception_fp_denorm_src 0
		.amdhsa_exception_fp_ieee_div_zero 0
		.amdhsa_exception_fp_ieee_overflow 0
		.amdhsa_exception_fp_ieee_underflow 0
		.amdhsa_exception_fp_ieee_inexact 0
		.amdhsa_exception_int_div_zero 0
	.end_amdhsa_kernel
	.section	.text._ZN7rocprim17ROCPRIM_304000_NS6detail45device_block_merge_mergepath_partition_kernelINS1_37wrapped_merge_sort_block_merge_configINS0_14default_configElN2at4cuda3cub6detail10OpaqueTypeILi8EEEEEPljNS1_19radix_merge_compareILb1ELb0ElNS0_19identity_decomposerEEEEEvT0_T1_jPSH_T2_SH_,"axG",@progbits,_ZN7rocprim17ROCPRIM_304000_NS6detail45device_block_merge_mergepath_partition_kernelINS1_37wrapped_merge_sort_block_merge_configINS0_14default_configElN2at4cuda3cub6detail10OpaqueTypeILi8EEEEEPljNS1_19radix_merge_compareILb1ELb0ElNS0_19identity_decomposerEEEEEvT0_T1_jPSH_T2_SH_,comdat
.Lfunc_end100:
	.size	_ZN7rocprim17ROCPRIM_304000_NS6detail45device_block_merge_mergepath_partition_kernelINS1_37wrapped_merge_sort_block_merge_configINS0_14default_configElN2at4cuda3cub6detail10OpaqueTypeILi8EEEEEPljNS1_19radix_merge_compareILb1ELb0ElNS0_19identity_decomposerEEEEEvT0_T1_jPSH_T2_SH_, .Lfunc_end100-_ZN7rocprim17ROCPRIM_304000_NS6detail45device_block_merge_mergepath_partition_kernelINS1_37wrapped_merge_sort_block_merge_configINS0_14default_configElN2at4cuda3cub6detail10OpaqueTypeILi8EEEEEPljNS1_19radix_merge_compareILb1ELb0ElNS0_19identity_decomposerEEEEEvT0_T1_jPSH_T2_SH_
                                        ; -- End function
	.set _ZN7rocprim17ROCPRIM_304000_NS6detail45device_block_merge_mergepath_partition_kernelINS1_37wrapped_merge_sort_block_merge_configINS0_14default_configElN2at4cuda3cub6detail10OpaqueTypeILi8EEEEEPljNS1_19radix_merge_compareILb1ELb0ElNS0_19identity_decomposerEEEEEvT0_T1_jPSH_T2_SH_.num_vgpr, 20
	.set _ZN7rocprim17ROCPRIM_304000_NS6detail45device_block_merge_mergepath_partition_kernelINS1_37wrapped_merge_sort_block_merge_configINS0_14default_configElN2at4cuda3cub6detail10OpaqueTypeILi8EEEEEPljNS1_19radix_merge_compareILb1ELb0ElNS0_19identity_decomposerEEEEEvT0_T1_jPSH_T2_SH_.num_agpr, 0
	.set _ZN7rocprim17ROCPRIM_304000_NS6detail45device_block_merge_mergepath_partition_kernelINS1_37wrapped_merge_sort_block_merge_configINS0_14default_configElN2at4cuda3cub6detail10OpaqueTypeILi8EEEEEPljNS1_19radix_merge_compareILb1ELb0ElNS0_19identity_decomposerEEEEEvT0_T1_jPSH_T2_SH_.numbered_sgpr, 6
	.set _ZN7rocprim17ROCPRIM_304000_NS6detail45device_block_merge_mergepath_partition_kernelINS1_37wrapped_merge_sort_block_merge_configINS0_14default_configElN2at4cuda3cub6detail10OpaqueTypeILi8EEEEEPljNS1_19radix_merge_compareILb1ELb0ElNS0_19identity_decomposerEEEEEvT0_T1_jPSH_T2_SH_.num_named_barrier, 0
	.set _ZN7rocprim17ROCPRIM_304000_NS6detail45device_block_merge_mergepath_partition_kernelINS1_37wrapped_merge_sort_block_merge_configINS0_14default_configElN2at4cuda3cub6detail10OpaqueTypeILi8EEEEEPljNS1_19radix_merge_compareILb1ELb0ElNS0_19identity_decomposerEEEEEvT0_T1_jPSH_T2_SH_.private_seg_size, 0
	.set _ZN7rocprim17ROCPRIM_304000_NS6detail45device_block_merge_mergepath_partition_kernelINS1_37wrapped_merge_sort_block_merge_configINS0_14default_configElN2at4cuda3cub6detail10OpaqueTypeILi8EEEEEPljNS1_19radix_merge_compareILb1ELb0ElNS0_19identity_decomposerEEEEEvT0_T1_jPSH_T2_SH_.uses_vcc, 1
	.set _ZN7rocprim17ROCPRIM_304000_NS6detail45device_block_merge_mergepath_partition_kernelINS1_37wrapped_merge_sort_block_merge_configINS0_14default_configElN2at4cuda3cub6detail10OpaqueTypeILi8EEEEEPljNS1_19radix_merge_compareILb1ELb0ElNS0_19identity_decomposerEEEEEvT0_T1_jPSH_T2_SH_.uses_flat_scratch, 0
	.set _ZN7rocprim17ROCPRIM_304000_NS6detail45device_block_merge_mergepath_partition_kernelINS1_37wrapped_merge_sort_block_merge_configINS0_14default_configElN2at4cuda3cub6detail10OpaqueTypeILi8EEEEEPljNS1_19radix_merge_compareILb1ELb0ElNS0_19identity_decomposerEEEEEvT0_T1_jPSH_T2_SH_.has_dyn_sized_stack, 0
	.set _ZN7rocprim17ROCPRIM_304000_NS6detail45device_block_merge_mergepath_partition_kernelINS1_37wrapped_merge_sort_block_merge_configINS0_14default_configElN2at4cuda3cub6detail10OpaqueTypeILi8EEEEEPljNS1_19radix_merge_compareILb1ELb0ElNS0_19identity_decomposerEEEEEvT0_T1_jPSH_T2_SH_.has_recursion, 0
	.set _ZN7rocprim17ROCPRIM_304000_NS6detail45device_block_merge_mergepath_partition_kernelINS1_37wrapped_merge_sort_block_merge_configINS0_14default_configElN2at4cuda3cub6detail10OpaqueTypeILi8EEEEEPljNS1_19radix_merge_compareILb1ELb0ElNS0_19identity_decomposerEEEEEvT0_T1_jPSH_T2_SH_.has_indirect_call, 0
	.section	.AMDGPU.csdata,"",@progbits
; Kernel info:
; codeLenInByte = 320
; TotalNumSgprs: 12
; NumVgprs: 20
; NumAgprs: 0
; TotalNumVgprs: 20
; ScratchSize: 0
; MemoryBound: 0
; FloatMode: 240
; IeeeMode: 1
; LDSByteSize: 0 bytes/workgroup (compile time only)
; SGPRBlocks: 1
; VGPRBlocks: 2
; NumSGPRsForWavesPerEU: 12
; NumVGPRsForWavesPerEU: 20
; AccumOffset: 20
; Occupancy: 8
; WaveLimiterHint : 0
; COMPUTE_PGM_RSRC2:SCRATCH_EN: 0
; COMPUTE_PGM_RSRC2:USER_SGPR: 2
; COMPUTE_PGM_RSRC2:TRAP_HANDLER: 0
; COMPUTE_PGM_RSRC2:TGID_X_EN: 1
; COMPUTE_PGM_RSRC2:TGID_Y_EN: 0
; COMPUTE_PGM_RSRC2:TGID_Z_EN: 0
; COMPUTE_PGM_RSRC2:TIDIG_COMP_CNT: 0
; COMPUTE_PGM_RSRC3_GFX90A:ACCUM_OFFSET: 4
; COMPUTE_PGM_RSRC3_GFX90A:TG_SPLIT: 0
	.section	.text._ZN7rocprim17ROCPRIM_304000_NS6detail35device_block_merge_mergepath_kernelINS1_37wrapped_merge_sort_block_merge_configINS0_14default_configElN2at4cuda3cub6detail10OpaqueTypeILi8EEEEEPlSC_PSA_SD_jNS1_19radix_merge_compareILb1ELb0ElNS0_19identity_decomposerEEEEEvT0_T1_T2_T3_T4_SL_jT5_PKSL_NS1_7vsmem_tE,"axG",@progbits,_ZN7rocprim17ROCPRIM_304000_NS6detail35device_block_merge_mergepath_kernelINS1_37wrapped_merge_sort_block_merge_configINS0_14default_configElN2at4cuda3cub6detail10OpaqueTypeILi8EEEEEPlSC_PSA_SD_jNS1_19radix_merge_compareILb1ELb0ElNS0_19identity_decomposerEEEEEvT0_T1_T2_T3_T4_SL_jT5_PKSL_NS1_7vsmem_tE,comdat
	.protected	_ZN7rocprim17ROCPRIM_304000_NS6detail35device_block_merge_mergepath_kernelINS1_37wrapped_merge_sort_block_merge_configINS0_14default_configElN2at4cuda3cub6detail10OpaqueTypeILi8EEEEEPlSC_PSA_SD_jNS1_19radix_merge_compareILb1ELb0ElNS0_19identity_decomposerEEEEEvT0_T1_T2_T3_T4_SL_jT5_PKSL_NS1_7vsmem_tE ; -- Begin function _ZN7rocprim17ROCPRIM_304000_NS6detail35device_block_merge_mergepath_kernelINS1_37wrapped_merge_sort_block_merge_configINS0_14default_configElN2at4cuda3cub6detail10OpaqueTypeILi8EEEEEPlSC_PSA_SD_jNS1_19radix_merge_compareILb1ELb0ElNS0_19identity_decomposerEEEEEvT0_T1_T2_T3_T4_SL_jT5_PKSL_NS1_7vsmem_tE
	.globl	_ZN7rocprim17ROCPRIM_304000_NS6detail35device_block_merge_mergepath_kernelINS1_37wrapped_merge_sort_block_merge_configINS0_14default_configElN2at4cuda3cub6detail10OpaqueTypeILi8EEEEEPlSC_PSA_SD_jNS1_19radix_merge_compareILb1ELb0ElNS0_19identity_decomposerEEEEEvT0_T1_T2_T3_T4_SL_jT5_PKSL_NS1_7vsmem_tE
	.p2align	8
	.type	_ZN7rocprim17ROCPRIM_304000_NS6detail35device_block_merge_mergepath_kernelINS1_37wrapped_merge_sort_block_merge_configINS0_14default_configElN2at4cuda3cub6detail10OpaqueTypeILi8EEEEEPlSC_PSA_SD_jNS1_19radix_merge_compareILb1ELb0ElNS0_19identity_decomposerEEEEEvT0_T1_T2_T3_T4_SL_jT5_PKSL_NS1_7vsmem_tE,@function
_ZN7rocprim17ROCPRIM_304000_NS6detail35device_block_merge_mergepath_kernelINS1_37wrapped_merge_sort_block_merge_configINS0_14default_configElN2at4cuda3cub6detail10OpaqueTypeILi8EEEEEPlSC_PSA_SD_jNS1_19radix_merge_compareILb1ELb0ElNS0_19identity_decomposerEEEEEvT0_T1_T2_T3_T4_SL_jT5_PKSL_NS1_7vsmem_tE: ; @_ZN7rocprim17ROCPRIM_304000_NS6detail35device_block_merge_mergepath_kernelINS1_37wrapped_merge_sort_block_merge_configINS0_14default_configElN2at4cuda3cub6detail10OpaqueTypeILi8EEEEEPlSC_PSA_SD_jNS1_19radix_merge_compareILb1ELb0ElNS0_19identity_decomposerEEEEEvT0_T1_T2_T3_T4_SL_jT5_PKSL_NS1_7vsmem_tE
; %bb.0:
	s_load_dwordx2 s[34:35], s[0:1], 0x40
	s_load_dwordx4 s[16:19], s[0:1], 0x20
	s_add_u32 s30, s0, 64
	s_addc_u32 s31, s1, 0
	s_waitcnt lgkmcnt(0)
	s_mul_i32 s4, s35, s4
	s_add_i32 s3, s4, s3
	s_mul_i32 s3, s3, s34
	s_add_i32 s6, s3, s2
	s_cmp_ge_u32 s6, s18
	s_cbranch_scc1 .LBB101_103
; %bb.1:
	s_load_dwordx8 s[8:15], s[0:1], 0x0
	s_load_dwordx2 s[4:5], s[0:1], 0x30
	s_lshr_b32 s35, s16, 10
	s_cmp_lg_u32 s6, s35
	s_mov_b32 s7, 0
	s_cselect_b64 s[20:21], -1, 0
	s_lshl_b64 s[0:1], s[6:7], 2
	s_waitcnt lgkmcnt(0)
	s_add_u32 s0, s4, s0
	s_addc_u32 s1, s5, s1
	s_load_dwordx2 s[22:23], s[0:1], 0x0
	s_lshr_b32 s0, s17, 9
	s_and_b32 s0, s0, 0x7ffffe
	s_sub_i32 s0, 0, s0
	s_and_b32 s1, s6, s0
	s_lshl_b32 s3, s1, 10
	s_lshl_b32 s18, s6, 10
	;; [unrolled: 1-line block ×3, first 2 shown]
	s_sub_i32 s4, s18, s3
	s_add_i32 s1, s1, s17
	s_add_i32 s4, s1, s4
	s_waitcnt lgkmcnt(0)
	s_sub_i32 s5, s4, s22
	s_sub_i32 s4, s4, s23
	;; [unrolled: 1-line block ×3, first 2 shown]
	s_min_u32 s24, s16, s5
	s_addk_i32 s4, 0x400
	s_or_b32 s0, s6, s0
	s_min_u32 s3, s16, s1
	s_add_i32 s1, s1, s17
	s_cmp_eq_u32 s0, -1
	s_cselect_b32 s0, s1, s4
	s_cselect_b32 s1, s3, s23
	s_min_u32 s0, s0, s16
	s_mov_b32 s23, s7
	s_sub_i32 s19, s1, s22
	s_sub_i32 s33, s0, s24
	s_lshl_b64 s[26:27], s[22:23], 3
	s_add_u32 s0, s8, s26
	s_mov_b32 s25, s7
	s_addc_u32 s1, s9, s27
	s_lshl_b64 s[28:29], s[24:25], 3
	s_add_u32 s4, s8, s28
	s_addc_u32 s5, s9, s29
	s_cmp_lt_u32 s2, s34
	v_mov_b32_e32 v19, 0
	s_cselect_b32 s2, 12, 18
	global_load_dword v1, v19, s[30:31] offset:14
	s_add_u32 s2, s30, s2
	s_addc_u32 s3, s31, 0
	global_load_ushort v2, v19, s[2:3]
	v_cmp_gt_u32_e32 vcc, s19, v0
	s_cmp_eq_u32 s6, s35
	v_lshlrev_b32_e32 v18, 3, v0
	s_waitcnt vmcnt(1)
	v_lshrrev_b32_e32 v3, 16, v1
	v_and_b32_e32 v1, 0xffff, v1
	v_mul_lo_u32 v1, v1, v3
	s_waitcnt vmcnt(0)
	v_mul_lo_u32 v1, v1, v2
	v_add_u32_e32 v20, v1, v0
	s_cbranch_scc1 .LBB101_3
; %bb.2:
	v_subrev_u32_e32 v4, s19, v0
	v_lshlrev_b32_e32 v4, 3, v4
	v_mov_b32_e32 v5, v19
	v_lshl_add_u64 v[2:3], s[0:1], 0, v[18:19]
	v_lshl_add_u64 v[4:5], s[4:5], 0, v[4:5]
	v_cndmask_b32_e32 v3, v5, v3, vcc
	v_cndmask_b32_e32 v2, v4, v2, vcc
	v_mov_b32_e32 v21, v19
	v_subrev_co_u32_e32 v6, vcc, s19, v20
	v_mov_b32_e32 v7, v19
	v_lshl_add_u64 v[4:5], v[20:21], 3, s[0:1]
	v_lshl_add_u64 v[6:7], v[6:7], 3, s[4:5]
	v_add_u32_e32 v8, v20, v1
	v_cndmask_b32_e32 v5, v7, v5, vcc
	v_cndmask_b32_e32 v4, v6, v4, vcc
	v_mov_b32_e32 v9, v19
	v_subrev_co_u32_e32 v10, vcc, s19, v8
	v_mov_b32_e32 v11, v19
	v_lshl_add_u64 v[6:7], v[8:9], 3, s[0:1]
	v_lshl_add_u64 v[10:11], v[10:11], 3, s[4:5]
	v_cndmask_b32_e32 v6, v10, v6, vcc
	v_add_u32_e32 v10, v8, v1
	v_cndmask_b32_e32 v7, v11, v7, vcc
	v_mov_b32_e32 v11, v19
	v_subrev_co_u32_e32 v12, vcc, s19, v10
	v_mov_b32_e32 v13, v19
	v_lshl_add_u64 v[8:9], v[10:11], 3, s[0:1]
	v_lshl_add_u64 v[12:13], v[12:13], 3, s[4:5]
	v_cndmask_b32_e32 v8, v12, v8, vcc
	v_add_u32_e32 v12, v10, v1
	;; [unrolled: 8-line block ×4, first 2 shown]
	v_cndmask_b32_e32 v13, v17, v13, vcc
	v_mov_b32_e32 v17, v19
	v_subrev_co_u32_e32 v22, vcc, s19, v16
	v_mov_b32_e32 v23, v19
	v_lshl_add_u64 v[14:15], v[16:17], 3, s[0:1]
	v_lshl_add_u64 v[22:23], v[22:23], 3, s[4:5]
	v_add_u32_e32 v16, v16, v1
	v_cndmask_b32_e32 v15, v23, v15, vcc
	v_cndmask_b32_e32 v14, v22, v14, vcc
	v_lshl_add_u64 v[22:23], v[16:17], 3, s[0:1]
	v_subrev_co_u32_e32 v16, vcc, s19, v16
	v_lshl_add_u64 v[16:17], v[16:17], 3, s[4:5]
	s_nop 0
	v_cndmask_b32_e32 v17, v17, v23, vcc
	v_cndmask_b32_e32 v16, v16, v22, vcc
	global_load_dwordx2 v[2:3], v[2:3], off
	s_add_i32 s17, s33, s19
	global_load_dwordx2 v[4:5], v[4:5], off
	s_nop 0
	global_load_dwordx2 v[6:7], v[6:7], off
	s_nop 0
	;; [unrolled: 2-line block ×6, first 2 shown]
	global_load_dwordx2 v[16:17], v[16:17], off
	s_cbranch_execz .LBB101_4
	s_branch .LBB101_21
.LBB101_3:
                                        ; implicit-def: $vgpr2_vgpr3_vgpr4_vgpr5_vgpr6_vgpr7_vgpr8_vgpr9_vgpr10_vgpr11_vgpr12_vgpr13_vgpr14_vgpr15_vgpr16_vgpr17
                                        ; implicit-def: $sgpr17
.LBB101_4:
	s_add_i32 s17, s33, s19
	s_waitcnt vmcnt(7)
	v_mov_b32_e32 v2, 0
	v_cmp_gt_u32_e32 vcc, s17, v0
	v_mov_b32_e32 v3, v2
	s_waitcnt vmcnt(6)
	v_mov_b32_e32 v4, v2
	v_mov_b32_e32 v5, v2
	s_waitcnt vmcnt(5)
	v_mov_b32_e32 v6, v2
	;; [unrolled: 3-line block ×7, first 2 shown]
	v_mov_b32_e32 v17, v2
	s_and_saveexec_b64 s[2:3], vcc
	s_cbranch_execz .LBB101_6
; %bb.5:
	v_subrev_u32_e32 v3, s19, v0
	v_mov_b32_e32 v19, v2
	v_lshlrev_b32_e32 v6, 3, v3
	v_mov_b32_e32 v7, v2
	v_lshl_add_u64 v[4:5], s[0:1], 0, v[18:19]
	v_lshl_add_u64 v[6:7], s[4:5], 0, v[6:7]
	v_cmp_gt_u32_e32 vcc, s19, v0
	v_mov_b32_e32 v24, v2
	v_mov_b32_e32 v25, v2
	v_cndmask_b32_e32 v5, v7, v5, vcc
	v_cndmask_b32_e32 v4, v6, v4, vcc
	global_load_dwordx2 v[22:23], v[4:5], off
	v_mov_b32_e32 v26, v2
	v_mov_b32_e32 v27, v2
	;; [unrolled: 1-line block ×12, first 2 shown]
	s_waitcnt vmcnt(0)
	v_mov_b64_e32 v[2:3], v[22:23]
	v_mov_b64_e32 v[4:5], v[24:25]
	;; [unrolled: 1-line block ×8, first 2 shown]
.LBB101_6:
	s_or_b64 exec, exec, s[2:3]
	v_cmp_gt_u32_e32 vcc, s17, v20
	s_and_saveexec_b64 s[2:3], vcc
	s_cbranch_execz .LBB101_8
; %bb.7:
	v_mov_b32_e32 v21, 0
	v_subrev_co_u32_e32 v22, vcc, s19, v20
	v_mov_b32_e32 v23, v21
	v_lshl_add_u64 v[4:5], v[20:21], 3, s[0:1]
	v_lshl_add_u64 v[22:23], v[22:23], 3, s[4:5]
	v_cndmask_b32_e32 v5, v23, v5, vcc
	v_cndmask_b32_e32 v4, v22, v4, vcc
	global_load_dwordx2 v[4:5], v[4:5], off
.LBB101_8:
	s_or_b64 exec, exec, s[2:3]
	v_add_u32_e32 v20, v20, v1
	v_cmp_gt_u32_e32 vcc, s17, v20
	s_and_saveexec_b64 s[2:3], vcc
	s_cbranch_execz .LBB101_10
; %bb.9:
	v_mov_b32_e32 v21, 0
	v_subrev_co_u32_e32 v22, vcc, s19, v20
	v_mov_b32_e32 v23, v21
	v_lshl_add_u64 v[6:7], v[20:21], 3, s[0:1]
	v_lshl_add_u64 v[22:23], v[22:23], 3, s[4:5]
	v_cndmask_b32_e32 v7, v23, v7, vcc
	v_cndmask_b32_e32 v6, v22, v6, vcc
	global_load_dwordx2 v[6:7], v[6:7], off
.LBB101_10:
	s_or_b64 exec, exec, s[2:3]
	v_add_u32_e32 v20, v20, v1
	;; [unrolled: 15-line block ×6, first 2 shown]
	v_cmp_gt_u32_e32 vcc, s17, v20
	s_and_saveexec_b64 s[2:3], vcc
	s_cbranch_execz .LBB101_20
; %bb.19:
	v_mov_b32_e32 v21, 0
	v_lshl_add_u64 v[16:17], v[20:21], 3, s[0:1]
	v_subrev_co_u32_e32 v20, vcc, s19, v20
	v_lshl_add_u64 v[20:21], v[20:21], 3, s[4:5]
	s_nop 0
	v_cndmask_b32_e32 v17, v21, v17, vcc
	v_cndmask_b32_e32 v16, v20, v16, vcc
	global_load_dwordx2 v[16:17], v[16:17], off
.LBB101_20:
	s_or_b64 exec, exec, s[2:3]
.LBB101_21:
	v_min_u32_e32 v1, s17, v18
	v_sub_u32_e64 v19, v1, s33 clamp
	v_min_u32_e32 v20, s19, v1
	v_cmp_lt_u32_e32 vcc, v19, v20
	s_waitcnt vmcnt(0)
	ds_write2st64_b64 v18, v[2:3], v[4:5] offset1:2
	ds_write2st64_b64 v18, v[6:7], v[8:9] offset0:4 offset1:6
	ds_write2st64_b64 v18, v[10:11], v[12:13] offset0:8 offset1:10
	;; [unrolled: 1-line block ×3, first 2 shown]
	s_waitcnt lgkmcnt(0)
	s_barrier
	s_and_saveexec_b64 s[0:1], vcc
	s_cbranch_execz .LBB101_25
; %bb.22:
	v_lshlrev_b32_e32 v21, 3, v1
	v_lshl_add_u32 v21, s19, 3, v21
	s_mov_b64 s[2:3], 0
.LBB101_23:                             ; =>This Inner Loop Header: Depth=1
	v_add_u32_e32 v22, v20, v19
	v_lshrrev_b32_e32 v26, 1, v22
	v_not_b32_e32 v22, v26
	v_lshlrev_b32_e32 v23, 3, v26
	v_lshl_add_u32 v24, v22, 3, v21
	ds_read_b64 v[22:23], v23
	ds_read_b64 v[24:25], v24
	v_add_u32_e32 v27, 1, v26
	s_waitcnt lgkmcnt(0)
	v_cmp_gt_i64_e32 vcc, v[24:25], v[22:23]
	s_nop 1
	v_cndmask_b32_e32 v20, v20, v26, vcc
	v_cndmask_b32_e32 v19, v27, v19, vcc
	v_cmp_ge_u32_e32 vcc, v19, v20
	s_or_b64 s[2:3], vcc, s[2:3]
	s_andn2_b64 exec, exec, s[2:3]
	s_cbranch_execnz .LBB101_23
; %bb.24:
	s_or_b64 exec, exec, s[2:3]
.LBB101_25:
	s_or_b64 exec, exec, s[0:1]
	v_sub_u32_e32 v1, v1, v19
	v_add_u32_e32 v20, s19, v1
	v_cmp_ge_u32_e32 vcc, s19, v19
	v_cmp_ge_u32_e64 s[0:1], s17, v20
	s_or_b64 s[0:1], vcc, s[0:1]
	v_mov_b32_e32 v27, 0
	v_mov_b32_e32 v30, 0
	;; [unrolled: 1-line block ×8, first 2 shown]
	s_and_saveexec_b64 s[30:31], s[0:1]
	s_cbranch_execz .LBB101_31
; %bb.26:
	v_cmp_gt_u32_e32 vcc, s19, v19
                                        ; implicit-def: $vgpr2_vgpr3
	s_and_saveexec_b64 s[0:1], vcc
; %bb.27:
	v_lshlrev_b32_e32 v1, 3, v19
	ds_read_b64 v[2:3], v1
; %bb.28:
	s_or_b64 exec, exec, s[0:1]
	v_cmp_le_u32_e64 s[0:1], s17, v20
	v_cmp_gt_u32_e64 s[2:3], s17, v20
                                        ; implicit-def: $vgpr4_vgpr5
	s_and_saveexec_b64 s[4:5], s[2:3]
; %bb.29:
	v_lshlrev_b32_e32 v1, 3, v20
	ds_read_b64 v[4:5], v1
; %bb.30:
	s_or_b64 exec, exec, s[4:5]
	s_waitcnt lgkmcnt(0)
	v_cmp_le_i64_e64 s[2:3], v[4:5], v[2:3]
	s_and_b64 s[2:3], vcc, s[2:3]
	s_or_b64 vcc, s[0:1], s[2:3]
	v_mov_b32_e32 v27, s17
	v_mov_b32_e32 v34, s19
	v_cndmask_b32_e32 v1, v20, v19, vcc
	v_cndmask_b32_e32 v6, v27, v34, vcc
	v_add_u32_e32 v10, 1, v1
	v_add_u32_e32 v6, -1, v6
	v_min_u32_e32 v6, v10, v6
	v_lshlrev_b32_e32 v6, 3, v6
	ds_read_b64 v[6:7], v6
	v_cndmask_b32_e32 v15, v19, v10, vcc
	v_cndmask_b32_e32 v14, v10, v20, vcc
	v_cmp_gt_u32_e64 s[2:3], s19, v15
	v_cmp_le_u32_e64 s[0:1], s17, v14
	s_waitcnt lgkmcnt(0)
	v_cndmask_b32_e32 v9, v7, v5, vcc
	v_cndmask_b32_e32 v8, v6, v4, vcc
	;; [unrolled: 1-line block ×4, first 2 shown]
	v_cmp_le_i64_e64 s[4:5], v[8:9], v[6:7]
	s_and_b64 s[2:3], s[2:3], s[4:5]
	s_or_b64 s[0:1], s[0:1], s[2:3]
	v_cndmask_b32_e64 v24, v14, v15, s[0:1]
	v_cndmask_b32_e64 v10, v27, v34, s[0:1]
	v_add_u32_e32 v16, 1, v24
	v_add_u32_e32 v10, -1, v10
	v_min_u32_e32 v10, v16, v10
	v_lshlrev_b32_e32 v10, 3, v10
	ds_read_b64 v[10:11], v10
	v_cndmask_b32_e64 v20, v15, v16, s[0:1]
	v_cndmask_b32_e64 v19, v16, v14, s[0:1]
	v_cmp_gt_u32_e64 s[4:5], s19, v20
	v_cmp_le_u32_e64 s[2:3], s17, v19
	s_waitcnt lgkmcnt(0)
	v_cndmask_b32_e64 v13, v11, v9, s[0:1]
	v_cndmask_b32_e64 v12, v10, v8, s[0:1]
	;; [unrolled: 1-line block ×4, first 2 shown]
	v_cmp_le_i64_e64 s[6:7], v[12:13], v[10:11]
	s_and_b64 s[4:5], s[4:5], s[6:7]
	s_or_b64 s[2:3], s[2:3], s[4:5]
	v_cndmask_b32_e64 v25, v19, v20, s[2:3]
	v_cndmask_b32_e64 v14, v27, v34, s[2:3]
	v_add_u32_e32 v21, 1, v25
	v_add_u32_e32 v14, -1, v14
	v_min_u32_e32 v14, v21, v14
	v_lshlrev_b32_e32 v14, 3, v14
	ds_read_b64 v[14:15], v14
	v_cndmask_b32_e64 v28, v20, v21, s[2:3]
	v_cndmask_b32_e64 v19, v21, v19, s[2:3]
	v_cmp_gt_u32_e64 s[6:7], s19, v28
	v_cmp_le_u32_e64 s[4:5], s17, v19
	s_waitcnt lgkmcnt(0)
	v_cndmask_b32_e64 v17, v15, v13, s[2:3]
	v_cndmask_b32_e64 v16, v14, v12, s[2:3]
	;; [unrolled: 1-line block ×4, first 2 shown]
	v_cmp_le_i64_e64 s[8:9], v[16:17], v[14:15]
	s_and_b64 s[6:7], s[6:7], s[8:9]
	s_or_b64 s[4:5], s[4:5], s[6:7]
	v_cndmask_b32_e64 v26, v19, v28, s[4:5]
	v_cndmask_b32_e64 v20, v27, v34, s[4:5]
	v_add_u32_e32 v29, 1, v26
	v_add_u32_e32 v20, -1, v20
	v_min_u32_e32 v20, v29, v20
	v_lshlrev_b32_e32 v20, 3, v20
	ds_read_b64 v[20:21], v20
	v_cndmask_b32_e64 v19, v29, v19, s[4:5]
	v_cndmask_b32_e64 v29, v28, v29, s[4:5]
	v_cmp_gt_u32_e64 s[6:7], s19, v29
	v_cndmask_b32_e32 v3, v5, v3, vcc
	s_waitcnt lgkmcnt(0)
	v_cndmask_b32_e64 v23, v21, v17, s[4:5]
	v_cndmask_b32_e64 v22, v20, v16, s[4:5]
	;; [unrolled: 1-line block ×4, first 2 shown]
	v_cmp_le_i64_e64 s[8:9], v[22:23], v[20:21]
	v_cndmask_b32_e32 v2, v4, v2, vcc
	v_cmp_le_u32_e32 vcc, s17, v19
	s_and_b64 s[6:7], s[6:7], s[8:9]
	s_or_b64 vcc, vcc, s[6:7]
	v_cndmask_b32_e32 v28, v19, v29, vcc
	v_cndmask_b32_e32 v4, v27, v34, vcc
	v_add_u32_e32 v35, 1, v28
	v_add_u32_e32 v4, -1, v4
	v_min_u32_e32 v4, v35, v4
	v_lshlrev_b32_e32 v4, 3, v4
	ds_read_b64 v[30:31], v4
	v_cndmask_b32_e64 v5, v9, v7, s[0:1]
	v_cndmask_b32_e64 v4, v8, v6, s[0:1]
	;; [unrolled: 1-line block ×4, first 2 shown]
	s_waitcnt lgkmcnt(0)
	v_cndmask_b32_e32 v13, v31, v23, vcc
	v_cndmask_b32_e32 v12, v30, v22, vcc
	v_cndmask_b32_e32 v33, v21, v31, vcc
	v_cndmask_b32_e32 v32, v20, v30, vcc
	v_cndmask_b32_e32 v19, v35, v19, vcc
	v_cndmask_b32_e32 v35, v29, v35, vcc
	v_cmp_gt_u32_e64 s[2:3], s19, v35
	v_cmp_le_i64_e64 s[6:7], v[12:13], v[32:33]
	v_cmp_le_u32_e64 s[0:1], s17, v19
	s_and_b64 s[2:3], s[2:3], s[6:7]
	s_or_b64 s[0:1], s[0:1], s[2:3]
	v_cndmask_b32_e64 v29, v19, v35, s[0:1]
	v_cndmask_b32_e64 v8, v27, v34, s[0:1]
	v_add_u32_e32 v36, 1, v29
	v_add_u32_e32 v8, -1, v8
	v_min_u32_e32 v8, v36, v8
	v_lshlrev_b32_e32 v8, 3, v8
	ds_read_b64 v[30:31], v8
	v_cndmask_b32_e64 v9, v17, v15, s[4:5]
	v_cndmask_b32_e64 v8, v16, v14, s[4:5]
	v_cndmask_b32_e32 v11, v23, v21, vcc
	v_cndmask_b32_e32 v10, v22, v20, vcc
	s_waitcnt lgkmcnt(0)
	v_cndmask_b32_e64 v17, v31, v13, s[0:1]
	v_cndmask_b32_e64 v16, v30, v12, s[0:1]
	;; [unrolled: 1-line block ×6, first 2 shown]
	v_cmp_gt_u32_e64 s[2:3], s19, v31
	v_cmp_le_i64_e64 s[4:5], v[16:17], v[20:21]
	v_cmp_le_u32_e32 vcc, s17, v19
	s_and_b64 s[2:3], s[2:3], s[4:5]
	s_or_b64 vcc, vcc, s[2:3]
	v_cndmask_b32_e32 v30, v19, v31, vcc
	v_cndmask_b32_e32 v14, v27, v34, vcc
	v_add_u32_e32 v27, 1, v30
	v_add_u32_e32 v14, -1, v14
	v_min_u32_e32 v14, v27, v14
	v_lshlrev_b32_e32 v14, 3, v14
	ds_read_b64 v[22:23], v14
	v_cndmask_b32_e32 v15, v17, v21, vcc
	v_cndmask_b32_e32 v14, v16, v20, vcc
	v_cndmask_b32_e64 v13, v13, v33, s[0:1]
	v_cndmask_b32_e64 v12, v12, v32, s[0:1]
	s_waitcnt lgkmcnt(0)
	v_cndmask_b32_e32 v17, v23, v17, vcc
	v_cndmask_b32_e32 v16, v22, v16, vcc
	;; [unrolled: 1-line block ×6, first 2 shown]
	v_cmp_gt_u32_e64 s[0:1], s19, v22
	v_cmp_le_i64_e64 s[2:3], v[16:17], v[20:21]
	v_cmp_le_u32_e32 vcc, s17, v19
	s_and_b64 s[0:1], s[0:1], s[2:3]
	s_or_b64 vcc, vcc, s[0:1]
	v_cndmask_b32_e32 v27, v19, v22, vcc
	v_cndmask_b32_e32 v17, v17, v21, vcc
	;; [unrolled: 1-line block ×3, first 2 shown]
.LBB101_31:
	s_or_b64 exec, exec, s[30:31]
	s_add_u32 s8, s12, s26
	s_addc_u32 s9, s13, s27
	s_add_u32 s6, s12, s28
	v_cndmask_b32_e64 v19, 0, 1, s[20:21]
	v_mov_b32_e32 v21, 0
	s_addc_u32 s7, s13, s29
	v_cmp_gt_u32_e64 s[4:5], s19, v0
	v_cmp_ne_u32_e64 s[0:1], 1, v19
	s_andn2_b64 vcc, exec, s[20:21]
	v_cmp_le_u32_e64 s[2:3], s19, v0
	s_barrier
	s_cbranch_vccnz .LBB101_33
; %bb.32:
	v_subrev_u32_e32 v19, s19, v0
	v_lshlrev_b32_e32 v20, 3, v19
	v_mov_b32_e32 v19, v21
	v_lshl_add_u64 v[32:33], s[8:9], 0, v[18:19]
	v_or_b32_e32 v19, 0x80, v0
	v_lshl_add_u64 v[22:23], s[6:7], 0, v[20:21]
	v_subrev_u32_e32 v20, s19, v19
	v_cndmask_b32_e64 v23, v23, v33, s[4:5]
	v_cndmask_b32_e64 v22, v22, v32, s[4:5]
	v_min_u32_e32 v20, v19, v20
	v_mov_b32_e32 v31, s7
	v_mov_b32_e32 v46, s9
	v_cmp_gt_u32_e32 vcc, s19, v19
	v_mov_b32_e32 v47, s6
	v_mov_b32_e32 v48, s8
	global_load_dwordx2 v[32:33], v[22:23], off
	v_cndmask_b32_e32 v23, v31, v46, vcc
	v_cndmask_b32_e32 v22, v47, v48, vcc
	v_lshlrev_b32_e32 v20, 3, v20
	v_or_b32_e32 v19, 0x100, v0
	v_lshl_add_u64 v[22:23], v[22:23], 0, v[20:21]
	v_subrev_u32_e32 v20, s19, v19
	v_min_u32_e32 v20, v19, v20
	v_cmp_gt_u32_e32 vcc, s19, v19
	global_load_dwordx2 v[34:35], v[22:23], off
	v_lshlrev_b32_e32 v20, 3, v20
	v_cndmask_b32_e32 v23, v31, v46, vcc
	v_cndmask_b32_e32 v22, v47, v48, vcc
	v_or_b32_e32 v19, 0x180, v0
	v_lshl_add_u64 v[22:23], v[22:23], 0, v[20:21]
	v_subrev_u32_e32 v20, s19, v19
	v_min_u32_e32 v20, v19, v20
	v_cmp_gt_u32_e32 vcc, s19, v19
	global_load_dwordx2 v[36:37], v[22:23], off
	v_lshlrev_b32_e32 v20, 3, v20
	v_cndmask_b32_e32 v23, v31, v46, vcc
	v_cndmask_b32_e32 v22, v47, v48, vcc
	;; [unrolled: 9-line block ×5, first 2 shown]
	v_lshl_add_u64 v[20:21], v[22:23], 0, v[20:21]
	global_load_dwordx2 v[44:45], v[20:21], off
	v_or_b32_e32 v19, 0x380, v0
	v_subrev_u32_e32 v20, s19, v19
	v_cmp_gt_u32_e32 vcc, s19, v19
	v_min_u32_e32 v22, v19, v20
	s_nop 0
	v_cndmask_b32_e32 v21, v31, v46, vcc
	v_cndmask_b32_e32 v20, v47, v48, vcc
	s_mov_b64 s[4:5], -1
	s_waitcnt vmcnt(5)
	ds_write2st64_b64 v18, v[32:33], v[34:35] offset1:2
	s_waitcnt vmcnt(3)
	ds_write2st64_b64 v18, v[36:37], v[38:39] offset0:4 offset1:6
	s_waitcnt vmcnt(1)
	ds_write2st64_b64 v18, v[40:41], v[42:43] offset0:8 offset1:10
	s_waitcnt vmcnt(0)
	ds_write_b64 v18, v[44:45] offset:6144
	s_cbranch_execz .LBB101_34
	s_branch .LBB101_65
.LBB101_33:
	s_mov_b64 s[4:5], 0
                                        ; implicit-def: $vgpr19
                                        ; implicit-def: $vgpr20_vgpr21
                                        ; implicit-def: $vgpr22
.LBB101_34:
	s_mov_b64 s[4:5], 0
                                        ; implicit-def: $vgpr20_vgpr21
	s_and_saveexec_b64 s[26:27], s[2:3]
	s_xor_b64 s[2:3], exec, s[26:27]
	s_cbranch_execnz .LBB101_104
; %bb.35:
	s_andn2_saveexec_b64 s[2:3], s[2:3]
	s_cbranch_execnz .LBB101_107
.LBB101_36:
	s_or_b64 exec, exec, s[2:3]
	s_and_saveexec_b64 s[2:3], s[4:5]
	s_cbranch_execz .LBB101_38
.LBB101_37:
	global_load_dwordx2 v[20:21], v[20:21], off
	s_waitcnt vmcnt(0)
	ds_write_b64 v18, v[20:21]
.LBB101_38:
	s_or_b64 exec, exec, s[2:3]
	v_or_b32_e32 v19, 0x80, v0
	v_cmp_le_u32_e32 vcc, s19, v19
	s_mov_b64 s[2:3], -1
	v_mov_b64_e32 v[20:21], s[22:23]
	s_and_saveexec_b64 s[4:5], vcc
; %bb.39:
	v_subrev_u32_e32 v19, s19, v19
	v_cmp_gt_u32_e32 vcc, s33, v19
	v_mov_b64_e32 v[20:21], s[24:25]
	s_orn2_b64 s[2:3], vcc, exec
; %bb.40:
	s_or_b64 exec, exec, s[4:5]
	s_and_saveexec_b64 s[4:5], s[2:3]
	s_cbranch_execz .LBB101_42
; %bb.41:
	v_lshl_add_u64 v[20:21], v[20:21], 3, s[12:13]
	v_lshlrev_b32_e32 v22, 3, v19
	v_mov_b32_e32 v23, 0
	v_lshl_add_u64 v[20:21], v[20:21], 0, v[22:23]
	global_load_dwordx2 v[20:21], v[20:21], off
	s_waitcnt vmcnt(0)
	ds_write_b64 v18, v[20:21] offset:1024
.LBB101_42:
	s_or_b64 exec, exec, s[4:5]
	v_or_b32_e32 v19, 0x100, v0
	v_cmp_le_u32_e32 vcc, s19, v19
	s_mov_b64 s[2:3], -1
	v_mov_b64_e32 v[20:21], s[22:23]
	s_and_saveexec_b64 s[4:5], vcc
; %bb.43:
	v_subrev_u32_e32 v19, s19, v19
	v_cmp_gt_u32_e32 vcc, s33, v19
	v_mov_b64_e32 v[20:21], s[24:25]
	s_orn2_b64 s[2:3], vcc, exec
; %bb.44:
	s_or_b64 exec, exec, s[4:5]
	s_and_saveexec_b64 s[4:5], s[2:3]
	s_cbranch_execz .LBB101_46
; %bb.45:
	v_lshl_add_u64 v[20:21], v[20:21], 3, s[12:13]
	v_lshlrev_b32_e32 v22, 3, v19
	v_mov_b32_e32 v23, 0
	v_lshl_add_u64 v[20:21], v[20:21], 0, v[22:23]
	global_load_dwordx2 v[20:21], v[20:21], off
	s_waitcnt vmcnt(0)
	ds_write_b64 v18, v[20:21] offset:2048
.LBB101_46:
	;; [unrolled: 24-line block ×6, first 2 shown]
	s_or_b64 exec, exec, s[4:5]
	v_or_b32_e32 v19, 0x380, v0
	v_cmp_le_u32_e32 vcc, s19, v19
	s_mov_b64 s[4:5], -1
	v_mov_b64_e32 v[20:21], s[8:9]
	v_mov_b32_e32 v22, v19
	s_and_saveexec_b64 s[2:3], vcc
; %bb.63:
	v_subrev_u32_e32 v22, s19, v19
	v_cmp_gt_u32_e32 vcc, s33, v22
	v_mov_b64_e32 v[20:21], s[6:7]
	s_orn2_b64 s[4:5], vcc, exec
; %bb.64:
	s_or_b64 exec, exec, s[2:3]
.LBB101_65:
	s_and_saveexec_b64 s[2:3], s[4:5]
	s_cbranch_execz .LBB101_67
; %bb.66:
	v_mov_b32_e32 v23, 0
	v_lshl_add_u64 v[20:21], v[22:23], 3, v[20:21]
	global_load_dwordx2 v[20:21], v[20:21], off
	v_lshlrev_b32_e32 v19, 3, v19
	s_waitcnt vmcnt(0)
	ds_write_b64 v19, v[20:21]
.LBB101_67:
	s_or_b64 exec, exec, s[2:3]
	s_and_b64 vcc, exec, s[0:1]
	v_add_u32_e32 v20, s18, v18
	s_waitcnt lgkmcnt(0)
	s_barrier
	s_cbranch_vccnz .LBB101_69
; %bb.68:
	v_lshlrev_b32_e32 v19, 3, v1
	v_lshlrev_b32_e32 v22, 3, v24
	;; [unrolled: 1-line block ×4, first 2 shown]
	ds_read_b64 v[34:35], v19
	ds_read_b64 v[36:37], v22
	;; [unrolled: 1-line block ×4, first 2 shown]
	v_lshlrev_b32_e32 v19, 3, v28
	v_lshlrev_b32_e32 v22, 3, v29
	;; [unrolled: 1-line block ×3, first 2 shown]
	ds_read_b64 v[42:43], v19
	ds_read_b64 v[44:45], v22
	;; [unrolled: 1-line block ×3, first 2 shown]
	v_mov_b32_e32 v21, 0
	v_lshl_add_u64 v[32:33], v[20:21], 3, s[14:15]
	s_mov_b64 s[0:1], -1
	s_waitcnt lgkmcnt(5)
	global_store_dwordx4 v[32:33], v[34:37], off
	s_waitcnt lgkmcnt(3)
	global_store_dwordx4 v[32:33], v[38:41], off offset:16
	s_waitcnt lgkmcnt(1)
	global_store_dwordx4 v[32:33], v[42:45], off offset:32
	s_waitcnt lgkmcnt(0)
	global_store_dwordx2 v[32:33], v[22:23], off offset:48
	s_cbranch_execz .LBB101_70
	s_branch .LBB101_87
.LBB101_69:
	s_mov_b64 s[0:1], 0
.LBB101_70:
	v_cmp_gt_u32_e32 vcc, s17, v18
	s_and_saveexec_b64 s[2:3], vcc
	s_cbranch_execz .LBB101_72
; %bb.71:
	v_lshlrev_b32_e32 v1, 3, v1
	ds_read_b64 v[22:23], v1
	v_mov_b32_e32 v21, 0
	v_lshl_add_u64 v[32:33], v[20:21], 3, s[14:15]
	s_waitcnt lgkmcnt(0)
	global_store_dwordx2 v[32:33], v[22:23], off
.LBB101_72:
	s_or_b64 exec, exec, s[2:3]
	v_or_b32_e32 v1, 1, v18
	v_cmp_gt_u32_e32 vcc, s17, v1
	s_and_saveexec_b64 s[2:3], vcc
	s_cbranch_execz .LBB101_74
; %bb.73:
	v_lshlrev_b32_e32 v1, 3, v24
	ds_read_b64 v[22:23], v1
	v_mov_b32_e32 v21, 0
	v_lshl_add_u64 v[32:33], v[20:21], 3, s[14:15]
	s_waitcnt lgkmcnt(0)
	global_store_dwordx2 v[32:33], v[22:23], off offset:8
.LBB101_74:
	s_or_b64 exec, exec, s[2:3]
	v_or_b32_e32 v1, 2, v18
	v_cmp_gt_u32_e32 vcc, s17, v1
	s_and_saveexec_b64 s[2:3], vcc
	s_cbranch_execz .LBB101_76
; %bb.75:
	v_lshlrev_b32_e32 v1, 3, v25
	ds_read_b64 v[22:23], v1
	v_mov_b32_e32 v21, 0
	v_lshl_add_u64 v[24:25], v[20:21], 3, s[14:15]
	s_waitcnt lgkmcnt(0)
	global_store_dwordx2 v[24:25], v[22:23], off offset:16
.LBB101_76:
	;; [unrolled: 13-line block ×6, first 2 shown]
	s_or_b64 exec, exec, s[2:3]
	v_or_b32_e32 v1, 7, v18
	v_cmp_gt_u32_e32 vcc, s17, v1
	s_and_saveexec_b64 s[2:3], vcc
; %bb.85:
	v_mov_b32_e32 v21, 0
	s_or_b64 s[0:1], s[0:1], exec
; %bb.86:
	s_or_b64 exec, exec, s[2:3]
.LBB101_87:
	s_and_saveexec_b64 s[2:3], s[0:1]
	s_cbranch_execz .LBB101_89
; %bb.88:
	v_lshlrev_b32_e32 v1, 3, v27
	ds_read_b64 v[22:23], v1
	v_lshl_add_u64 v[20:21], v[20:21], 3, s[14:15]
	s_waitcnt lgkmcnt(0)
	global_store_dwordx2 v[20:21], v[22:23], off offset:56
.LBB101_89:
	s_or_b64 exec, exec, s[2:3]
	v_lshrrev_b32_e32 v1, 2, v0
	v_lshlrev_b32_e32 v19, 3, v18
	v_lshl_add_u32 v19, v1, 3, v19
	v_and_b32_e32 v1, 24, v1
	v_or_b32_e32 v23, 0x80, v0
	v_add_u32_e32 v24, v1, v18
	v_lshrrev_b32_e32 v1, 2, v23
	v_and_b32_e32 v1, 56, v1
	v_or_b32_e32 v22, 0x100, v0
	s_barrier
	s_barrier
	ds_write2_b64 v19, v[2:3], v[4:5] offset1:1
	ds_write2_b64 v19, v[6:7], v[8:9] offset0:2 offset1:3
	ds_write2_b64 v19, v[10:11], v[12:13] offset0:4 offset1:5
	;; [unrolled: 1-line block ×3, first 2 shown]
	v_add_u32_e32 v4, v1, v18
	v_lshrrev_b32_e32 v1, 2, v22
	v_and_b32_e32 v1, 0x58, v1
	v_or_b32_e32 v21, 0x180, v0
	v_add_u32_e32 v5, v1, v18
	v_lshrrev_b32_e32 v1, 2, v21
	v_and_b32_e32 v1, 0x78, v1
	v_or_b32_e32 v20, 0x200, v0
	v_add_u32_e32 v6, v1, v18
	v_lshrrev_b32_e32 v1, 2, v20
	v_and_b32_e32 v1, 0x98, v1
	v_or_b32_e32 v17, 0x280, v0
	v_add_u32_e32 v7, v1, v18
	v_lshrrev_b32_e32 v1, 2, v17
	v_and_b32_e32 v1, 0xb8, v1
	v_or_b32_e32 v16, 0x300, v0
	v_add_u32_e32 v25, v1, v18
	v_lshrrev_b32_e32 v1, 2, v16
	s_mov_b32 s19, 0
	v_and_b32_e32 v1, 0xd8, v1
	s_lshl_b64 s[0:1], s[18:19], 3
	v_add_u32_e32 v26, v1, v18
	v_or_b32_e32 v1, 0x380, v0
	s_add_u32 s0, s10, s0
	v_lshrrev_b32_e32 v2, 2, v1
	s_addc_u32 s1, s11, s1
	v_and_b32_e32 v2, 0xf8, v2
	v_mov_b32_e32 v19, 0
	v_add_u32_e32 v27, v2, v18
	v_lshl_add_u64 v[2:3], s[0:1], 0, v[18:19]
	s_and_b64 vcc, exec, s[20:21]
	s_waitcnt lgkmcnt(0)
	s_cbranch_vccz .LBB101_91
; %bb.90:
	s_barrier
	ds_read_b64 v[8:9], v24
	ds_read_b64 v[10:11], v4 offset:1024
	ds_read_b64 v[12:13], v5 offset:2048
	;; [unrolled: 1-line block ×7, first 2 shown]
	s_waitcnt lgkmcnt(7)
	global_store_dwordx2 v[2:3], v[8:9], off
	s_waitcnt lgkmcnt(6)
	global_store_dwordx2 v[2:3], v[10:11], off offset:1024
	s_waitcnt lgkmcnt(5)
	global_store_dwordx2 v[2:3], v[12:13], off offset:2048
	;; [unrolled: 2-line block ×3, first 2 shown]
	v_add_co_u32_e32 v8, vcc, 0x1000, v2
	s_nop 1
	v_addc_co_u32_e32 v9, vcc, 0, v3, vcc
	s_waitcnt lgkmcnt(3)
	global_store_dwordx2 v[8:9], v[28:29], off
	s_waitcnt lgkmcnt(2)
	global_store_dwordx2 v[8:9], v[30:31], off offset:1024
	s_waitcnt lgkmcnt(1)
	global_store_dwordx2 v[8:9], v[32:33], off offset:2048
	s_mov_b64 s[0:1], -1
	s_cbranch_execz .LBB101_92
	s_branch .LBB101_101
.LBB101_91:
	s_mov_b64 s[0:1], 0
                                        ; implicit-def: $vgpr18_vgpr19
.LBB101_92:
	s_barrier
	s_waitcnt lgkmcnt(0)
	ds_read_b64 v[14:15], v4 offset:1024
	ds_read_b64 v[12:13], v5 offset:2048
	;; [unrolled: 1-line block ×7, first 2 shown]
	s_sub_i32 s2, s16, s18
	v_cmp_gt_u32_e32 vcc, s2, v0
	s_and_saveexec_b64 s[0:1], vcc
	s_cbranch_execnz .LBB101_108
; %bb.93:
	s_or_b64 exec, exec, s[0:1]
	v_cmp_gt_u32_e32 vcc, s2, v23
	s_and_saveexec_b64 s[0:1], vcc
	s_cbranch_execnz .LBB101_109
.LBB101_94:
	s_or_b64 exec, exec, s[0:1]
	v_cmp_gt_u32_e32 vcc, s2, v22
	s_and_saveexec_b64 s[0:1], vcc
	s_cbranch_execnz .LBB101_110
.LBB101_95:
	s_or_b64 exec, exec, s[0:1]
	v_cmp_gt_u32_e32 vcc, s2, v21
	s_and_saveexec_b64 s[0:1], vcc
	s_cbranch_execnz .LBB101_111
.LBB101_96:
	s_or_b64 exec, exec, s[0:1]
	v_cmp_gt_u32_e32 vcc, s2, v20
	s_and_saveexec_b64 s[0:1], vcc
	s_cbranch_execnz .LBB101_112
.LBB101_97:
	s_or_b64 exec, exec, s[0:1]
	v_cmp_gt_u32_e32 vcc, s2, v17
	s_and_saveexec_b64 s[0:1], vcc
	s_cbranch_execnz .LBB101_113
.LBB101_98:
	s_or_b64 exec, exec, s[0:1]
	v_cmp_gt_u32_e32 vcc, s2, v16
	s_and_saveexec_b64 s[0:1], vcc
	s_cbranch_execz .LBB101_100
.LBB101_99:
	s_waitcnt lgkmcnt(2)
	v_add_co_u32_e32 v6, vcc, 0x1000, v2
	s_nop 1
	v_addc_co_u32_e32 v7, vcc, 0, v3, vcc
	s_waitcnt lgkmcnt(1)
	global_store_dwordx2 v[6:7], v[4:5], off offset:2048
.LBB101_100:
	s_or_b64 exec, exec, s[0:1]
	v_cmp_gt_u32_e64 s[0:1], s2, v1
.LBB101_101:
	s_and_saveexec_b64 s[2:3], s[0:1]
	s_cbranch_execz .LBB101_103
; %bb.102:
	v_add_co_u32_e32 v0, vcc, 0x1000, v2
	s_nop 1
	v_addc_co_u32_e32 v1, vcc, 0, v3, vcc
	s_waitcnt lgkmcnt(0)
	global_store_dwordx2 v[0:1], v[18:19], off offset:3072
.LBB101_103:
	s_endpgm
.LBB101_104:
	v_subrev_u32_e32 v19, s19, v0
	v_cmp_gt_u32_e32 vcc, s33, v19
                                        ; implicit-def: $vgpr20_vgpr21
	s_and_saveexec_b64 s[26:27], vcc
	s_xor_b64 s[26:27], exec, s[26:27]
; %bb.105:
	v_lshlrev_b32_e32 v20, 3, v19
	v_mov_b32_e32 v21, 0
	s_mov_b64 s[4:5], exec
	v_lshl_add_u64 v[20:21], s[6:7], 0, v[20:21]
; %bb.106:
	s_or_b64 exec, exec, s[26:27]
	s_and_b64 s[4:5], s[4:5], exec
	s_andn2_saveexec_b64 s[2:3], s[2:3]
	s_cbranch_execz .LBB101_36
.LBB101_107:
	v_mov_b32_e32 v19, 0
	v_lshl_add_u64 v[20:21], s[8:9], 0, v[18:19]
	s_or_b64 s[4:5], s[4:5], exec
	s_or_b64 exec, exec, s[2:3]
	s_and_saveexec_b64 s[2:3], s[4:5]
	s_cbranch_execnz .LBB101_37
	s_branch .LBB101_38
.LBB101_108:
	ds_read_b64 v[24:25], v24
	s_waitcnt lgkmcnt(0)
	global_store_dwordx2 v[2:3], v[24:25], off
	s_or_b64 exec, exec, s[0:1]
	v_cmp_gt_u32_e32 vcc, s2, v23
	s_and_saveexec_b64 s[0:1], vcc
	s_cbranch_execz .LBB101_94
.LBB101_109:
	s_waitcnt lgkmcnt(6)
	global_store_dwordx2 v[2:3], v[14:15], off offset:1024
	s_or_b64 exec, exec, s[0:1]
	v_cmp_gt_u32_e32 vcc, s2, v22
	s_and_saveexec_b64 s[0:1], vcc
	s_cbranch_execz .LBB101_95
.LBB101_110:
	s_waitcnt lgkmcnt(5)
	global_store_dwordx2 v[2:3], v[12:13], off offset:2048
	s_or_b64 exec, exec, s[0:1]
	v_cmp_gt_u32_e32 vcc, s2, v21
	s_and_saveexec_b64 s[0:1], vcc
	s_cbranch_execz .LBB101_96
.LBB101_111:
	s_waitcnt lgkmcnt(4)
	global_store_dwordx2 v[2:3], v[10:11], off offset:3072
	s_or_b64 exec, exec, s[0:1]
	v_cmp_gt_u32_e32 vcc, s2, v20
	s_and_saveexec_b64 s[0:1], vcc
	s_cbranch_execz .LBB101_97
.LBB101_112:
	s_waitcnt lgkmcnt(4)
	v_add_co_u32_e32 v10, vcc, 0x1000, v2
	s_nop 1
	v_addc_co_u32_e32 v11, vcc, 0, v3, vcc
	s_waitcnt lgkmcnt(3)
	global_store_dwordx2 v[10:11], v[8:9], off
	s_or_b64 exec, exec, s[0:1]
	v_cmp_gt_u32_e32 vcc, s2, v17
	s_and_saveexec_b64 s[0:1], vcc
	s_cbranch_execz .LBB101_98
.LBB101_113:
	s_waitcnt lgkmcnt(3)
	v_add_co_u32_e32 v8, vcc, 0x1000, v2
	s_nop 1
	v_addc_co_u32_e32 v9, vcc, 0, v3, vcc
	s_waitcnt lgkmcnt(2)
	global_store_dwordx2 v[8:9], v[6:7], off offset:1024
	s_or_b64 exec, exec, s[0:1]
	v_cmp_gt_u32_e32 vcc, s2, v16
	s_and_saveexec_b64 s[0:1], vcc
	s_cbranch_execnz .LBB101_99
	s_branch .LBB101_100
	.section	.rodata,"a",@progbits
	.p2align	6, 0x0
	.amdhsa_kernel _ZN7rocprim17ROCPRIM_304000_NS6detail35device_block_merge_mergepath_kernelINS1_37wrapped_merge_sort_block_merge_configINS0_14default_configElN2at4cuda3cub6detail10OpaqueTypeILi8EEEEEPlSC_PSA_SD_jNS1_19radix_merge_compareILb1ELb0ElNS0_19identity_decomposerEEEEEvT0_T1_T2_T3_T4_SL_jT5_PKSL_NS1_7vsmem_tE
		.amdhsa_group_segment_fixed_size 8448
		.amdhsa_private_segment_fixed_size 0
		.amdhsa_kernarg_size 320
		.amdhsa_user_sgpr_count 2
		.amdhsa_user_sgpr_dispatch_ptr 0
		.amdhsa_user_sgpr_queue_ptr 0
		.amdhsa_user_sgpr_kernarg_segment_ptr 1
		.amdhsa_user_sgpr_dispatch_id 0
		.amdhsa_user_sgpr_kernarg_preload_length 0
		.amdhsa_user_sgpr_kernarg_preload_offset 0
		.amdhsa_user_sgpr_private_segment_size 0
		.amdhsa_uses_dynamic_stack 0
		.amdhsa_enable_private_segment 0
		.amdhsa_system_sgpr_workgroup_id_x 1
		.amdhsa_system_sgpr_workgroup_id_y 1
		.amdhsa_system_sgpr_workgroup_id_z 1
		.amdhsa_system_sgpr_workgroup_info 0
		.amdhsa_system_vgpr_workitem_id 0
		.amdhsa_next_free_vgpr 49
		.amdhsa_next_free_sgpr 36
		.amdhsa_accum_offset 52
		.amdhsa_reserve_vcc 1
		.amdhsa_float_round_mode_32 0
		.amdhsa_float_round_mode_16_64 0
		.amdhsa_float_denorm_mode_32 3
		.amdhsa_float_denorm_mode_16_64 3
		.amdhsa_dx10_clamp 1
		.amdhsa_ieee_mode 1
		.amdhsa_fp16_overflow 0
		.amdhsa_tg_split 0
		.amdhsa_exception_fp_ieee_invalid_op 0
		.amdhsa_exception_fp_denorm_src 0
		.amdhsa_exception_fp_ieee_div_zero 0
		.amdhsa_exception_fp_ieee_overflow 0
		.amdhsa_exception_fp_ieee_underflow 0
		.amdhsa_exception_fp_ieee_inexact 0
		.amdhsa_exception_int_div_zero 0
	.end_amdhsa_kernel
	.section	.text._ZN7rocprim17ROCPRIM_304000_NS6detail35device_block_merge_mergepath_kernelINS1_37wrapped_merge_sort_block_merge_configINS0_14default_configElN2at4cuda3cub6detail10OpaqueTypeILi8EEEEEPlSC_PSA_SD_jNS1_19radix_merge_compareILb1ELb0ElNS0_19identity_decomposerEEEEEvT0_T1_T2_T3_T4_SL_jT5_PKSL_NS1_7vsmem_tE,"axG",@progbits,_ZN7rocprim17ROCPRIM_304000_NS6detail35device_block_merge_mergepath_kernelINS1_37wrapped_merge_sort_block_merge_configINS0_14default_configElN2at4cuda3cub6detail10OpaqueTypeILi8EEEEEPlSC_PSA_SD_jNS1_19radix_merge_compareILb1ELb0ElNS0_19identity_decomposerEEEEEvT0_T1_T2_T3_T4_SL_jT5_PKSL_NS1_7vsmem_tE,comdat
.Lfunc_end101:
	.size	_ZN7rocprim17ROCPRIM_304000_NS6detail35device_block_merge_mergepath_kernelINS1_37wrapped_merge_sort_block_merge_configINS0_14default_configElN2at4cuda3cub6detail10OpaqueTypeILi8EEEEEPlSC_PSA_SD_jNS1_19radix_merge_compareILb1ELb0ElNS0_19identity_decomposerEEEEEvT0_T1_T2_T3_T4_SL_jT5_PKSL_NS1_7vsmem_tE, .Lfunc_end101-_ZN7rocprim17ROCPRIM_304000_NS6detail35device_block_merge_mergepath_kernelINS1_37wrapped_merge_sort_block_merge_configINS0_14default_configElN2at4cuda3cub6detail10OpaqueTypeILi8EEEEEPlSC_PSA_SD_jNS1_19radix_merge_compareILb1ELb0ElNS0_19identity_decomposerEEEEEvT0_T1_T2_T3_T4_SL_jT5_PKSL_NS1_7vsmem_tE
                                        ; -- End function
	.set _ZN7rocprim17ROCPRIM_304000_NS6detail35device_block_merge_mergepath_kernelINS1_37wrapped_merge_sort_block_merge_configINS0_14default_configElN2at4cuda3cub6detail10OpaqueTypeILi8EEEEEPlSC_PSA_SD_jNS1_19radix_merge_compareILb1ELb0ElNS0_19identity_decomposerEEEEEvT0_T1_T2_T3_T4_SL_jT5_PKSL_NS1_7vsmem_tE.num_vgpr, 49
	.set _ZN7rocprim17ROCPRIM_304000_NS6detail35device_block_merge_mergepath_kernelINS1_37wrapped_merge_sort_block_merge_configINS0_14default_configElN2at4cuda3cub6detail10OpaqueTypeILi8EEEEEPlSC_PSA_SD_jNS1_19radix_merge_compareILb1ELb0ElNS0_19identity_decomposerEEEEEvT0_T1_T2_T3_T4_SL_jT5_PKSL_NS1_7vsmem_tE.num_agpr, 0
	.set _ZN7rocprim17ROCPRIM_304000_NS6detail35device_block_merge_mergepath_kernelINS1_37wrapped_merge_sort_block_merge_configINS0_14default_configElN2at4cuda3cub6detail10OpaqueTypeILi8EEEEEPlSC_PSA_SD_jNS1_19radix_merge_compareILb1ELb0ElNS0_19identity_decomposerEEEEEvT0_T1_T2_T3_T4_SL_jT5_PKSL_NS1_7vsmem_tE.numbered_sgpr, 36
	.set _ZN7rocprim17ROCPRIM_304000_NS6detail35device_block_merge_mergepath_kernelINS1_37wrapped_merge_sort_block_merge_configINS0_14default_configElN2at4cuda3cub6detail10OpaqueTypeILi8EEEEEPlSC_PSA_SD_jNS1_19radix_merge_compareILb1ELb0ElNS0_19identity_decomposerEEEEEvT0_T1_T2_T3_T4_SL_jT5_PKSL_NS1_7vsmem_tE.num_named_barrier, 0
	.set _ZN7rocprim17ROCPRIM_304000_NS6detail35device_block_merge_mergepath_kernelINS1_37wrapped_merge_sort_block_merge_configINS0_14default_configElN2at4cuda3cub6detail10OpaqueTypeILi8EEEEEPlSC_PSA_SD_jNS1_19radix_merge_compareILb1ELb0ElNS0_19identity_decomposerEEEEEvT0_T1_T2_T3_T4_SL_jT5_PKSL_NS1_7vsmem_tE.private_seg_size, 0
	.set _ZN7rocprim17ROCPRIM_304000_NS6detail35device_block_merge_mergepath_kernelINS1_37wrapped_merge_sort_block_merge_configINS0_14default_configElN2at4cuda3cub6detail10OpaqueTypeILi8EEEEEPlSC_PSA_SD_jNS1_19radix_merge_compareILb1ELb0ElNS0_19identity_decomposerEEEEEvT0_T1_T2_T3_T4_SL_jT5_PKSL_NS1_7vsmem_tE.uses_vcc, 1
	.set _ZN7rocprim17ROCPRIM_304000_NS6detail35device_block_merge_mergepath_kernelINS1_37wrapped_merge_sort_block_merge_configINS0_14default_configElN2at4cuda3cub6detail10OpaqueTypeILi8EEEEEPlSC_PSA_SD_jNS1_19radix_merge_compareILb1ELb0ElNS0_19identity_decomposerEEEEEvT0_T1_T2_T3_T4_SL_jT5_PKSL_NS1_7vsmem_tE.uses_flat_scratch, 0
	.set _ZN7rocprim17ROCPRIM_304000_NS6detail35device_block_merge_mergepath_kernelINS1_37wrapped_merge_sort_block_merge_configINS0_14default_configElN2at4cuda3cub6detail10OpaqueTypeILi8EEEEEPlSC_PSA_SD_jNS1_19radix_merge_compareILb1ELb0ElNS0_19identity_decomposerEEEEEvT0_T1_T2_T3_T4_SL_jT5_PKSL_NS1_7vsmem_tE.has_dyn_sized_stack, 0
	.set _ZN7rocprim17ROCPRIM_304000_NS6detail35device_block_merge_mergepath_kernelINS1_37wrapped_merge_sort_block_merge_configINS0_14default_configElN2at4cuda3cub6detail10OpaqueTypeILi8EEEEEPlSC_PSA_SD_jNS1_19radix_merge_compareILb1ELb0ElNS0_19identity_decomposerEEEEEvT0_T1_T2_T3_T4_SL_jT5_PKSL_NS1_7vsmem_tE.has_recursion, 0
	.set _ZN7rocprim17ROCPRIM_304000_NS6detail35device_block_merge_mergepath_kernelINS1_37wrapped_merge_sort_block_merge_configINS0_14default_configElN2at4cuda3cub6detail10OpaqueTypeILi8EEEEEPlSC_PSA_SD_jNS1_19radix_merge_compareILb1ELb0ElNS0_19identity_decomposerEEEEEvT0_T1_T2_T3_T4_SL_jT5_PKSL_NS1_7vsmem_tE.has_indirect_call, 0
	.section	.AMDGPU.csdata,"",@progbits
; Kernel info:
; codeLenInByte = 5564
; TotalNumSgprs: 42
; NumVgprs: 49
; NumAgprs: 0
; TotalNumVgprs: 49
; ScratchSize: 0
; MemoryBound: 1
; FloatMode: 240
; IeeeMode: 1
; LDSByteSize: 8448 bytes/workgroup (compile time only)
; SGPRBlocks: 5
; VGPRBlocks: 6
; NumSGPRsForWavesPerEU: 42
; NumVGPRsForWavesPerEU: 49
; AccumOffset: 52
; Occupancy: 8
; WaveLimiterHint : 1
; COMPUTE_PGM_RSRC2:SCRATCH_EN: 0
; COMPUTE_PGM_RSRC2:USER_SGPR: 2
; COMPUTE_PGM_RSRC2:TRAP_HANDLER: 0
; COMPUTE_PGM_RSRC2:TGID_X_EN: 1
; COMPUTE_PGM_RSRC2:TGID_Y_EN: 1
; COMPUTE_PGM_RSRC2:TGID_Z_EN: 1
; COMPUTE_PGM_RSRC2:TIDIG_COMP_CNT: 0
; COMPUTE_PGM_RSRC3_GFX90A:ACCUM_OFFSET: 12
; COMPUTE_PGM_RSRC3_GFX90A:TG_SPLIT: 0
	.section	.text._ZN7rocprim17ROCPRIM_304000_NS6detail33device_block_merge_oddeven_kernelINS1_37wrapped_merge_sort_block_merge_configINS0_14default_configElN2at4cuda3cub6detail10OpaqueTypeILi8EEEEEPlSC_PSA_SD_jNS1_19radix_merge_compareILb1ELb0ElNS0_19identity_decomposerEEEEEvT0_T1_T2_T3_T4_SL_T5_,"axG",@progbits,_ZN7rocprim17ROCPRIM_304000_NS6detail33device_block_merge_oddeven_kernelINS1_37wrapped_merge_sort_block_merge_configINS0_14default_configElN2at4cuda3cub6detail10OpaqueTypeILi8EEEEEPlSC_PSA_SD_jNS1_19radix_merge_compareILb1ELb0ElNS0_19identity_decomposerEEEEEvT0_T1_T2_T3_T4_SL_T5_,comdat
	.protected	_ZN7rocprim17ROCPRIM_304000_NS6detail33device_block_merge_oddeven_kernelINS1_37wrapped_merge_sort_block_merge_configINS0_14default_configElN2at4cuda3cub6detail10OpaqueTypeILi8EEEEEPlSC_PSA_SD_jNS1_19radix_merge_compareILb1ELb0ElNS0_19identity_decomposerEEEEEvT0_T1_T2_T3_T4_SL_T5_ ; -- Begin function _ZN7rocprim17ROCPRIM_304000_NS6detail33device_block_merge_oddeven_kernelINS1_37wrapped_merge_sort_block_merge_configINS0_14default_configElN2at4cuda3cub6detail10OpaqueTypeILi8EEEEEPlSC_PSA_SD_jNS1_19radix_merge_compareILb1ELb0ElNS0_19identity_decomposerEEEEEvT0_T1_T2_T3_T4_SL_T5_
	.globl	_ZN7rocprim17ROCPRIM_304000_NS6detail33device_block_merge_oddeven_kernelINS1_37wrapped_merge_sort_block_merge_configINS0_14default_configElN2at4cuda3cub6detail10OpaqueTypeILi8EEEEEPlSC_PSA_SD_jNS1_19radix_merge_compareILb1ELb0ElNS0_19identity_decomposerEEEEEvT0_T1_T2_T3_T4_SL_T5_
	.p2align	8
	.type	_ZN7rocprim17ROCPRIM_304000_NS6detail33device_block_merge_oddeven_kernelINS1_37wrapped_merge_sort_block_merge_configINS0_14default_configElN2at4cuda3cub6detail10OpaqueTypeILi8EEEEEPlSC_PSA_SD_jNS1_19radix_merge_compareILb1ELb0ElNS0_19identity_decomposerEEEEEvT0_T1_T2_T3_T4_SL_T5_,@function
_ZN7rocprim17ROCPRIM_304000_NS6detail33device_block_merge_oddeven_kernelINS1_37wrapped_merge_sort_block_merge_configINS0_14default_configElN2at4cuda3cub6detail10OpaqueTypeILi8EEEEEPlSC_PSA_SD_jNS1_19radix_merge_compareILb1ELb0ElNS0_19identity_decomposerEEEEEvT0_T1_T2_T3_T4_SL_T5_: ; @_ZN7rocprim17ROCPRIM_304000_NS6detail33device_block_merge_oddeven_kernelINS1_37wrapped_merge_sort_block_merge_configINS0_14default_configElN2at4cuda3cub6detail10OpaqueTypeILi8EEEEEPlSC_PSA_SD_jNS1_19radix_merge_compareILb1ELb0ElNS0_19identity_decomposerEEEEEvT0_T1_T2_T3_T4_SL_T5_
; %bb.0:
	s_load_dwordx2 s[16:17], s[0:1], 0x20
	s_waitcnt lgkmcnt(0)
	s_lshr_b32 s3, s16, 8
	s_cmp_eq_u32 s2, s3
	s_cselect_b64 s[6:7], -1, 0
	s_cmp_lg_u32 s2, s3
	s_cselect_b64 s[8:9], -1, 0
	s_lshl_b32 s18, s2, 8
	s_sub_i32 s3, s16, s18
	v_cmp_gt_u32_e64 s[4:5], s3, v0
	s_or_b64 s[8:9], s[8:9], s[4:5]
	s_and_saveexec_b64 s[10:11], s[8:9]
	s_cbranch_execz .LBB102_24
; %bb.1:
	s_load_dwordx8 s[8:15], s[0:1], 0x0
	s_mov_b32 s19, 0
	s_lshl_b64 s[0:1], s[18:19], 3
	v_lshlrev_b32_e32 v1, 3, v0
	v_add_u32_e32 v0, s18, v0
	s_waitcnt lgkmcnt(0)
	s_add_u32 s20, s8, s0
	s_addc_u32 s21, s9, s1
	s_add_u32 s0, s12, s0
	s_addc_u32 s1, s13, s1
	global_load_dwordx2 v[2:3], v1, s[0:1]
	global_load_dwordx2 v[4:5], v1, s[20:21]
	s_lshr_b32 s0, s17, 8
	s_sub_i32 s1, 0, s0
	s_and_b32 s1, s2, s1
	s_and_b32 s0, s1, s0
	s_lshl_b32 s19, s1, 8
	s_sub_i32 s12, 0, s17
	s_cmp_eq_u32 s0, 0
	s_cselect_b64 s[0:1], -1, 0
	s_and_b64 s[2:3], s[0:1], exec
	s_cselect_b32 s12, s17, s12
	s_add_i32 s12, s12, s19
	s_mov_b64 s[2:3], -1
	s_cmp_gt_u32 s16, s12
	s_cbranch_scc1 .LBB102_9
; %bb.2:
	s_and_b64 vcc, exec, s[6:7]
	s_cbranch_vccz .LBB102_6
; %bb.3:
	v_cmp_gt_u32_e32 vcc, s16, v0
	s_and_saveexec_b64 s[2:3], vcc
	s_cbranch_execz .LBB102_5
; %bb.4:
	v_mov_b32_e32 v1, 0
	v_lshlrev_b64 v[6:7], 3, v[0:1]
	v_lshl_add_u64 v[8:9], s[14:15], 0, v[6:7]
	v_lshl_add_u64 v[6:7], s[10:11], 0, v[6:7]
	s_waitcnt vmcnt(0)
	global_store_dwordx2 v[6:7], v[4:5], off
	global_store_dwordx2 v[8:9], v[2:3], off
.LBB102_5:
	s_or_b64 exec, exec, s[2:3]
	s_mov_b64 s[2:3], 0
.LBB102_6:
	s_andn2_b64 vcc, exec, s[2:3]
	s_cbranch_vccnz .LBB102_8
; %bb.7:
	v_mov_b32_e32 v1, 0
	v_lshlrev_b64 v[6:7], 3, v[0:1]
	v_lshl_add_u64 v[8:9], s[10:11], 0, v[6:7]
	v_lshl_add_u64 v[6:7], s[14:15], 0, v[6:7]
	s_waitcnt vmcnt(0)
	global_store_dwordx2 v[8:9], v[4:5], off
	global_store_dwordx2 v[6:7], v[2:3], off
.LBB102_8:
	s_mov_b64 s[2:3], 0
.LBB102_9:
	s_andn2_b64 vcc, exec, s[2:3]
	s_cbranch_vccnz .LBB102_24
; %bb.10:
	s_min_u32 s13, s12, s16
	s_add_i32 s2, s13, s17
	s_min_u32 s16, s2, s16
	s_min_u32 s2, s19, s13
	s_add_i32 s19, s19, s13
	v_subrev_u32_e32 v0, s19, v0
	v_add_u32_e32 v6, s2, v0
	s_andn2_b64 vcc, exec, s[6:7]
	s_mov_b64 s[2:3], -1
	s_cbranch_vccnz .LBB102_18
; %bb.11:
	s_and_saveexec_b64 s[2:3], s[4:5]
	s_cbranch_execz .LBB102_17
; %bb.12:
	s_cmp_ge_u32 s12, s16
	v_mov_b32_e32 v7, s13
	s_cbranch_scc1 .LBB102_16
; %bb.13:
	s_mov_b64 s[4:5], 0
	v_mov_b32_e32 v8, s16
	v_mov_b32_e32 v7, s13
	v_mov_b32_e32 v1, 0
.LBB102_14:                             ; =>This Inner Loop Header: Depth=1
	v_add_u32_e32 v0, v7, v8
	v_lshrrev_b32_e32 v0, 1, v0
	v_lshl_add_u64 v[10:11], v[0:1], 3, s[8:9]
	global_load_dwordx2 v[10:11], v[10:11], off
	v_add_u32_e32 v9, 1, v0
	s_waitcnt vmcnt(0)
	v_cmp_gt_i64_e32 vcc, v[10:11], v[4:5]
	s_nop 1
	v_cndmask_b32_e64 v12, 0, 1, vcc
	v_cmp_le_i64_e32 vcc, v[4:5], v[10:11]
	s_nop 1
	v_cndmask_b32_e64 v10, 0, 1, vcc
	v_cndmask_b32_e64 v10, v10, v12, s[0:1]
	v_and_b32_e32 v10, 1, v10
	v_cmp_eq_u32_e32 vcc, 1, v10
	s_nop 1
	v_cndmask_b32_e32 v8, v0, v8, vcc
	v_cndmask_b32_e32 v7, v7, v9, vcc
	v_cmp_ge_u32_e32 vcc, v7, v8
	s_or_b64 s[4:5], vcc, s[4:5]
	s_andn2_b64 exec, exec, s[4:5]
	s_cbranch_execnz .LBB102_14
; %bb.15:
	s_or_b64 exec, exec, s[4:5]
.LBB102_16:
	v_add_u32_e32 v0, v7, v6
	v_mov_b32_e32 v1, 0
	v_lshlrev_b64 v[0:1], 3, v[0:1]
	v_lshl_add_u64 v[8:9], s[10:11], 0, v[0:1]
	v_lshl_add_u64 v[0:1], s[14:15], 0, v[0:1]
	s_waitcnt vmcnt(0)
	global_store_dwordx2 v[8:9], v[4:5], off
	global_store_dwordx2 v[0:1], v[2:3], off
.LBB102_17:
	s_or_b64 exec, exec, s[2:3]
	s_mov_b64 s[2:3], 0
.LBB102_18:
	s_andn2_b64 vcc, exec, s[2:3]
	s_cbranch_vccnz .LBB102_24
; %bb.19:
	s_cmp_ge_u32 s12, s16
	v_mov_b32_e32 v7, s13
	s_cbranch_scc1 .LBB102_23
; %bb.20:
	s_mov_b64 s[2:3], 0
	v_mov_b32_e32 v8, s16
	v_mov_b32_e32 v7, s13
	;; [unrolled: 1-line block ×3, first 2 shown]
.LBB102_21:                             ; =>This Inner Loop Header: Depth=1
	v_add_u32_e32 v0, v7, v8
	v_lshrrev_b32_e32 v0, 1, v0
	v_lshl_add_u64 v[10:11], v[0:1], 3, s[8:9]
	global_load_dwordx2 v[10:11], v[10:11], off
	v_add_u32_e32 v9, 1, v0
	s_waitcnt vmcnt(0)
	v_cmp_gt_i64_e32 vcc, v[10:11], v[4:5]
	s_nop 1
	v_cndmask_b32_e64 v12, 0, 1, vcc
	v_cmp_le_i64_e32 vcc, v[4:5], v[10:11]
	s_nop 1
	v_cndmask_b32_e64 v10, 0, 1, vcc
	v_cndmask_b32_e64 v10, v10, v12, s[0:1]
	v_and_b32_e32 v10, 1, v10
	v_cmp_eq_u32_e32 vcc, 1, v10
	s_nop 1
	v_cndmask_b32_e32 v8, v0, v8, vcc
	v_cndmask_b32_e32 v7, v7, v9, vcc
	v_cmp_ge_u32_e32 vcc, v7, v8
	s_or_b64 s[2:3], vcc, s[2:3]
	s_andn2_b64 exec, exec, s[2:3]
	s_cbranch_execnz .LBB102_21
; %bb.22:
	s_or_b64 exec, exec, s[2:3]
.LBB102_23:
	v_add_u32_e32 v0, v7, v6
	v_mov_b32_e32 v1, 0
	v_lshlrev_b64 v[0:1], 3, v[0:1]
	v_lshl_add_u64 v[6:7], s[10:11], 0, v[0:1]
	v_lshl_add_u64 v[0:1], s[14:15], 0, v[0:1]
	s_waitcnt vmcnt(0)
	global_store_dwordx2 v[6:7], v[4:5], off
	global_store_dwordx2 v[0:1], v[2:3], off
.LBB102_24:
	s_endpgm
	.section	.rodata,"a",@progbits
	.p2align	6, 0x0
	.amdhsa_kernel _ZN7rocprim17ROCPRIM_304000_NS6detail33device_block_merge_oddeven_kernelINS1_37wrapped_merge_sort_block_merge_configINS0_14default_configElN2at4cuda3cub6detail10OpaqueTypeILi8EEEEEPlSC_PSA_SD_jNS1_19radix_merge_compareILb1ELb0ElNS0_19identity_decomposerEEEEEvT0_T1_T2_T3_T4_SL_T5_
		.amdhsa_group_segment_fixed_size 0
		.amdhsa_private_segment_fixed_size 0
		.amdhsa_kernarg_size 44
		.amdhsa_user_sgpr_count 2
		.amdhsa_user_sgpr_dispatch_ptr 0
		.amdhsa_user_sgpr_queue_ptr 0
		.amdhsa_user_sgpr_kernarg_segment_ptr 1
		.amdhsa_user_sgpr_dispatch_id 0
		.amdhsa_user_sgpr_kernarg_preload_length 0
		.amdhsa_user_sgpr_kernarg_preload_offset 0
		.amdhsa_user_sgpr_private_segment_size 0
		.amdhsa_uses_dynamic_stack 0
		.amdhsa_enable_private_segment 0
		.amdhsa_system_sgpr_workgroup_id_x 1
		.amdhsa_system_sgpr_workgroup_id_y 0
		.amdhsa_system_sgpr_workgroup_id_z 0
		.amdhsa_system_sgpr_workgroup_info 0
		.amdhsa_system_vgpr_workitem_id 0
		.amdhsa_next_free_vgpr 13
		.amdhsa_next_free_sgpr 22
		.amdhsa_accum_offset 16
		.amdhsa_reserve_vcc 1
		.amdhsa_float_round_mode_32 0
		.amdhsa_float_round_mode_16_64 0
		.amdhsa_float_denorm_mode_32 3
		.amdhsa_float_denorm_mode_16_64 3
		.amdhsa_dx10_clamp 1
		.amdhsa_ieee_mode 1
		.amdhsa_fp16_overflow 0
		.amdhsa_tg_split 0
		.amdhsa_exception_fp_ieee_invalid_op 0
		.amdhsa_exception_fp_denorm_src 0
		.amdhsa_exception_fp_ieee_div_zero 0
		.amdhsa_exception_fp_ieee_overflow 0
		.amdhsa_exception_fp_ieee_underflow 0
		.amdhsa_exception_fp_ieee_inexact 0
		.amdhsa_exception_int_div_zero 0
	.end_amdhsa_kernel
	.section	.text._ZN7rocprim17ROCPRIM_304000_NS6detail33device_block_merge_oddeven_kernelINS1_37wrapped_merge_sort_block_merge_configINS0_14default_configElN2at4cuda3cub6detail10OpaqueTypeILi8EEEEEPlSC_PSA_SD_jNS1_19radix_merge_compareILb1ELb0ElNS0_19identity_decomposerEEEEEvT0_T1_T2_T3_T4_SL_T5_,"axG",@progbits,_ZN7rocprim17ROCPRIM_304000_NS6detail33device_block_merge_oddeven_kernelINS1_37wrapped_merge_sort_block_merge_configINS0_14default_configElN2at4cuda3cub6detail10OpaqueTypeILi8EEEEEPlSC_PSA_SD_jNS1_19radix_merge_compareILb1ELb0ElNS0_19identity_decomposerEEEEEvT0_T1_T2_T3_T4_SL_T5_,comdat
.Lfunc_end102:
	.size	_ZN7rocprim17ROCPRIM_304000_NS6detail33device_block_merge_oddeven_kernelINS1_37wrapped_merge_sort_block_merge_configINS0_14default_configElN2at4cuda3cub6detail10OpaqueTypeILi8EEEEEPlSC_PSA_SD_jNS1_19radix_merge_compareILb1ELb0ElNS0_19identity_decomposerEEEEEvT0_T1_T2_T3_T4_SL_T5_, .Lfunc_end102-_ZN7rocprim17ROCPRIM_304000_NS6detail33device_block_merge_oddeven_kernelINS1_37wrapped_merge_sort_block_merge_configINS0_14default_configElN2at4cuda3cub6detail10OpaqueTypeILi8EEEEEPlSC_PSA_SD_jNS1_19radix_merge_compareILb1ELb0ElNS0_19identity_decomposerEEEEEvT0_T1_T2_T3_T4_SL_T5_
                                        ; -- End function
	.set _ZN7rocprim17ROCPRIM_304000_NS6detail33device_block_merge_oddeven_kernelINS1_37wrapped_merge_sort_block_merge_configINS0_14default_configElN2at4cuda3cub6detail10OpaqueTypeILi8EEEEEPlSC_PSA_SD_jNS1_19radix_merge_compareILb1ELb0ElNS0_19identity_decomposerEEEEEvT0_T1_T2_T3_T4_SL_T5_.num_vgpr, 13
	.set _ZN7rocprim17ROCPRIM_304000_NS6detail33device_block_merge_oddeven_kernelINS1_37wrapped_merge_sort_block_merge_configINS0_14default_configElN2at4cuda3cub6detail10OpaqueTypeILi8EEEEEPlSC_PSA_SD_jNS1_19radix_merge_compareILb1ELb0ElNS0_19identity_decomposerEEEEEvT0_T1_T2_T3_T4_SL_T5_.num_agpr, 0
	.set _ZN7rocprim17ROCPRIM_304000_NS6detail33device_block_merge_oddeven_kernelINS1_37wrapped_merge_sort_block_merge_configINS0_14default_configElN2at4cuda3cub6detail10OpaqueTypeILi8EEEEEPlSC_PSA_SD_jNS1_19radix_merge_compareILb1ELb0ElNS0_19identity_decomposerEEEEEvT0_T1_T2_T3_T4_SL_T5_.numbered_sgpr, 22
	.set _ZN7rocprim17ROCPRIM_304000_NS6detail33device_block_merge_oddeven_kernelINS1_37wrapped_merge_sort_block_merge_configINS0_14default_configElN2at4cuda3cub6detail10OpaqueTypeILi8EEEEEPlSC_PSA_SD_jNS1_19radix_merge_compareILb1ELb0ElNS0_19identity_decomposerEEEEEvT0_T1_T2_T3_T4_SL_T5_.num_named_barrier, 0
	.set _ZN7rocprim17ROCPRIM_304000_NS6detail33device_block_merge_oddeven_kernelINS1_37wrapped_merge_sort_block_merge_configINS0_14default_configElN2at4cuda3cub6detail10OpaqueTypeILi8EEEEEPlSC_PSA_SD_jNS1_19radix_merge_compareILb1ELb0ElNS0_19identity_decomposerEEEEEvT0_T1_T2_T3_T4_SL_T5_.private_seg_size, 0
	.set _ZN7rocprim17ROCPRIM_304000_NS6detail33device_block_merge_oddeven_kernelINS1_37wrapped_merge_sort_block_merge_configINS0_14default_configElN2at4cuda3cub6detail10OpaqueTypeILi8EEEEEPlSC_PSA_SD_jNS1_19radix_merge_compareILb1ELb0ElNS0_19identity_decomposerEEEEEvT0_T1_T2_T3_T4_SL_T5_.uses_vcc, 1
	.set _ZN7rocprim17ROCPRIM_304000_NS6detail33device_block_merge_oddeven_kernelINS1_37wrapped_merge_sort_block_merge_configINS0_14default_configElN2at4cuda3cub6detail10OpaqueTypeILi8EEEEEPlSC_PSA_SD_jNS1_19radix_merge_compareILb1ELb0ElNS0_19identity_decomposerEEEEEvT0_T1_T2_T3_T4_SL_T5_.uses_flat_scratch, 0
	.set _ZN7rocprim17ROCPRIM_304000_NS6detail33device_block_merge_oddeven_kernelINS1_37wrapped_merge_sort_block_merge_configINS0_14default_configElN2at4cuda3cub6detail10OpaqueTypeILi8EEEEEPlSC_PSA_SD_jNS1_19radix_merge_compareILb1ELb0ElNS0_19identity_decomposerEEEEEvT0_T1_T2_T3_T4_SL_T5_.has_dyn_sized_stack, 0
	.set _ZN7rocprim17ROCPRIM_304000_NS6detail33device_block_merge_oddeven_kernelINS1_37wrapped_merge_sort_block_merge_configINS0_14default_configElN2at4cuda3cub6detail10OpaqueTypeILi8EEEEEPlSC_PSA_SD_jNS1_19radix_merge_compareILb1ELb0ElNS0_19identity_decomposerEEEEEvT0_T1_T2_T3_T4_SL_T5_.has_recursion, 0
	.set _ZN7rocprim17ROCPRIM_304000_NS6detail33device_block_merge_oddeven_kernelINS1_37wrapped_merge_sort_block_merge_configINS0_14default_configElN2at4cuda3cub6detail10OpaqueTypeILi8EEEEEPlSC_PSA_SD_jNS1_19radix_merge_compareILb1ELb0ElNS0_19identity_decomposerEEEEEvT0_T1_T2_T3_T4_SL_T5_.has_indirect_call, 0
	.section	.AMDGPU.csdata,"",@progbits
; Kernel info:
; codeLenInByte = 772
; TotalNumSgprs: 28
; NumVgprs: 13
; NumAgprs: 0
; TotalNumVgprs: 13
; ScratchSize: 0
; MemoryBound: 0
; FloatMode: 240
; IeeeMode: 1
; LDSByteSize: 0 bytes/workgroup (compile time only)
; SGPRBlocks: 3
; VGPRBlocks: 1
; NumSGPRsForWavesPerEU: 28
; NumVGPRsForWavesPerEU: 13
; AccumOffset: 16
; Occupancy: 8
; WaveLimiterHint : 0
; COMPUTE_PGM_RSRC2:SCRATCH_EN: 0
; COMPUTE_PGM_RSRC2:USER_SGPR: 2
; COMPUTE_PGM_RSRC2:TRAP_HANDLER: 0
; COMPUTE_PGM_RSRC2:TGID_X_EN: 1
; COMPUTE_PGM_RSRC2:TGID_Y_EN: 0
; COMPUTE_PGM_RSRC2:TGID_Z_EN: 0
; COMPUTE_PGM_RSRC2:TIDIG_COMP_CNT: 0
; COMPUTE_PGM_RSRC3_GFX90A:ACCUM_OFFSET: 3
; COMPUTE_PGM_RSRC3_GFX90A:TG_SPLIT: 0
	.section	.text._ZN7rocprim17ROCPRIM_304000_NS6detail16transform_kernelINS1_24wrapped_transform_configINS0_14default_configElEElPlS6_NS0_8identityIlEEEEvT1_mT2_T3_,"axG",@progbits,_ZN7rocprim17ROCPRIM_304000_NS6detail16transform_kernelINS1_24wrapped_transform_configINS0_14default_configElEElPlS6_NS0_8identityIlEEEEvT1_mT2_T3_,comdat
	.protected	_ZN7rocprim17ROCPRIM_304000_NS6detail16transform_kernelINS1_24wrapped_transform_configINS0_14default_configElEElPlS6_NS0_8identityIlEEEEvT1_mT2_T3_ ; -- Begin function _ZN7rocprim17ROCPRIM_304000_NS6detail16transform_kernelINS1_24wrapped_transform_configINS0_14default_configElEElPlS6_NS0_8identityIlEEEEvT1_mT2_T3_
	.globl	_ZN7rocprim17ROCPRIM_304000_NS6detail16transform_kernelINS1_24wrapped_transform_configINS0_14default_configElEElPlS6_NS0_8identityIlEEEEvT1_mT2_T3_
	.p2align	8
	.type	_ZN7rocprim17ROCPRIM_304000_NS6detail16transform_kernelINS1_24wrapped_transform_configINS0_14default_configElEElPlS6_NS0_8identityIlEEEEvT1_mT2_T3_,@function
_ZN7rocprim17ROCPRIM_304000_NS6detail16transform_kernelINS1_24wrapped_transform_configINS0_14default_configElEElPlS6_NS0_8identityIlEEEEvT1_mT2_T3_: ; @_ZN7rocprim17ROCPRIM_304000_NS6detail16transform_kernelINS1_24wrapped_transform_configINS0_14default_configElEElPlS6_NS0_8identityIlEEEEvT1_mT2_T3_
; %bb.0:
	s_load_dword s3, s[0:1], 0x20
	s_load_dwordx4 s[4:7], s[0:1], 0x0
	s_lshl_b32 s8, s2, 7
	s_waitcnt lgkmcnt(0)
	s_add_i32 s3, s3, -1
	s_cmp_lg_u32 s2, s3
	s_cselect_b64 s[2:3], -1, 0
	s_sub_i32 s6, s6, s8
	v_cmp_gt_u32_e32 vcc, s6, v0
	s_or_b64 s[2:3], vcc, s[2:3]
	s_and_saveexec_b64 s[6:7], s[2:3]
	s_cbranch_execz .LBB103_2
; %bb.1:
	s_load_dwordx2 s[0:1], s[0:1], 0x10
	s_mov_b32 s9, 0
	s_lshl_b64 s[2:3], s[8:9], 3
	v_lshlrev_b32_e32 v2, 3, v0
	s_waitcnt lgkmcnt(0)
	s_add_u32 s0, s0, s2
	s_addc_u32 s1, s1, s3
	s_add_u32 s2, s4, s2
	s_addc_u32 s3, s5, s3
	global_load_dwordx2 v[0:1], v2, s[2:3]
	s_waitcnt vmcnt(0)
	global_store_dwordx2 v2, v[0:1], s[0:1]
.LBB103_2:
	s_endpgm
	.section	.rodata,"a",@progbits
	.p2align	6, 0x0
	.amdhsa_kernel _ZN7rocprim17ROCPRIM_304000_NS6detail16transform_kernelINS1_24wrapped_transform_configINS0_14default_configElEElPlS6_NS0_8identityIlEEEEvT1_mT2_T3_
		.amdhsa_group_segment_fixed_size 0
		.amdhsa_private_segment_fixed_size 0
		.amdhsa_kernarg_size 288
		.amdhsa_user_sgpr_count 2
		.amdhsa_user_sgpr_dispatch_ptr 0
		.amdhsa_user_sgpr_queue_ptr 0
		.amdhsa_user_sgpr_kernarg_segment_ptr 1
		.amdhsa_user_sgpr_dispatch_id 0
		.amdhsa_user_sgpr_kernarg_preload_length 0
		.amdhsa_user_sgpr_kernarg_preload_offset 0
		.amdhsa_user_sgpr_private_segment_size 0
		.amdhsa_uses_dynamic_stack 0
		.amdhsa_enable_private_segment 0
		.amdhsa_system_sgpr_workgroup_id_x 1
		.amdhsa_system_sgpr_workgroup_id_y 0
		.amdhsa_system_sgpr_workgroup_id_z 0
		.amdhsa_system_sgpr_workgroup_info 0
		.amdhsa_system_vgpr_workitem_id 0
		.amdhsa_next_free_vgpr 3
		.amdhsa_next_free_sgpr 10
		.amdhsa_accum_offset 4
		.amdhsa_reserve_vcc 1
		.amdhsa_float_round_mode_32 0
		.amdhsa_float_round_mode_16_64 0
		.amdhsa_float_denorm_mode_32 3
		.amdhsa_float_denorm_mode_16_64 3
		.amdhsa_dx10_clamp 1
		.amdhsa_ieee_mode 1
		.amdhsa_fp16_overflow 0
		.amdhsa_tg_split 0
		.amdhsa_exception_fp_ieee_invalid_op 0
		.amdhsa_exception_fp_denorm_src 0
		.amdhsa_exception_fp_ieee_div_zero 0
		.amdhsa_exception_fp_ieee_overflow 0
		.amdhsa_exception_fp_ieee_underflow 0
		.amdhsa_exception_fp_ieee_inexact 0
		.amdhsa_exception_int_div_zero 0
	.end_amdhsa_kernel
	.section	.text._ZN7rocprim17ROCPRIM_304000_NS6detail16transform_kernelINS1_24wrapped_transform_configINS0_14default_configElEElPlS6_NS0_8identityIlEEEEvT1_mT2_T3_,"axG",@progbits,_ZN7rocprim17ROCPRIM_304000_NS6detail16transform_kernelINS1_24wrapped_transform_configINS0_14default_configElEElPlS6_NS0_8identityIlEEEEvT1_mT2_T3_,comdat
.Lfunc_end103:
	.size	_ZN7rocprim17ROCPRIM_304000_NS6detail16transform_kernelINS1_24wrapped_transform_configINS0_14default_configElEElPlS6_NS0_8identityIlEEEEvT1_mT2_T3_, .Lfunc_end103-_ZN7rocprim17ROCPRIM_304000_NS6detail16transform_kernelINS1_24wrapped_transform_configINS0_14default_configElEElPlS6_NS0_8identityIlEEEEvT1_mT2_T3_
                                        ; -- End function
	.set _ZN7rocprim17ROCPRIM_304000_NS6detail16transform_kernelINS1_24wrapped_transform_configINS0_14default_configElEElPlS6_NS0_8identityIlEEEEvT1_mT2_T3_.num_vgpr, 3
	.set _ZN7rocprim17ROCPRIM_304000_NS6detail16transform_kernelINS1_24wrapped_transform_configINS0_14default_configElEElPlS6_NS0_8identityIlEEEEvT1_mT2_T3_.num_agpr, 0
	.set _ZN7rocprim17ROCPRIM_304000_NS6detail16transform_kernelINS1_24wrapped_transform_configINS0_14default_configElEElPlS6_NS0_8identityIlEEEEvT1_mT2_T3_.numbered_sgpr, 10
	.set _ZN7rocprim17ROCPRIM_304000_NS6detail16transform_kernelINS1_24wrapped_transform_configINS0_14default_configElEElPlS6_NS0_8identityIlEEEEvT1_mT2_T3_.num_named_barrier, 0
	.set _ZN7rocprim17ROCPRIM_304000_NS6detail16transform_kernelINS1_24wrapped_transform_configINS0_14default_configElEElPlS6_NS0_8identityIlEEEEvT1_mT2_T3_.private_seg_size, 0
	.set _ZN7rocprim17ROCPRIM_304000_NS6detail16transform_kernelINS1_24wrapped_transform_configINS0_14default_configElEElPlS6_NS0_8identityIlEEEEvT1_mT2_T3_.uses_vcc, 1
	.set _ZN7rocprim17ROCPRIM_304000_NS6detail16transform_kernelINS1_24wrapped_transform_configINS0_14default_configElEElPlS6_NS0_8identityIlEEEEvT1_mT2_T3_.uses_flat_scratch, 0
	.set _ZN7rocprim17ROCPRIM_304000_NS6detail16transform_kernelINS1_24wrapped_transform_configINS0_14default_configElEElPlS6_NS0_8identityIlEEEEvT1_mT2_T3_.has_dyn_sized_stack, 0
	.set _ZN7rocprim17ROCPRIM_304000_NS6detail16transform_kernelINS1_24wrapped_transform_configINS0_14default_configElEElPlS6_NS0_8identityIlEEEEvT1_mT2_T3_.has_recursion, 0
	.set _ZN7rocprim17ROCPRIM_304000_NS6detail16transform_kernelINS1_24wrapped_transform_configINS0_14default_configElEElPlS6_NS0_8identityIlEEEEvT1_mT2_T3_.has_indirect_call, 0
	.section	.AMDGPU.csdata,"",@progbits
; Kernel info:
; codeLenInByte = 120
; TotalNumSgprs: 16
; NumVgprs: 3
; NumAgprs: 0
; TotalNumVgprs: 3
; ScratchSize: 0
; MemoryBound: 0
; FloatMode: 240
; IeeeMode: 1
; LDSByteSize: 0 bytes/workgroup (compile time only)
; SGPRBlocks: 1
; VGPRBlocks: 0
; NumSGPRsForWavesPerEU: 16
; NumVGPRsForWavesPerEU: 3
; AccumOffset: 4
; Occupancy: 8
; WaveLimiterHint : 0
; COMPUTE_PGM_RSRC2:SCRATCH_EN: 0
; COMPUTE_PGM_RSRC2:USER_SGPR: 2
; COMPUTE_PGM_RSRC2:TRAP_HANDLER: 0
; COMPUTE_PGM_RSRC2:TGID_X_EN: 1
; COMPUTE_PGM_RSRC2:TGID_Y_EN: 0
; COMPUTE_PGM_RSRC2:TGID_Z_EN: 0
; COMPUTE_PGM_RSRC2:TIDIG_COMP_CNT: 0
; COMPUTE_PGM_RSRC3_GFX90A:ACCUM_OFFSET: 0
; COMPUTE_PGM_RSRC3_GFX90A:TG_SPLIT: 0
	.section	.text._ZN7rocprim17ROCPRIM_304000_NS6detail45device_block_merge_mergepath_partition_kernelINS1_37wrapped_merge_sort_block_merge_configINS0_14default_configElN2at4cuda3cub6detail10OpaqueTypeILi8EEEEEPljNS1_19radix_merge_compareILb1ELb1ElNS0_19identity_decomposerEEEEEvT0_T1_jPSH_T2_SH_,"axG",@progbits,_ZN7rocprim17ROCPRIM_304000_NS6detail45device_block_merge_mergepath_partition_kernelINS1_37wrapped_merge_sort_block_merge_configINS0_14default_configElN2at4cuda3cub6detail10OpaqueTypeILi8EEEEEPljNS1_19radix_merge_compareILb1ELb1ElNS0_19identity_decomposerEEEEEvT0_T1_jPSH_T2_SH_,comdat
	.protected	_ZN7rocprim17ROCPRIM_304000_NS6detail45device_block_merge_mergepath_partition_kernelINS1_37wrapped_merge_sort_block_merge_configINS0_14default_configElN2at4cuda3cub6detail10OpaqueTypeILi8EEEEEPljNS1_19radix_merge_compareILb1ELb1ElNS0_19identity_decomposerEEEEEvT0_T1_jPSH_T2_SH_ ; -- Begin function _ZN7rocprim17ROCPRIM_304000_NS6detail45device_block_merge_mergepath_partition_kernelINS1_37wrapped_merge_sort_block_merge_configINS0_14default_configElN2at4cuda3cub6detail10OpaqueTypeILi8EEEEEPljNS1_19radix_merge_compareILb1ELb1ElNS0_19identity_decomposerEEEEEvT0_T1_jPSH_T2_SH_
	.globl	_ZN7rocprim17ROCPRIM_304000_NS6detail45device_block_merge_mergepath_partition_kernelINS1_37wrapped_merge_sort_block_merge_configINS0_14default_configElN2at4cuda3cub6detail10OpaqueTypeILi8EEEEEPljNS1_19radix_merge_compareILb1ELb1ElNS0_19identity_decomposerEEEEEvT0_T1_jPSH_T2_SH_
	.p2align	8
	.type	_ZN7rocprim17ROCPRIM_304000_NS6detail45device_block_merge_mergepath_partition_kernelINS1_37wrapped_merge_sort_block_merge_configINS0_14default_configElN2at4cuda3cub6detail10OpaqueTypeILi8EEEEEPljNS1_19radix_merge_compareILb1ELb1ElNS0_19identity_decomposerEEEEEvT0_T1_jPSH_T2_SH_,@function
_ZN7rocprim17ROCPRIM_304000_NS6detail45device_block_merge_mergepath_partition_kernelINS1_37wrapped_merge_sort_block_merge_configINS0_14default_configElN2at4cuda3cub6detail10OpaqueTypeILi8EEEEEPljNS1_19radix_merge_compareILb1ELb1ElNS0_19identity_decomposerEEEEEvT0_T1_jPSH_T2_SH_: ; @_ZN7rocprim17ROCPRIM_304000_NS6detail45device_block_merge_mergepath_partition_kernelINS1_37wrapped_merge_sort_block_merge_configINS0_14default_configElN2at4cuda3cub6detail10OpaqueTypeILi8EEEEEPljNS1_19radix_merge_compareILb1ELb1ElNS0_19identity_decomposerEEEEEvT0_T1_jPSH_T2_SH_
; %bb.0:
	s_load_dwordx2 s[8:9], s[0:1], 0x8
	v_lshl_or_b32 v0, s2, 7, v0
	s_waitcnt lgkmcnt(0)
	v_cmp_gt_u32_e32 vcc, s9, v0
	s_and_saveexec_b64 s[2:3], vcc
	s_cbranch_execz .LBB104_6
; %bb.1:
	s_load_dword s2, s[0:1], 0x20
	s_load_dwordx4 s[4:7], s[0:1], 0x10
	s_waitcnt lgkmcnt(0)
	s_lshr_b32 s3, s2, 9
	s_and_b32 s3, s3, 0x7ffffe
	s_add_i32 s9, s3, -1
	s_sub_i32 s3, 0, s3
	v_and_b32_e32 v1, s3, v0
	v_lshlrev_b32_e32 v1, 10, v1
	v_min_u32_e32 v2, s8, v1
	v_add_u32_e32 v1, s2, v1
	v_min_u32_e32 v4, s8, v1
	v_add_u32_e32 v1, s2, v4
	v_and_b32_e32 v3, s9, v0
	v_min_u32_e32 v1, s8, v1
	v_sub_u32_e32 v5, v1, v2
	v_lshlrev_b32_e32 v3, 10, v3
	v_min_u32_e32 v10, v5, v3
	v_sub_u32_e32 v3, v4, v2
	v_sub_u32_e32 v1, v1, v4
	v_sub_u32_e64 v1, v10, v1 clamp
	v_min_u32_e32 v11, v10, v3
	v_cmp_lt_u32_e32 vcc, v1, v11
	s_and_saveexec_b64 s[2:3], vcc
	s_cbranch_execz .LBB104_5
; %bb.2:
	s_load_dwordx2 s[0:1], s[0:1], 0x0
	v_mov_b32_e32 v5, 0
	v_mov_b32_e32 v3, v5
	s_waitcnt lgkmcnt(0)
	v_lshl_add_u64 v[6:7], v[2:3], 3, s[0:1]
	v_lshl_add_u64 v[8:9], v[4:5], 3, s[0:1]
	s_mov_b64 s[0:1], 0
.LBB104_3:                              ; =>This Inner Loop Header: Depth=1
	v_add_u32_e32 v3, v11, v1
	v_lshrrev_b32_e32 v4, 1, v3
	v_mov_b32_e32 v13, v5
	v_xad_u32 v12, v4, -1, v10
	v_lshl_add_u64 v[14:15], v[4:5], 3, v[6:7]
	v_lshl_add_u64 v[12:13], v[12:13], 3, v[8:9]
	global_load_dwordx2 v[14:15], v[14:15], off
	v_add_u32_e32 v3, 1, v4
	global_load_dwordx2 v[12:13], v[12:13], off
	s_waitcnt vmcnt(1)
	v_and_b32_e32 v15, s7, v15
	v_and_b32_e32 v14, s6, v14
	s_waitcnt vmcnt(0)
	v_and_b32_e32 v13, s7, v13
	v_and_b32_e32 v12, s6, v12
	v_cmp_gt_i64_e32 vcc, v[12:13], v[14:15]
	s_nop 1
	v_cndmask_b32_e32 v11, v11, v4, vcc
	v_cndmask_b32_e32 v1, v3, v1, vcc
	v_cmp_ge_u32_e32 vcc, v1, v11
	s_or_b64 s[0:1], vcc, s[0:1]
	s_andn2_b64 exec, exec, s[0:1]
	s_cbranch_execnz .LBB104_3
; %bb.4:
	s_or_b64 exec, exec, s[0:1]
.LBB104_5:
	s_or_b64 exec, exec, s[2:3]
	v_mov_b32_e32 v4, s4
	v_mov_b32_e32 v5, s5
	v_add_u32_e32 v2, v1, v2
	v_mov_b32_e32 v1, 0
	v_lshl_add_u64 v[0:1], v[0:1], 2, v[4:5]
	global_store_dword v[0:1], v2, off
.LBB104_6:
	s_endpgm
	.section	.rodata,"a",@progbits
	.p2align	6, 0x0
	.amdhsa_kernel _ZN7rocprim17ROCPRIM_304000_NS6detail45device_block_merge_mergepath_partition_kernelINS1_37wrapped_merge_sort_block_merge_configINS0_14default_configElN2at4cuda3cub6detail10OpaqueTypeILi8EEEEEPljNS1_19radix_merge_compareILb1ELb1ElNS0_19identity_decomposerEEEEEvT0_T1_jPSH_T2_SH_
		.amdhsa_group_segment_fixed_size 0
		.amdhsa_private_segment_fixed_size 0
		.amdhsa_kernarg_size 36
		.amdhsa_user_sgpr_count 2
		.amdhsa_user_sgpr_dispatch_ptr 0
		.amdhsa_user_sgpr_queue_ptr 0
		.amdhsa_user_sgpr_kernarg_segment_ptr 1
		.amdhsa_user_sgpr_dispatch_id 0
		.amdhsa_user_sgpr_kernarg_preload_length 0
		.amdhsa_user_sgpr_kernarg_preload_offset 0
		.amdhsa_user_sgpr_private_segment_size 0
		.amdhsa_uses_dynamic_stack 0
		.amdhsa_enable_private_segment 0
		.amdhsa_system_sgpr_workgroup_id_x 1
		.amdhsa_system_sgpr_workgroup_id_y 0
		.amdhsa_system_sgpr_workgroup_id_z 0
		.amdhsa_system_sgpr_workgroup_info 0
		.amdhsa_system_vgpr_workitem_id 0
		.amdhsa_next_free_vgpr 16
		.amdhsa_next_free_sgpr 10
		.amdhsa_accum_offset 16
		.amdhsa_reserve_vcc 1
		.amdhsa_float_round_mode_32 0
		.amdhsa_float_round_mode_16_64 0
		.amdhsa_float_denorm_mode_32 3
		.amdhsa_float_denorm_mode_16_64 3
		.amdhsa_dx10_clamp 1
		.amdhsa_ieee_mode 1
		.amdhsa_fp16_overflow 0
		.amdhsa_tg_split 0
		.amdhsa_exception_fp_ieee_invalid_op 0
		.amdhsa_exception_fp_denorm_src 0
		.amdhsa_exception_fp_ieee_div_zero 0
		.amdhsa_exception_fp_ieee_overflow 0
		.amdhsa_exception_fp_ieee_underflow 0
		.amdhsa_exception_fp_ieee_inexact 0
		.amdhsa_exception_int_div_zero 0
	.end_amdhsa_kernel
	.section	.text._ZN7rocprim17ROCPRIM_304000_NS6detail45device_block_merge_mergepath_partition_kernelINS1_37wrapped_merge_sort_block_merge_configINS0_14default_configElN2at4cuda3cub6detail10OpaqueTypeILi8EEEEEPljNS1_19radix_merge_compareILb1ELb1ElNS0_19identity_decomposerEEEEEvT0_T1_jPSH_T2_SH_,"axG",@progbits,_ZN7rocprim17ROCPRIM_304000_NS6detail45device_block_merge_mergepath_partition_kernelINS1_37wrapped_merge_sort_block_merge_configINS0_14default_configElN2at4cuda3cub6detail10OpaqueTypeILi8EEEEEPljNS1_19radix_merge_compareILb1ELb1ElNS0_19identity_decomposerEEEEEvT0_T1_jPSH_T2_SH_,comdat
.Lfunc_end104:
	.size	_ZN7rocprim17ROCPRIM_304000_NS6detail45device_block_merge_mergepath_partition_kernelINS1_37wrapped_merge_sort_block_merge_configINS0_14default_configElN2at4cuda3cub6detail10OpaqueTypeILi8EEEEEPljNS1_19radix_merge_compareILb1ELb1ElNS0_19identity_decomposerEEEEEvT0_T1_jPSH_T2_SH_, .Lfunc_end104-_ZN7rocprim17ROCPRIM_304000_NS6detail45device_block_merge_mergepath_partition_kernelINS1_37wrapped_merge_sort_block_merge_configINS0_14default_configElN2at4cuda3cub6detail10OpaqueTypeILi8EEEEEPljNS1_19radix_merge_compareILb1ELb1ElNS0_19identity_decomposerEEEEEvT0_T1_jPSH_T2_SH_
                                        ; -- End function
	.set _ZN7rocprim17ROCPRIM_304000_NS6detail45device_block_merge_mergepath_partition_kernelINS1_37wrapped_merge_sort_block_merge_configINS0_14default_configElN2at4cuda3cub6detail10OpaqueTypeILi8EEEEEPljNS1_19radix_merge_compareILb1ELb1ElNS0_19identity_decomposerEEEEEvT0_T1_jPSH_T2_SH_.num_vgpr, 16
	.set _ZN7rocprim17ROCPRIM_304000_NS6detail45device_block_merge_mergepath_partition_kernelINS1_37wrapped_merge_sort_block_merge_configINS0_14default_configElN2at4cuda3cub6detail10OpaqueTypeILi8EEEEEPljNS1_19radix_merge_compareILb1ELb1ElNS0_19identity_decomposerEEEEEvT0_T1_jPSH_T2_SH_.num_agpr, 0
	.set _ZN7rocprim17ROCPRIM_304000_NS6detail45device_block_merge_mergepath_partition_kernelINS1_37wrapped_merge_sort_block_merge_configINS0_14default_configElN2at4cuda3cub6detail10OpaqueTypeILi8EEEEEPljNS1_19radix_merge_compareILb1ELb1ElNS0_19identity_decomposerEEEEEvT0_T1_jPSH_T2_SH_.numbered_sgpr, 10
	.set _ZN7rocprim17ROCPRIM_304000_NS6detail45device_block_merge_mergepath_partition_kernelINS1_37wrapped_merge_sort_block_merge_configINS0_14default_configElN2at4cuda3cub6detail10OpaqueTypeILi8EEEEEPljNS1_19radix_merge_compareILb1ELb1ElNS0_19identity_decomposerEEEEEvT0_T1_jPSH_T2_SH_.num_named_barrier, 0
	.set _ZN7rocprim17ROCPRIM_304000_NS6detail45device_block_merge_mergepath_partition_kernelINS1_37wrapped_merge_sort_block_merge_configINS0_14default_configElN2at4cuda3cub6detail10OpaqueTypeILi8EEEEEPljNS1_19radix_merge_compareILb1ELb1ElNS0_19identity_decomposerEEEEEvT0_T1_jPSH_T2_SH_.private_seg_size, 0
	.set _ZN7rocprim17ROCPRIM_304000_NS6detail45device_block_merge_mergepath_partition_kernelINS1_37wrapped_merge_sort_block_merge_configINS0_14default_configElN2at4cuda3cub6detail10OpaqueTypeILi8EEEEEPljNS1_19radix_merge_compareILb1ELb1ElNS0_19identity_decomposerEEEEEvT0_T1_jPSH_T2_SH_.uses_vcc, 1
	.set _ZN7rocprim17ROCPRIM_304000_NS6detail45device_block_merge_mergepath_partition_kernelINS1_37wrapped_merge_sort_block_merge_configINS0_14default_configElN2at4cuda3cub6detail10OpaqueTypeILi8EEEEEPljNS1_19radix_merge_compareILb1ELb1ElNS0_19identity_decomposerEEEEEvT0_T1_jPSH_T2_SH_.uses_flat_scratch, 0
	.set _ZN7rocprim17ROCPRIM_304000_NS6detail45device_block_merge_mergepath_partition_kernelINS1_37wrapped_merge_sort_block_merge_configINS0_14default_configElN2at4cuda3cub6detail10OpaqueTypeILi8EEEEEPljNS1_19radix_merge_compareILb1ELb1ElNS0_19identity_decomposerEEEEEvT0_T1_jPSH_T2_SH_.has_dyn_sized_stack, 0
	.set _ZN7rocprim17ROCPRIM_304000_NS6detail45device_block_merge_mergepath_partition_kernelINS1_37wrapped_merge_sort_block_merge_configINS0_14default_configElN2at4cuda3cub6detail10OpaqueTypeILi8EEEEEPljNS1_19radix_merge_compareILb1ELb1ElNS0_19identity_decomposerEEEEEvT0_T1_jPSH_T2_SH_.has_recursion, 0
	.set _ZN7rocprim17ROCPRIM_304000_NS6detail45device_block_merge_mergepath_partition_kernelINS1_37wrapped_merge_sort_block_merge_configINS0_14default_configElN2at4cuda3cub6detail10OpaqueTypeILi8EEEEEPljNS1_19radix_merge_compareILb1ELb1ElNS0_19identity_decomposerEEEEEvT0_T1_jPSH_T2_SH_.has_indirect_call, 0
	.section	.AMDGPU.csdata,"",@progbits
; Kernel info:
; codeLenInByte = 344
; TotalNumSgprs: 16
; NumVgprs: 16
; NumAgprs: 0
; TotalNumVgprs: 16
; ScratchSize: 0
; MemoryBound: 0
; FloatMode: 240
; IeeeMode: 1
; LDSByteSize: 0 bytes/workgroup (compile time only)
; SGPRBlocks: 1
; VGPRBlocks: 1
; NumSGPRsForWavesPerEU: 16
; NumVGPRsForWavesPerEU: 16
; AccumOffset: 16
; Occupancy: 8
; WaveLimiterHint : 0
; COMPUTE_PGM_RSRC2:SCRATCH_EN: 0
; COMPUTE_PGM_RSRC2:USER_SGPR: 2
; COMPUTE_PGM_RSRC2:TRAP_HANDLER: 0
; COMPUTE_PGM_RSRC2:TGID_X_EN: 1
; COMPUTE_PGM_RSRC2:TGID_Y_EN: 0
; COMPUTE_PGM_RSRC2:TGID_Z_EN: 0
; COMPUTE_PGM_RSRC2:TIDIG_COMP_CNT: 0
; COMPUTE_PGM_RSRC3_GFX90A:ACCUM_OFFSET: 3
; COMPUTE_PGM_RSRC3_GFX90A:TG_SPLIT: 0
	.section	.text._ZN7rocprim17ROCPRIM_304000_NS6detail35device_block_merge_mergepath_kernelINS1_37wrapped_merge_sort_block_merge_configINS0_14default_configElN2at4cuda3cub6detail10OpaqueTypeILi8EEEEEPlSC_PSA_SD_jNS1_19radix_merge_compareILb1ELb1ElNS0_19identity_decomposerEEEEEvT0_T1_T2_T3_T4_SL_jT5_PKSL_NS1_7vsmem_tE,"axG",@progbits,_ZN7rocprim17ROCPRIM_304000_NS6detail35device_block_merge_mergepath_kernelINS1_37wrapped_merge_sort_block_merge_configINS0_14default_configElN2at4cuda3cub6detail10OpaqueTypeILi8EEEEEPlSC_PSA_SD_jNS1_19radix_merge_compareILb1ELb1ElNS0_19identity_decomposerEEEEEvT0_T1_T2_T3_T4_SL_jT5_PKSL_NS1_7vsmem_tE,comdat
	.protected	_ZN7rocprim17ROCPRIM_304000_NS6detail35device_block_merge_mergepath_kernelINS1_37wrapped_merge_sort_block_merge_configINS0_14default_configElN2at4cuda3cub6detail10OpaqueTypeILi8EEEEEPlSC_PSA_SD_jNS1_19radix_merge_compareILb1ELb1ElNS0_19identity_decomposerEEEEEvT0_T1_T2_T3_T4_SL_jT5_PKSL_NS1_7vsmem_tE ; -- Begin function _ZN7rocprim17ROCPRIM_304000_NS6detail35device_block_merge_mergepath_kernelINS1_37wrapped_merge_sort_block_merge_configINS0_14default_configElN2at4cuda3cub6detail10OpaqueTypeILi8EEEEEPlSC_PSA_SD_jNS1_19radix_merge_compareILb1ELb1ElNS0_19identity_decomposerEEEEEvT0_T1_T2_T3_T4_SL_jT5_PKSL_NS1_7vsmem_tE
	.globl	_ZN7rocprim17ROCPRIM_304000_NS6detail35device_block_merge_mergepath_kernelINS1_37wrapped_merge_sort_block_merge_configINS0_14default_configElN2at4cuda3cub6detail10OpaqueTypeILi8EEEEEPlSC_PSA_SD_jNS1_19radix_merge_compareILb1ELb1ElNS0_19identity_decomposerEEEEEvT0_T1_T2_T3_T4_SL_jT5_PKSL_NS1_7vsmem_tE
	.p2align	8
	.type	_ZN7rocprim17ROCPRIM_304000_NS6detail35device_block_merge_mergepath_kernelINS1_37wrapped_merge_sort_block_merge_configINS0_14default_configElN2at4cuda3cub6detail10OpaqueTypeILi8EEEEEPlSC_PSA_SD_jNS1_19radix_merge_compareILb1ELb1ElNS0_19identity_decomposerEEEEEvT0_T1_T2_T3_T4_SL_jT5_PKSL_NS1_7vsmem_tE,@function
_ZN7rocprim17ROCPRIM_304000_NS6detail35device_block_merge_mergepath_kernelINS1_37wrapped_merge_sort_block_merge_configINS0_14default_configElN2at4cuda3cub6detail10OpaqueTypeILi8EEEEEPlSC_PSA_SD_jNS1_19radix_merge_compareILb1ELb1ElNS0_19identity_decomposerEEEEEvT0_T1_T2_T3_T4_SL_jT5_PKSL_NS1_7vsmem_tE: ; @_ZN7rocprim17ROCPRIM_304000_NS6detail35device_block_merge_mergepath_kernelINS1_37wrapped_merge_sort_block_merge_configINS0_14default_configElN2at4cuda3cub6detail10OpaqueTypeILi8EEEEEPlSC_PSA_SD_jNS1_19radix_merge_compareILb1ELb1ElNS0_19identity_decomposerEEEEEvT0_T1_T2_T3_T4_SL_jT5_PKSL_NS1_7vsmem_tE
; %bb.0:
	s_load_dwordx2 s[36:37], s[0:1], 0x48
	s_load_dwordx4 s[16:19], s[0:1], 0x20
	s_add_u32 s34, s0, 0x48
	s_addc_u32 s35, s1, 0
	s_waitcnt lgkmcnt(0)
	s_mul_i32 s4, s37, s4
	s_add_i32 s3, s4, s3
	s_mul_i32 s3, s3, s36
	s_add_i32 s6, s3, s2
	s_cmp_ge_u32 s6, s18
	s_cbranch_scc1 .LBB105_103
; %bb.1:
	s_load_dwordx8 s[8:15], s[0:1], 0x0
	s_load_dwordx4 s[20:23], s[0:1], 0x30
	s_lshr_b32 s37, s16, 10
	s_cmp_lg_u32 s6, s37
	s_mov_b32 s7, 0
	s_cselect_b64 s[24:25], -1, 0
	s_lshl_b64 s[0:1], s[6:7], 2
	s_waitcnt lgkmcnt(0)
	s_add_u32 s0, s22, s0
	s_addc_u32 s1, s23, s1
	s_load_dwordx2 s[22:23], s[0:1], 0x0
	s_lshr_b32 s0, s17, 9
	s_and_b32 s0, s0, 0x7ffffe
	s_sub_i32 s0, 0, s0
	s_and_b32 s1, s6, s0
	s_lshl_b32 s3, s1, 10
	s_lshl_b32 s18, s6, 10
	s_lshl_b32 s1, s1, 11
	s_sub_i32 s4, s18, s3
	s_add_i32 s1, s1, s17
	s_add_i32 s4, s1, s4
	s_waitcnt lgkmcnt(0)
	s_sub_i32 s5, s4, s22
	s_sub_i32 s4, s4, s23
	;; [unrolled: 1-line block ×3, first 2 shown]
	s_min_u32 s26, s16, s5
	s_addk_i32 s4, 0x400
	s_or_b32 s0, s6, s0
	s_min_u32 s3, s16, s1
	s_add_i32 s1, s1, s17
	s_cmp_eq_u32 s0, -1
	s_cselect_b32 s0, s1, s4
	s_cselect_b32 s1, s3, s23
	s_min_u32 s0, s0, s16
	s_mov_b32 s23, s7
	s_sub_i32 s19, s1, s22
	s_sub_i32 s33, s0, s26
	s_lshl_b64 s[28:29], s[22:23], 3
	s_add_u32 s0, s8, s28
	s_mov_b32 s27, s7
	s_addc_u32 s1, s9, s29
	s_lshl_b64 s[30:31], s[26:27], 3
	s_add_u32 s4, s8, s30
	s_addc_u32 s5, s9, s31
	s_cmp_lt_u32 s2, s36
	v_mov_b32_e32 v19, 0
	s_cselect_b32 s2, 12, 18
	global_load_dword v1, v19, s[34:35] offset:14
	s_add_u32 s2, s34, s2
	s_addc_u32 s3, s35, 0
	global_load_ushort v2, v19, s[2:3]
	v_cmp_gt_u32_e32 vcc, s19, v0
	s_cmp_eq_u32 s6, s37
	v_lshlrev_b32_e32 v18, 3, v0
	s_waitcnt vmcnt(1)
	v_lshrrev_b32_e32 v3, 16, v1
	v_and_b32_e32 v1, 0xffff, v1
	v_mul_lo_u32 v1, v1, v3
	s_waitcnt vmcnt(0)
	v_mul_lo_u32 v1, v1, v2
	v_add_u32_e32 v20, v1, v0
	s_cbranch_scc1 .LBB105_3
; %bb.2:
	v_subrev_u32_e32 v4, s19, v0
	v_lshlrev_b32_e32 v4, 3, v4
	v_mov_b32_e32 v5, v19
	v_lshl_add_u64 v[2:3], s[0:1], 0, v[18:19]
	v_lshl_add_u64 v[4:5], s[4:5], 0, v[4:5]
	v_cndmask_b32_e32 v3, v5, v3, vcc
	v_cndmask_b32_e32 v2, v4, v2, vcc
	v_mov_b32_e32 v21, v19
	v_subrev_co_u32_e32 v6, vcc, s19, v20
	v_mov_b32_e32 v7, v19
	v_lshl_add_u64 v[4:5], v[20:21], 3, s[0:1]
	v_lshl_add_u64 v[6:7], v[6:7], 3, s[4:5]
	v_add_u32_e32 v8, v20, v1
	v_cndmask_b32_e32 v5, v7, v5, vcc
	v_cndmask_b32_e32 v4, v6, v4, vcc
	v_mov_b32_e32 v9, v19
	v_subrev_co_u32_e32 v10, vcc, s19, v8
	v_mov_b32_e32 v11, v19
	v_lshl_add_u64 v[6:7], v[8:9], 3, s[0:1]
	v_lshl_add_u64 v[10:11], v[10:11], 3, s[4:5]
	v_cndmask_b32_e32 v6, v10, v6, vcc
	v_add_u32_e32 v10, v8, v1
	v_cndmask_b32_e32 v7, v11, v7, vcc
	v_mov_b32_e32 v11, v19
	v_subrev_co_u32_e32 v12, vcc, s19, v10
	v_mov_b32_e32 v13, v19
	v_lshl_add_u64 v[8:9], v[10:11], 3, s[0:1]
	v_lshl_add_u64 v[12:13], v[12:13], 3, s[4:5]
	v_cndmask_b32_e32 v8, v12, v8, vcc
	v_add_u32_e32 v12, v10, v1
	;; [unrolled: 8-line block ×4, first 2 shown]
	v_cndmask_b32_e32 v13, v17, v13, vcc
	v_mov_b32_e32 v17, v19
	v_subrev_co_u32_e32 v22, vcc, s19, v16
	v_mov_b32_e32 v23, v19
	v_lshl_add_u64 v[14:15], v[16:17], 3, s[0:1]
	v_lshl_add_u64 v[22:23], v[22:23], 3, s[4:5]
	v_add_u32_e32 v16, v16, v1
	v_cndmask_b32_e32 v15, v23, v15, vcc
	v_cndmask_b32_e32 v14, v22, v14, vcc
	v_lshl_add_u64 v[22:23], v[16:17], 3, s[0:1]
	v_subrev_co_u32_e32 v16, vcc, s19, v16
	v_lshl_add_u64 v[16:17], v[16:17], 3, s[4:5]
	s_nop 0
	v_cndmask_b32_e32 v17, v17, v23, vcc
	v_cndmask_b32_e32 v16, v16, v22, vcc
	global_load_dwordx2 v[2:3], v[2:3], off
	s_add_i32 s17, s33, s19
	global_load_dwordx2 v[4:5], v[4:5], off
	s_nop 0
	global_load_dwordx2 v[6:7], v[6:7], off
	s_nop 0
	;; [unrolled: 2-line block ×6, first 2 shown]
	global_load_dwordx2 v[16:17], v[16:17], off
	s_cbranch_execz .LBB105_4
	s_branch .LBB105_21
.LBB105_3:
                                        ; implicit-def: $vgpr2_vgpr3_vgpr4_vgpr5_vgpr6_vgpr7_vgpr8_vgpr9_vgpr10_vgpr11_vgpr12_vgpr13_vgpr14_vgpr15_vgpr16_vgpr17
                                        ; implicit-def: $sgpr17
.LBB105_4:
	s_add_i32 s17, s33, s19
	s_waitcnt vmcnt(7)
	v_mov_b32_e32 v2, 0
	v_cmp_gt_u32_e32 vcc, s17, v0
	v_mov_b32_e32 v3, v2
	s_waitcnt vmcnt(6)
	v_mov_b32_e32 v4, v2
	v_mov_b32_e32 v5, v2
	s_waitcnt vmcnt(5)
	v_mov_b32_e32 v6, v2
	;; [unrolled: 3-line block ×7, first 2 shown]
	v_mov_b32_e32 v17, v2
	s_and_saveexec_b64 s[2:3], vcc
	s_cbranch_execz .LBB105_6
; %bb.5:
	v_subrev_u32_e32 v3, s19, v0
	v_mov_b32_e32 v19, v2
	v_lshlrev_b32_e32 v6, 3, v3
	v_mov_b32_e32 v7, v2
	v_lshl_add_u64 v[4:5], s[0:1], 0, v[18:19]
	v_lshl_add_u64 v[6:7], s[4:5], 0, v[6:7]
	v_cmp_gt_u32_e32 vcc, s19, v0
	v_mov_b32_e32 v24, v2
	v_mov_b32_e32 v25, v2
	v_cndmask_b32_e32 v5, v7, v5, vcc
	v_cndmask_b32_e32 v4, v6, v4, vcc
	global_load_dwordx2 v[22:23], v[4:5], off
	v_mov_b32_e32 v26, v2
	v_mov_b32_e32 v27, v2
	;; [unrolled: 1-line block ×12, first 2 shown]
	s_waitcnt vmcnt(0)
	v_mov_b64_e32 v[2:3], v[22:23]
	v_mov_b64_e32 v[4:5], v[24:25]
	;; [unrolled: 1-line block ×8, first 2 shown]
.LBB105_6:
	s_or_b64 exec, exec, s[2:3]
	v_cmp_gt_u32_e32 vcc, s17, v20
	s_and_saveexec_b64 s[2:3], vcc
	s_cbranch_execz .LBB105_8
; %bb.7:
	v_mov_b32_e32 v21, 0
	v_subrev_co_u32_e32 v22, vcc, s19, v20
	v_mov_b32_e32 v23, v21
	v_lshl_add_u64 v[4:5], v[20:21], 3, s[0:1]
	v_lshl_add_u64 v[22:23], v[22:23], 3, s[4:5]
	v_cndmask_b32_e32 v5, v23, v5, vcc
	v_cndmask_b32_e32 v4, v22, v4, vcc
	global_load_dwordx2 v[4:5], v[4:5], off
.LBB105_8:
	s_or_b64 exec, exec, s[2:3]
	v_add_u32_e32 v20, v20, v1
	v_cmp_gt_u32_e32 vcc, s17, v20
	s_and_saveexec_b64 s[2:3], vcc
	s_cbranch_execz .LBB105_10
; %bb.9:
	v_mov_b32_e32 v21, 0
	v_subrev_co_u32_e32 v22, vcc, s19, v20
	v_mov_b32_e32 v23, v21
	v_lshl_add_u64 v[6:7], v[20:21], 3, s[0:1]
	v_lshl_add_u64 v[22:23], v[22:23], 3, s[4:5]
	v_cndmask_b32_e32 v7, v23, v7, vcc
	v_cndmask_b32_e32 v6, v22, v6, vcc
	global_load_dwordx2 v[6:7], v[6:7], off
.LBB105_10:
	s_or_b64 exec, exec, s[2:3]
	v_add_u32_e32 v20, v20, v1
	;; [unrolled: 15-line block ×6, first 2 shown]
	v_cmp_gt_u32_e32 vcc, s17, v20
	s_and_saveexec_b64 s[2:3], vcc
	s_cbranch_execz .LBB105_20
; %bb.19:
	v_mov_b32_e32 v21, 0
	v_lshl_add_u64 v[16:17], v[20:21], 3, s[0:1]
	v_subrev_co_u32_e32 v20, vcc, s19, v20
	v_lshl_add_u64 v[20:21], v[20:21], 3, s[4:5]
	s_nop 0
	v_cndmask_b32_e32 v17, v21, v17, vcc
	v_cndmask_b32_e32 v16, v20, v16, vcc
	global_load_dwordx2 v[16:17], v[16:17], off
.LBB105_20:
	s_or_b64 exec, exec, s[2:3]
.LBB105_21:
	v_min_u32_e32 v1, s17, v18
	v_sub_u32_e64 v19, v1, s33 clamp
	v_min_u32_e32 v20, s19, v1
	v_cmp_lt_u32_e32 vcc, v19, v20
	s_waitcnt vmcnt(0)
	ds_write2st64_b64 v18, v[2:3], v[4:5] offset1:2
	ds_write2st64_b64 v18, v[6:7], v[8:9] offset0:4 offset1:6
	ds_write2st64_b64 v18, v[10:11], v[12:13] offset0:8 offset1:10
	;; [unrolled: 1-line block ×3, first 2 shown]
	s_waitcnt lgkmcnt(0)
	s_barrier
	s_and_saveexec_b64 s[0:1], vcc
	s_cbranch_execz .LBB105_25
; %bb.22:
	v_lshlrev_b32_e32 v21, 3, v1
	v_lshl_add_u32 v21, s19, 3, v21
	s_mov_b64 s[2:3], 0
.LBB105_23:                             ; =>This Inner Loop Header: Depth=1
	v_add_u32_e32 v22, v20, v19
	v_lshrrev_b32_e32 v26, 1, v22
	v_not_b32_e32 v24, v26
	v_lshlrev_b32_e32 v22, 3, v26
	v_lshl_add_u32 v24, v24, 3, v21
	ds_read_b64 v[22:23], v22
	ds_read_b64 v[24:25], v24
	v_add_u32_e32 v27, 1, v26
	s_waitcnt lgkmcnt(1)
	v_and_b32_e32 v23, s21, v23
	v_and_b32_e32 v22, s20, v22
	s_waitcnt lgkmcnt(0)
	v_and_b32_e32 v25, s21, v25
	v_and_b32_e32 v24, s20, v24
	v_cmp_gt_i64_e32 vcc, v[24:25], v[22:23]
	s_nop 1
	v_cndmask_b32_e32 v20, v20, v26, vcc
	v_cndmask_b32_e32 v19, v27, v19, vcc
	v_cmp_ge_u32_e32 vcc, v19, v20
	s_or_b64 s[2:3], vcc, s[2:3]
	s_andn2_b64 exec, exec, s[2:3]
	s_cbranch_execnz .LBB105_23
; %bb.24:
	s_or_b64 exec, exec, s[2:3]
.LBB105_25:
	s_or_b64 exec, exec, s[0:1]
	v_sub_u32_e32 v1, v1, v19
	v_add_u32_e32 v20, s19, v1
	v_cmp_ge_u32_e32 vcc, s19, v19
	v_cmp_ge_u32_e64 s[0:1], s17, v20
	s_or_b64 s[0:1], vcc, s[0:1]
	v_mov_b32_e32 v28, 0
	v_mov_b32_e32 v30, 0
	;; [unrolled: 1-line block ×8, first 2 shown]
	s_and_saveexec_b64 s[34:35], s[0:1]
	s_cbranch_execz .LBB105_31
; %bb.26:
	v_cmp_gt_u32_e32 vcc, s19, v19
                                        ; implicit-def: $vgpr2_vgpr3
	s_and_saveexec_b64 s[0:1], vcc
; %bb.27:
	v_lshlrev_b32_e32 v1, 3, v19
	ds_read_b64 v[2:3], v1
; %bb.28:
	s_or_b64 exec, exec, s[0:1]
	v_cmp_le_u32_e64 s[0:1], s17, v20
	v_cmp_gt_u32_e64 s[2:3], s17, v20
                                        ; implicit-def: $vgpr4_vgpr5
	s_and_saveexec_b64 s[4:5], s[2:3]
; %bb.29:
	v_lshlrev_b32_e32 v1, 3, v20
	ds_read_b64 v[4:5], v1
; %bb.30:
	s_or_b64 exec, exec, s[4:5]
	s_waitcnt lgkmcnt(0)
	v_and_b32_e32 v7, s21, v5
	v_and_b32_e32 v6, s20, v4
	;; [unrolled: 1-line block ×4, first 2 shown]
	v_cmp_le_i64_e64 s[2:3], v[6:7], v[8:9]
	s_and_b64 s[2:3], vcc, s[2:3]
	s_or_b64 vcc, s[0:1], s[2:3]
	v_mov_b32_e32 v16, s17
	v_mov_b32_e32 v17, s19
	v_cndmask_b32_e32 v1, v20, v19, vcc
	v_cndmask_b32_e32 v6, v16, v17, vcc
	v_add_u32_e32 v8, 1, v1
	v_add_u32_e32 v6, -1, v6
	v_min_u32_e32 v6, v8, v6
	v_lshlrev_b32_e32 v6, 3, v6
	ds_read_b64 v[6:7], v6
	v_cndmask_b32_e32 v14, v8, v20, vcc
	v_cndmask_b32_e32 v15, v19, v8, vcc
	v_cmp_gt_u32_e64 s[2:3], s19, v15
	v_cmp_le_u32_e64 s[0:1], s17, v14
	s_waitcnt lgkmcnt(0)
	v_cndmask_b32_e32 v10, v7, v5, vcc
	v_cndmask_b32_e32 v11, v6, v4, vcc
	;; [unrolled: 1-line block ×4, first 2 shown]
	v_and_b32_e32 v7, s21, v10
	v_and_b32_e32 v6, s20, v11
	;; [unrolled: 1-line block ×4, first 2 shown]
	v_cmp_le_i64_e64 s[4:5], v[6:7], v[8:9]
	s_and_b64 s[2:3], s[2:3], s[4:5]
	s_or_b64 s[0:1], s[0:1], s[2:3]
	v_cndmask_b32_e64 v24, v14, v15, s[0:1]
	v_cndmask_b32_e64 v6, v16, v17, s[0:1]
	v_add_u32_e32 v8, 1, v24
	v_add_u32_e32 v6, -1, v6
	v_min_u32_e32 v6, v8, v6
	v_lshlrev_b32_e32 v6, 3, v6
	ds_read_b64 v[6:7], v6
	v_cndmask_b32_e64 v14, v8, v14, s[0:1]
	v_cndmask_b32_e64 v15, v15, v8, s[0:1]
	v_cmp_gt_u32_e64 s[4:5], s19, v15
	v_cmp_le_u32_e64 s[2:3], s17, v14
	s_waitcnt lgkmcnt(0)
	v_cndmask_b32_e64 v19, v7, v10, s[0:1]
	v_cndmask_b32_e64 v20, v6, v11, s[0:1]
	;; [unrolled: 1-line block ×4, first 2 shown]
	v_and_b32_e32 v7, s21, v19
	v_and_b32_e32 v6, s20, v20
	;; [unrolled: 1-line block ×4, first 2 shown]
	v_cmp_le_i64_e64 s[6:7], v[6:7], v[8:9]
	s_and_b64 s[4:5], s[4:5], s[6:7]
	s_or_b64 s[2:3], s[2:3], s[4:5]
	v_cndmask_b32_e64 v25, v14, v15, s[2:3]
	v_cndmask_b32_e64 v6, v16, v17, s[2:3]
	v_add_u32_e32 v8, 1, v25
	v_add_u32_e32 v6, -1, v6
	v_min_u32_e32 v6, v8, v6
	v_lshlrev_b32_e32 v6, 3, v6
	ds_read_b64 v[6:7], v6
	v_cndmask_b32_e64 v14, v8, v14, s[2:3]
	v_cndmask_b32_e64 v15, v15, v8, s[2:3]
	v_cmp_gt_u32_e64 s[6:7], s19, v15
	v_cmp_le_u32_e64 s[4:5], s17, v14
	s_waitcnt lgkmcnt(0)
	v_cndmask_b32_e64 v23, v7, v19, s[2:3]
	v_cndmask_b32_e64 v28, v6, v20, s[2:3]
	;; [unrolled: 1-line block ×4, first 2 shown]
	v_and_b32_e32 v7, s21, v23
	v_and_b32_e32 v6, s20, v28
	;; [unrolled: 1-line block ×4, first 2 shown]
	v_cmp_le_i64_e64 s[8:9], v[6:7], v[8:9]
	s_and_b64 s[6:7], s[6:7], s[8:9]
	s_or_b64 s[4:5], s[4:5], s[6:7]
	v_cndmask_b32_e64 v26, v14, v15, s[4:5]
	v_cndmask_b32_e64 v6, v16, v17, s[4:5]
	v_add_u32_e32 v8, 1, v26
	v_add_u32_e32 v6, -1, v6
	v_min_u32_e32 v6, v8, v6
	v_lshlrev_b32_e32 v6, 3, v6
	ds_read_b64 v[6:7], v6
	v_cndmask_b32_e32 v3, v5, v3, vcc
	v_cndmask_b32_e32 v2, v4, v2, vcc
	v_cndmask_b32_e64 v15, v15, v8, s[4:5]
	v_cndmask_b32_e64 v14, v8, v14, s[4:5]
	s_waitcnt lgkmcnt(0)
	v_cndmask_b32_e64 v32, v7, v23, s[4:5]
	v_cndmask_b32_e64 v33, v6, v28, s[4:5]
	;; [unrolled: 1-line block ×4, first 2 shown]
	v_and_b32_e32 v5, s21, v32
	v_and_b32_e32 v4, s20, v33
	;; [unrolled: 1-line block ×4, first 2 shown]
	v_cmp_gt_u32_e64 s[6:7], s19, v15
	v_cmp_le_i64_e64 s[8:9], v[4:5], v[6:7]
	v_cmp_le_u32_e32 vcc, s17, v14
	s_and_b64 s[6:7], s[6:7], s[8:9]
	s_or_b64 vcc, vcc, s[6:7]
	v_cndmask_b32_e32 v27, v14, v15, vcc
	v_cndmask_b32_e32 v4, v16, v17, vcc
	v_add_u32_e32 v29, 1, v27
	v_add_u32_e32 v4, -1, v4
	v_min_u32_e32 v4, v29, v4
	v_lshlrev_b32_e32 v4, 3, v4
	ds_read_b64 v[8:9], v4
	v_cndmask_b32_e64 v7, v19, v21, s[2:3]
	v_cndmask_b32_e64 v6, v20, v22, s[2:3]
	;; [unrolled: 1-line block ×4, first 2 shown]
	s_waitcnt lgkmcnt(0)
	v_cndmask_b32_e32 v19, v9, v32, vcc
	v_cndmask_b32_e32 v20, v8, v33, vcc
	;; [unrolled: 1-line block ×5, first 2 shown]
	v_and_b32_e32 v9, s21, v19
	v_and_b32_e32 v8, s20, v20
	;; [unrolled: 1-line block ×4, first 2 shown]
	v_cndmask_b32_e32 v14, v29, v14, vcc
	v_cmp_gt_u32_e64 s[2:3], s19, v15
	v_cmp_le_i64_e64 s[6:7], v[8:9], v[10:11]
	v_cmp_le_u32_e64 s[0:1], s17, v14
	s_and_b64 s[2:3], s[2:3], s[6:7]
	s_or_b64 s[0:1], s[0:1], s[2:3]
	v_cndmask_b32_e64 v29, v14, v15, s[0:1]
	v_cndmask_b32_e64 v8, v16, v17, s[0:1]
	v_add_u32_e32 v36, 1, v29
	v_add_u32_e32 v8, -1, v8
	v_min_u32_e32 v8, v36, v8
	v_lshlrev_b32_e32 v8, 3, v8
	ds_read_b64 v[12:13], v8
	v_cndmask_b32_e64 v9, v23, v30, s[4:5]
	v_cndmask_b32_e64 v8, v28, v31, s[4:5]
	v_cndmask_b32_e32 v11, v32, v34, vcc
	v_cndmask_b32_e32 v10, v33, v35, vcc
	s_waitcnt lgkmcnt(0)
	v_cndmask_b32_e64 v23, v13, v19, s[0:1]
	v_cndmask_b32_e64 v28, v12, v20, s[0:1]
	;; [unrolled: 1-line block ×6, first 2 shown]
	v_and_b32_e32 v13, s21, v23
	v_and_b32_e32 v12, s20, v28
	;; [unrolled: 1-line block ×4, first 2 shown]
	v_cmp_gt_u32_e64 s[2:3], s19, v34
	v_cmp_le_i64_e64 s[4:5], v[12:13], v[14:15]
	v_cmp_le_u32_e32 vcc, s17, v33
	s_and_b64 s[2:3], s[2:3], s[4:5]
	s_or_b64 vcc, vcc, s[2:3]
	v_cndmask_b32_e32 v30, v33, v34, vcc
	v_cndmask_b32_e32 v12, v16, v17, vcc
	v_add_u32_e32 v35, 1, v30
	v_add_u32_e32 v12, -1, v12
	v_min_u32_e32 v12, v35, v12
	v_lshlrev_b32_e32 v12, 3, v12
	ds_read_b64 v[16:17], v12
	v_cndmask_b32_e64 v13, v19, v21, s[0:1]
	v_cndmask_b32_e64 v12, v20, v22, s[0:1]
	v_cndmask_b32_e32 v15, v23, v31, vcc
	v_cndmask_b32_e32 v14, v28, v32, vcc
	s_waitcnt lgkmcnt(0)
	v_cndmask_b32_e32 v19, v17, v23, vcc
	v_cndmask_b32_e32 v22, v16, v28, vcc
	;; [unrolled: 1-line block ×5, first 2 shown]
	v_and_b32_e32 v17, s21, v19
	v_and_b32_e32 v16, s20, v22
	;; [unrolled: 1-line block ×4, first 2 shown]
	v_cndmask_b32_e32 v28, v35, v33, vcc
	v_cmp_gt_u32_e64 s[0:1], s19, v32
	v_cmp_le_i64_e64 s[2:3], v[16:17], v[20:21]
	v_cmp_le_u32_e32 vcc, s17, v28
	s_and_b64 s[0:1], s[0:1], s[2:3]
	s_or_b64 vcc, vcc, s[0:1]
	v_cndmask_b32_e32 v28, v28, v32, vcc
	v_cndmask_b32_e32 v17, v19, v23, vcc
	;; [unrolled: 1-line block ×3, first 2 shown]
.LBB105_31:
	s_or_b64 exec, exec, s[34:35]
	s_add_u32 s8, s12, s28
	s_addc_u32 s9, s13, s29
	s_add_u32 s6, s12, s30
	v_cndmask_b32_e64 v19, 0, 1, s[24:25]
	v_mov_b32_e32 v21, 0
	s_addc_u32 s7, s13, s31
	v_cmp_gt_u32_e64 s[4:5], s19, v0
	v_cmp_ne_u32_e64 s[0:1], 1, v19
	s_andn2_b64 vcc, exec, s[24:25]
	v_cmp_le_u32_e64 s[2:3], s19, v0
	s_barrier
	s_cbranch_vccnz .LBB105_33
; %bb.32:
	v_subrev_u32_e32 v19, s19, v0
	v_lshlrev_b32_e32 v20, 3, v19
	v_mov_b32_e32 v19, v21
	v_lshl_add_u64 v[32:33], s[8:9], 0, v[18:19]
	v_or_b32_e32 v19, 0x80, v0
	v_lshl_add_u64 v[22:23], s[6:7], 0, v[20:21]
	v_subrev_u32_e32 v20, s19, v19
	v_cndmask_b32_e64 v23, v23, v33, s[4:5]
	v_cndmask_b32_e64 v22, v22, v32, s[4:5]
	v_min_u32_e32 v20, v19, v20
	v_mov_b32_e32 v31, s7
	v_mov_b32_e32 v46, s9
	v_cmp_gt_u32_e32 vcc, s19, v19
	v_mov_b32_e32 v47, s6
	v_mov_b32_e32 v48, s8
	global_load_dwordx2 v[32:33], v[22:23], off
	v_cndmask_b32_e32 v23, v31, v46, vcc
	v_cndmask_b32_e32 v22, v47, v48, vcc
	v_lshlrev_b32_e32 v20, 3, v20
	v_or_b32_e32 v19, 0x100, v0
	v_lshl_add_u64 v[22:23], v[22:23], 0, v[20:21]
	v_subrev_u32_e32 v20, s19, v19
	v_min_u32_e32 v20, v19, v20
	v_cmp_gt_u32_e32 vcc, s19, v19
	global_load_dwordx2 v[34:35], v[22:23], off
	v_lshlrev_b32_e32 v20, 3, v20
	v_cndmask_b32_e32 v23, v31, v46, vcc
	v_cndmask_b32_e32 v22, v47, v48, vcc
	v_or_b32_e32 v19, 0x180, v0
	v_lshl_add_u64 v[22:23], v[22:23], 0, v[20:21]
	v_subrev_u32_e32 v20, s19, v19
	v_min_u32_e32 v20, v19, v20
	v_cmp_gt_u32_e32 vcc, s19, v19
	global_load_dwordx2 v[36:37], v[22:23], off
	v_lshlrev_b32_e32 v20, 3, v20
	v_cndmask_b32_e32 v23, v31, v46, vcc
	v_cndmask_b32_e32 v22, v47, v48, vcc
	;; [unrolled: 9-line block ×5, first 2 shown]
	v_lshl_add_u64 v[20:21], v[22:23], 0, v[20:21]
	global_load_dwordx2 v[44:45], v[20:21], off
	v_or_b32_e32 v19, 0x380, v0
	v_subrev_u32_e32 v20, s19, v19
	v_cmp_gt_u32_e32 vcc, s19, v19
	v_min_u32_e32 v22, v19, v20
	s_nop 0
	v_cndmask_b32_e32 v21, v31, v46, vcc
	v_cndmask_b32_e32 v20, v47, v48, vcc
	s_mov_b64 s[4:5], -1
	s_waitcnt vmcnt(5)
	ds_write2st64_b64 v18, v[32:33], v[34:35] offset1:2
	s_waitcnt vmcnt(3)
	ds_write2st64_b64 v18, v[36:37], v[38:39] offset0:4 offset1:6
	s_waitcnt vmcnt(1)
	ds_write2st64_b64 v18, v[40:41], v[42:43] offset0:8 offset1:10
	s_waitcnt vmcnt(0)
	ds_write_b64 v18, v[44:45] offset:6144
	s_cbranch_execz .LBB105_34
	s_branch .LBB105_65
.LBB105_33:
	s_mov_b64 s[4:5], 0
                                        ; implicit-def: $vgpr19
                                        ; implicit-def: $vgpr20_vgpr21
                                        ; implicit-def: $vgpr22
.LBB105_34:
	s_mov_b64 s[4:5], 0
                                        ; implicit-def: $vgpr20_vgpr21
	s_and_saveexec_b64 s[20:21], s[2:3]
	s_xor_b64 s[2:3], exec, s[20:21]
	s_cbranch_execnz .LBB105_104
; %bb.35:
	s_andn2_saveexec_b64 s[2:3], s[2:3]
	s_cbranch_execnz .LBB105_107
.LBB105_36:
	s_or_b64 exec, exec, s[2:3]
	s_and_saveexec_b64 s[2:3], s[4:5]
	s_cbranch_execz .LBB105_38
.LBB105_37:
	global_load_dwordx2 v[20:21], v[20:21], off
	s_waitcnt vmcnt(0)
	ds_write_b64 v18, v[20:21]
.LBB105_38:
	s_or_b64 exec, exec, s[2:3]
	v_or_b32_e32 v19, 0x80, v0
	v_cmp_le_u32_e32 vcc, s19, v19
	s_mov_b64 s[2:3], -1
	v_mov_b64_e32 v[20:21], s[22:23]
	s_and_saveexec_b64 s[4:5], vcc
; %bb.39:
	v_subrev_u32_e32 v19, s19, v19
	v_cmp_gt_u32_e32 vcc, s33, v19
	v_mov_b64_e32 v[20:21], s[26:27]
	s_orn2_b64 s[2:3], vcc, exec
; %bb.40:
	s_or_b64 exec, exec, s[4:5]
	s_and_saveexec_b64 s[4:5], s[2:3]
	s_cbranch_execz .LBB105_42
; %bb.41:
	v_lshl_add_u64 v[20:21], v[20:21], 3, s[12:13]
	v_lshlrev_b32_e32 v22, 3, v19
	v_mov_b32_e32 v23, 0
	v_lshl_add_u64 v[20:21], v[20:21], 0, v[22:23]
	global_load_dwordx2 v[20:21], v[20:21], off
	s_waitcnt vmcnt(0)
	ds_write_b64 v18, v[20:21] offset:1024
.LBB105_42:
	s_or_b64 exec, exec, s[4:5]
	v_or_b32_e32 v19, 0x100, v0
	v_cmp_le_u32_e32 vcc, s19, v19
	s_mov_b64 s[2:3], -1
	v_mov_b64_e32 v[20:21], s[22:23]
	s_and_saveexec_b64 s[4:5], vcc
; %bb.43:
	v_subrev_u32_e32 v19, s19, v19
	v_cmp_gt_u32_e32 vcc, s33, v19
	v_mov_b64_e32 v[20:21], s[26:27]
	s_orn2_b64 s[2:3], vcc, exec
; %bb.44:
	s_or_b64 exec, exec, s[4:5]
	s_and_saveexec_b64 s[4:5], s[2:3]
	s_cbranch_execz .LBB105_46
; %bb.45:
	v_lshl_add_u64 v[20:21], v[20:21], 3, s[12:13]
	v_lshlrev_b32_e32 v22, 3, v19
	v_mov_b32_e32 v23, 0
	v_lshl_add_u64 v[20:21], v[20:21], 0, v[22:23]
	global_load_dwordx2 v[20:21], v[20:21], off
	s_waitcnt vmcnt(0)
	ds_write_b64 v18, v[20:21] offset:2048
.LBB105_46:
	;; [unrolled: 24-line block ×6, first 2 shown]
	s_or_b64 exec, exec, s[4:5]
	v_or_b32_e32 v19, 0x380, v0
	v_cmp_le_u32_e32 vcc, s19, v19
	s_mov_b64 s[4:5], -1
	v_mov_b64_e32 v[20:21], s[8:9]
	v_mov_b32_e32 v22, v19
	s_and_saveexec_b64 s[2:3], vcc
; %bb.63:
	v_subrev_u32_e32 v22, s19, v19
	v_cmp_gt_u32_e32 vcc, s33, v22
	v_mov_b64_e32 v[20:21], s[6:7]
	s_orn2_b64 s[4:5], vcc, exec
; %bb.64:
	s_or_b64 exec, exec, s[2:3]
.LBB105_65:
	s_and_saveexec_b64 s[2:3], s[4:5]
	s_cbranch_execz .LBB105_67
; %bb.66:
	v_mov_b32_e32 v23, 0
	v_lshl_add_u64 v[20:21], v[22:23], 3, v[20:21]
	global_load_dwordx2 v[20:21], v[20:21], off
	v_lshlrev_b32_e32 v19, 3, v19
	s_waitcnt vmcnt(0)
	ds_write_b64 v19, v[20:21]
.LBB105_67:
	s_or_b64 exec, exec, s[2:3]
	s_and_b64 vcc, exec, s[0:1]
	v_add_u32_e32 v20, s18, v18
	s_waitcnt lgkmcnt(0)
	s_barrier
	s_cbranch_vccnz .LBB105_69
; %bb.68:
	v_lshlrev_b32_e32 v19, 3, v1
	v_lshlrev_b32_e32 v22, 3, v24
	;; [unrolled: 1-line block ×4, first 2 shown]
	ds_read_b64 v[34:35], v19
	ds_read_b64 v[36:37], v22
	;; [unrolled: 1-line block ×4, first 2 shown]
	v_lshlrev_b32_e32 v19, 3, v27
	v_lshlrev_b32_e32 v22, 3, v29
	v_lshlrev_b32_e32 v23, 3, v30
	ds_read_b64 v[42:43], v19
	ds_read_b64 v[44:45], v22
	;; [unrolled: 1-line block ×3, first 2 shown]
	v_mov_b32_e32 v21, 0
	v_lshl_add_u64 v[32:33], v[20:21], 3, s[14:15]
	s_mov_b64 s[0:1], -1
	s_waitcnt lgkmcnt(5)
	global_store_dwordx4 v[32:33], v[34:37], off
	s_waitcnt lgkmcnt(3)
	global_store_dwordx4 v[32:33], v[38:41], off offset:16
	s_waitcnt lgkmcnt(1)
	global_store_dwordx4 v[32:33], v[42:45], off offset:32
	s_waitcnt lgkmcnt(0)
	global_store_dwordx2 v[32:33], v[22:23], off offset:48
	s_cbranch_execz .LBB105_70
	s_branch .LBB105_87
.LBB105_69:
	s_mov_b64 s[0:1], 0
.LBB105_70:
	v_cmp_gt_u32_e32 vcc, s17, v18
	s_and_saveexec_b64 s[2:3], vcc
	s_cbranch_execz .LBB105_72
; %bb.71:
	v_lshlrev_b32_e32 v1, 3, v1
	ds_read_b64 v[22:23], v1
	v_mov_b32_e32 v21, 0
	v_lshl_add_u64 v[32:33], v[20:21], 3, s[14:15]
	s_waitcnt lgkmcnt(0)
	global_store_dwordx2 v[32:33], v[22:23], off
.LBB105_72:
	s_or_b64 exec, exec, s[2:3]
	v_or_b32_e32 v1, 1, v18
	v_cmp_gt_u32_e32 vcc, s17, v1
	s_and_saveexec_b64 s[2:3], vcc
	s_cbranch_execz .LBB105_74
; %bb.73:
	v_lshlrev_b32_e32 v1, 3, v24
	ds_read_b64 v[22:23], v1
	v_mov_b32_e32 v21, 0
	v_lshl_add_u64 v[32:33], v[20:21], 3, s[14:15]
	s_waitcnt lgkmcnt(0)
	global_store_dwordx2 v[32:33], v[22:23], off offset:8
.LBB105_74:
	s_or_b64 exec, exec, s[2:3]
	v_or_b32_e32 v1, 2, v18
	v_cmp_gt_u32_e32 vcc, s17, v1
	s_and_saveexec_b64 s[2:3], vcc
	s_cbranch_execz .LBB105_76
; %bb.75:
	v_lshlrev_b32_e32 v1, 3, v25
	ds_read_b64 v[22:23], v1
	v_mov_b32_e32 v21, 0
	v_lshl_add_u64 v[24:25], v[20:21], 3, s[14:15]
	s_waitcnt lgkmcnt(0)
	global_store_dwordx2 v[24:25], v[22:23], off offset:16
.LBB105_76:
	;; [unrolled: 13-line block ×6, first 2 shown]
	s_or_b64 exec, exec, s[2:3]
	v_or_b32_e32 v1, 7, v18
	v_cmp_gt_u32_e32 vcc, s17, v1
	s_and_saveexec_b64 s[2:3], vcc
; %bb.85:
	v_mov_b32_e32 v21, 0
	s_or_b64 s[0:1], s[0:1], exec
; %bb.86:
	s_or_b64 exec, exec, s[2:3]
.LBB105_87:
	s_and_saveexec_b64 s[2:3], s[0:1]
	s_cbranch_execz .LBB105_89
; %bb.88:
	v_lshlrev_b32_e32 v1, 3, v28
	ds_read_b64 v[22:23], v1
	v_lshl_add_u64 v[20:21], v[20:21], 3, s[14:15]
	s_waitcnt lgkmcnt(0)
	global_store_dwordx2 v[20:21], v[22:23], off offset:56
.LBB105_89:
	s_or_b64 exec, exec, s[2:3]
	v_lshrrev_b32_e32 v1, 2, v0
	v_lshlrev_b32_e32 v19, 3, v18
	v_lshl_add_u32 v19, v1, 3, v19
	v_and_b32_e32 v1, 24, v1
	v_or_b32_e32 v23, 0x80, v0
	v_add_u32_e32 v24, v1, v18
	v_lshrrev_b32_e32 v1, 2, v23
	v_and_b32_e32 v1, 56, v1
	v_or_b32_e32 v22, 0x100, v0
	s_barrier
	s_barrier
	ds_write2_b64 v19, v[2:3], v[4:5] offset1:1
	ds_write2_b64 v19, v[6:7], v[8:9] offset0:2 offset1:3
	ds_write2_b64 v19, v[10:11], v[12:13] offset0:4 offset1:5
	;; [unrolled: 1-line block ×3, first 2 shown]
	v_add_u32_e32 v4, v1, v18
	v_lshrrev_b32_e32 v1, 2, v22
	v_and_b32_e32 v1, 0x58, v1
	v_or_b32_e32 v21, 0x180, v0
	v_add_u32_e32 v5, v1, v18
	v_lshrrev_b32_e32 v1, 2, v21
	v_and_b32_e32 v1, 0x78, v1
	v_or_b32_e32 v20, 0x200, v0
	;; [unrolled: 4-line block ×4, first 2 shown]
	v_add_u32_e32 v25, v1, v18
	v_lshrrev_b32_e32 v1, 2, v16
	s_mov_b32 s19, 0
	v_and_b32_e32 v1, 0xd8, v1
	s_lshl_b64 s[0:1], s[18:19], 3
	v_add_u32_e32 v26, v1, v18
	v_or_b32_e32 v1, 0x380, v0
	s_add_u32 s0, s10, s0
	v_lshrrev_b32_e32 v2, 2, v1
	s_addc_u32 s1, s11, s1
	v_and_b32_e32 v2, 0xf8, v2
	v_mov_b32_e32 v19, 0
	v_add_u32_e32 v27, v2, v18
	v_lshl_add_u64 v[2:3], s[0:1], 0, v[18:19]
	s_and_b64 vcc, exec, s[24:25]
	s_waitcnt lgkmcnt(0)
	s_cbranch_vccz .LBB105_91
; %bb.90:
	s_barrier
	ds_read_b64 v[8:9], v24
	ds_read_b64 v[10:11], v4 offset:1024
	ds_read_b64 v[12:13], v5 offset:2048
	;; [unrolled: 1-line block ×7, first 2 shown]
	s_waitcnt lgkmcnt(7)
	global_store_dwordx2 v[2:3], v[8:9], off
	s_waitcnt lgkmcnt(6)
	global_store_dwordx2 v[2:3], v[10:11], off offset:1024
	s_waitcnt lgkmcnt(5)
	global_store_dwordx2 v[2:3], v[12:13], off offset:2048
	;; [unrolled: 2-line block ×3, first 2 shown]
	v_add_co_u32_e32 v8, vcc, 0x1000, v2
	s_nop 1
	v_addc_co_u32_e32 v9, vcc, 0, v3, vcc
	s_waitcnt lgkmcnt(3)
	global_store_dwordx2 v[8:9], v[28:29], off
	s_waitcnt lgkmcnt(2)
	global_store_dwordx2 v[8:9], v[30:31], off offset:1024
	s_waitcnt lgkmcnt(1)
	global_store_dwordx2 v[8:9], v[32:33], off offset:2048
	s_mov_b64 s[0:1], -1
	s_cbranch_execz .LBB105_92
	s_branch .LBB105_101
.LBB105_91:
	s_mov_b64 s[0:1], 0
                                        ; implicit-def: $vgpr18_vgpr19
.LBB105_92:
	s_barrier
	s_waitcnt lgkmcnt(0)
	ds_read_b64 v[14:15], v4 offset:1024
	ds_read_b64 v[12:13], v5 offset:2048
	;; [unrolled: 1-line block ×7, first 2 shown]
	s_sub_i32 s2, s16, s18
	v_cmp_gt_u32_e32 vcc, s2, v0
	s_and_saveexec_b64 s[0:1], vcc
	s_cbranch_execnz .LBB105_108
; %bb.93:
	s_or_b64 exec, exec, s[0:1]
	v_cmp_gt_u32_e32 vcc, s2, v23
	s_and_saveexec_b64 s[0:1], vcc
	s_cbranch_execnz .LBB105_109
.LBB105_94:
	s_or_b64 exec, exec, s[0:1]
	v_cmp_gt_u32_e32 vcc, s2, v22
	s_and_saveexec_b64 s[0:1], vcc
	s_cbranch_execnz .LBB105_110
.LBB105_95:
	s_or_b64 exec, exec, s[0:1]
	v_cmp_gt_u32_e32 vcc, s2, v21
	s_and_saveexec_b64 s[0:1], vcc
	s_cbranch_execnz .LBB105_111
.LBB105_96:
	s_or_b64 exec, exec, s[0:1]
	v_cmp_gt_u32_e32 vcc, s2, v20
	s_and_saveexec_b64 s[0:1], vcc
	s_cbranch_execnz .LBB105_112
.LBB105_97:
	s_or_b64 exec, exec, s[0:1]
	v_cmp_gt_u32_e32 vcc, s2, v17
	s_and_saveexec_b64 s[0:1], vcc
	s_cbranch_execnz .LBB105_113
.LBB105_98:
	s_or_b64 exec, exec, s[0:1]
	v_cmp_gt_u32_e32 vcc, s2, v16
	s_and_saveexec_b64 s[0:1], vcc
	s_cbranch_execz .LBB105_100
.LBB105_99:
	s_waitcnt lgkmcnt(2)
	v_add_co_u32_e32 v6, vcc, 0x1000, v2
	s_nop 1
	v_addc_co_u32_e32 v7, vcc, 0, v3, vcc
	s_waitcnt lgkmcnt(1)
	global_store_dwordx2 v[6:7], v[4:5], off offset:2048
.LBB105_100:
	s_or_b64 exec, exec, s[0:1]
	v_cmp_gt_u32_e64 s[0:1], s2, v1
.LBB105_101:
	s_and_saveexec_b64 s[2:3], s[0:1]
	s_cbranch_execz .LBB105_103
; %bb.102:
	v_add_co_u32_e32 v0, vcc, 0x1000, v2
	s_nop 1
	v_addc_co_u32_e32 v1, vcc, 0, v3, vcc
	s_waitcnt lgkmcnt(0)
	global_store_dwordx2 v[0:1], v[18:19], off offset:3072
.LBB105_103:
	s_endpgm
.LBB105_104:
	v_subrev_u32_e32 v19, s19, v0
	v_cmp_gt_u32_e32 vcc, s33, v19
                                        ; implicit-def: $vgpr20_vgpr21
	s_and_saveexec_b64 s[20:21], vcc
	s_xor_b64 s[20:21], exec, s[20:21]
; %bb.105:
	v_lshlrev_b32_e32 v20, 3, v19
	v_mov_b32_e32 v21, 0
	s_mov_b64 s[4:5], exec
	v_lshl_add_u64 v[20:21], s[6:7], 0, v[20:21]
; %bb.106:
	s_or_b64 exec, exec, s[20:21]
	s_and_b64 s[4:5], s[4:5], exec
	s_andn2_saveexec_b64 s[2:3], s[2:3]
	s_cbranch_execz .LBB105_36
.LBB105_107:
	v_mov_b32_e32 v19, 0
	v_lshl_add_u64 v[20:21], s[8:9], 0, v[18:19]
	s_or_b64 s[4:5], s[4:5], exec
	s_or_b64 exec, exec, s[2:3]
	s_and_saveexec_b64 s[2:3], s[4:5]
	s_cbranch_execnz .LBB105_37
	s_branch .LBB105_38
.LBB105_108:
	ds_read_b64 v[24:25], v24
	s_waitcnt lgkmcnt(0)
	global_store_dwordx2 v[2:3], v[24:25], off
	s_or_b64 exec, exec, s[0:1]
	v_cmp_gt_u32_e32 vcc, s2, v23
	s_and_saveexec_b64 s[0:1], vcc
	s_cbranch_execz .LBB105_94
.LBB105_109:
	s_waitcnt lgkmcnt(6)
	global_store_dwordx2 v[2:3], v[14:15], off offset:1024
	s_or_b64 exec, exec, s[0:1]
	v_cmp_gt_u32_e32 vcc, s2, v22
	s_and_saveexec_b64 s[0:1], vcc
	s_cbranch_execz .LBB105_95
.LBB105_110:
	s_waitcnt lgkmcnt(5)
	global_store_dwordx2 v[2:3], v[12:13], off offset:2048
	s_or_b64 exec, exec, s[0:1]
	v_cmp_gt_u32_e32 vcc, s2, v21
	s_and_saveexec_b64 s[0:1], vcc
	s_cbranch_execz .LBB105_96
.LBB105_111:
	s_waitcnt lgkmcnt(4)
	global_store_dwordx2 v[2:3], v[10:11], off offset:3072
	s_or_b64 exec, exec, s[0:1]
	v_cmp_gt_u32_e32 vcc, s2, v20
	s_and_saveexec_b64 s[0:1], vcc
	s_cbranch_execz .LBB105_97
.LBB105_112:
	s_waitcnt lgkmcnt(4)
	v_add_co_u32_e32 v10, vcc, 0x1000, v2
	s_nop 1
	v_addc_co_u32_e32 v11, vcc, 0, v3, vcc
	s_waitcnt lgkmcnt(3)
	global_store_dwordx2 v[10:11], v[8:9], off
	s_or_b64 exec, exec, s[0:1]
	v_cmp_gt_u32_e32 vcc, s2, v17
	s_and_saveexec_b64 s[0:1], vcc
	s_cbranch_execz .LBB105_98
.LBB105_113:
	s_waitcnt lgkmcnt(3)
	v_add_co_u32_e32 v8, vcc, 0x1000, v2
	s_nop 1
	v_addc_co_u32_e32 v9, vcc, 0, v3, vcc
	s_waitcnt lgkmcnt(2)
	global_store_dwordx2 v[8:9], v[6:7], off offset:1024
	s_or_b64 exec, exec, s[0:1]
	v_cmp_gt_u32_e32 vcc, s2, v16
	s_and_saveexec_b64 s[0:1], vcc
	s_cbranch_execnz .LBB105_99
	s_branch .LBB105_100
	.section	.rodata,"a",@progbits
	.p2align	6, 0x0
	.amdhsa_kernel _ZN7rocprim17ROCPRIM_304000_NS6detail35device_block_merge_mergepath_kernelINS1_37wrapped_merge_sort_block_merge_configINS0_14default_configElN2at4cuda3cub6detail10OpaqueTypeILi8EEEEEPlSC_PSA_SD_jNS1_19radix_merge_compareILb1ELb1ElNS0_19identity_decomposerEEEEEvT0_T1_T2_T3_T4_SL_jT5_PKSL_NS1_7vsmem_tE
		.amdhsa_group_segment_fixed_size 8448
		.amdhsa_private_segment_fixed_size 0
		.amdhsa_kernarg_size 328
		.amdhsa_user_sgpr_count 2
		.amdhsa_user_sgpr_dispatch_ptr 0
		.amdhsa_user_sgpr_queue_ptr 0
		.amdhsa_user_sgpr_kernarg_segment_ptr 1
		.amdhsa_user_sgpr_dispatch_id 0
		.amdhsa_user_sgpr_kernarg_preload_length 0
		.amdhsa_user_sgpr_kernarg_preload_offset 0
		.amdhsa_user_sgpr_private_segment_size 0
		.amdhsa_uses_dynamic_stack 0
		.amdhsa_enable_private_segment 0
		.amdhsa_system_sgpr_workgroup_id_x 1
		.amdhsa_system_sgpr_workgroup_id_y 1
		.amdhsa_system_sgpr_workgroup_id_z 1
		.amdhsa_system_sgpr_workgroup_info 0
		.amdhsa_system_vgpr_workitem_id 0
		.amdhsa_next_free_vgpr 49
		.amdhsa_next_free_sgpr 38
		.amdhsa_accum_offset 52
		.amdhsa_reserve_vcc 1
		.amdhsa_float_round_mode_32 0
		.amdhsa_float_round_mode_16_64 0
		.amdhsa_float_denorm_mode_32 3
		.amdhsa_float_denorm_mode_16_64 3
		.amdhsa_dx10_clamp 1
		.amdhsa_ieee_mode 1
		.amdhsa_fp16_overflow 0
		.amdhsa_tg_split 0
		.amdhsa_exception_fp_ieee_invalid_op 0
		.amdhsa_exception_fp_denorm_src 0
		.amdhsa_exception_fp_ieee_div_zero 0
		.amdhsa_exception_fp_ieee_overflow 0
		.amdhsa_exception_fp_ieee_underflow 0
		.amdhsa_exception_fp_ieee_inexact 0
		.amdhsa_exception_int_div_zero 0
	.end_amdhsa_kernel
	.section	.text._ZN7rocprim17ROCPRIM_304000_NS6detail35device_block_merge_mergepath_kernelINS1_37wrapped_merge_sort_block_merge_configINS0_14default_configElN2at4cuda3cub6detail10OpaqueTypeILi8EEEEEPlSC_PSA_SD_jNS1_19radix_merge_compareILb1ELb1ElNS0_19identity_decomposerEEEEEvT0_T1_T2_T3_T4_SL_jT5_PKSL_NS1_7vsmem_tE,"axG",@progbits,_ZN7rocprim17ROCPRIM_304000_NS6detail35device_block_merge_mergepath_kernelINS1_37wrapped_merge_sort_block_merge_configINS0_14default_configElN2at4cuda3cub6detail10OpaqueTypeILi8EEEEEPlSC_PSA_SD_jNS1_19radix_merge_compareILb1ELb1ElNS0_19identity_decomposerEEEEEvT0_T1_T2_T3_T4_SL_jT5_PKSL_NS1_7vsmem_tE,comdat
.Lfunc_end105:
	.size	_ZN7rocprim17ROCPRIM_304000_NS6detail35device_block_merge_mergepath_kernelINS1_37wrapped_merge_sort_block_merge_configINS0_14default_configElN2at4cuda3cub6detail10OpaqueTypeILi8EEEEEPlSC_PSA_SD_jNS1_19radix_merge_compareILb1ELb1ElNS0_19identity_decomposerEEEEEvT0_T1_T2_T3_T4_SL_jT5_PKSL_NS1_7vsmem_tE, .Lfunc_end105-_ZN7rocprim17ROCPRIM_304000_NS6detail35device_block_merge_mergepath_kernelINS1_37wrapped_merge_sort_block_merge_configINS0_14default_configElN2at4cuda3cub6detail10OpaqueTypeILi8EEEEEPlSC_PSA_SD_jNS1_19radix_merge_compareILb1ELb1ElNS0_19identity_decomposerEEEEEvT0_T1_T2_T3_T4_SL_jT5_PKSL_NS1_7vsmem_tE
                                        ; -- End function
	.set _ZN7rocprim17ROCPRIM_304000_NS6detail35device_block_merge_mergepath_kernelINS1_37wrapped_merge_sort_block_merge_configINS0_14default_configElN2at4cuda3cub6detail10OpaqueTypeILi8EEEEEPlSC_PSA_SD_jNS1_19radix_merge_compareILb1ELb1ElNS0_19identity_decomposerEEEEEvT0_T1_T2_T3_T4_SL_jT5_PKSL_NS1_7vsmem_tE.num_vgpr, 49
	.set _ZN7rocprim17ROCPRIM_304000_NS6detail35device_block_merge_mergepath_kernelINS1_37wrapped_merge_sort_block_merge_configINS0_14default_configElN2at4cuda3cub6detail10OpaqueTypeILi8EEEEEPlSC_PSA_SD_jNS1_19radix_merge_compareILb1ELb1ElNS0_19identity_decomposerEEEEEvT0_T1_T2_T3_T4_SL_jT5_PKSL_NS1_7vsmem_tE.num_agpr, 0
	.set _ZN7rocprim17ROCPRIM_304000_NS6detail35device_block_merge_mergepath_kernelINS1_37wrapped_merge_sort_block_merge_configINS0_14default_configElN2at4cuda3cub6detail10OpaqueTypeILi8EEEEEPlSC_PSA_SD_jNS1_19radix_merge_compareILb1ELb1ElNS0_19identity_decomposerEEEEEvT0_T1_T2_T3_T4_SL_jT5_PKSL_NS1_7vsmem_tE.numbered_sgpr, 38
	.set _ZN7rocprim17ROCPRIM_304000_NS6detail35device_block_merge_mergepath_kernelINS1_37wrapped_merge_sort_block_merge_configINS0_14default_configElN2at4cuda3cub6detail10OpaqueTypeILi8EEEEEPlSC_PSA_SD_jNS1_19radix_merge_compareILb1ELb1ElNS0_19identity_decomposerEEEEEvT0_T1_T2_T3_T4_SL_jT5_PKSL_NS1_7vsmem_tE.num_named_barrier, 0
	.set _ZN7rocprim17ROCPRIM_304000_NS6detail35device_block_merge_mergepath_kernelINS1_37wrapped_merge_sort_block_merge_configINS0_14default_configElN2at4cuda3cub6detail10OpaqueTypeILi8EEEEEPlSC_PSA_SD_jNS1_19radix_merge_compareILb1ELb1ElNS0_19identity_decomposerEEEEEvT0_T1_T2_T3_T4_SL_jT5_PKSL_NS1_7vsmem_tE.private_seg_size, 0
	.set _ZN7rocprim17ROCPRIM_304000_NS6detail35device_block_merge_mergepath_kernelINS1_37wrapped_merge_sort_block_merge_configINS0_14default_configElN2at4cuda3cub6detail10OpaqueTypeILi8EEEEEPlSC_PSA_SD_jNS1_19radix_merge_compareILb1ELb1ElNS0_19identity_decomposerEEEEEvT0_T1_T2_T3_T4_SL_jT5_PKSL_NS1_7vsmem_tE.uses_vcc, 1
	.set _ZN7rocprim17ROCPRIM_304000_NS6detail35device_block_merge_mergepath_kernelINS1_37wrapped_merge_sort_block_merge_configINS0_14default_configElN2at4cuda3cub6detail10OpaqueTypeILi8EEEEEPlSC_PSA_SD_jNS1_19radix_merge_compareILb1ELb1ElNS0_19identity_decomposerEEEEEvT0_T1_T2_T3_T4_SL_jT5_PKSL_NS1_7vsmem_tE.uses_flat_scratch, 0
	.set _ZN7rocprim17ROCPRIM_304000_NS6detail35device_block_merge_mergepath_kernelINS1_37wrapped_merge_sort_block_merge_configINS0_14default_configElN2at4cuda3cub6detail10OpaqueTypeILi8EEEEEPlSC_PSA_SD_jNS1_19radix_merge_compareILb1ELb1ElNS0_19identity_decomposerEEEEEvT0_T1_T2_T3_T4_SL_jT5_PKSL_NS1_7vsmem_tE.has_dyn_sized_stack, 0
	.set _ZN7rocprim17ROCPRIM_304000_NS6detail35device_block_merge_mergepath_kernelINS1_37wrapped_merge_sort_block_merge_configINS0_14default_configElN2at4cuda3cub6detail10OpaqueTypeILi8EEEEEPlSC_PSA_SD_jNS1_19radix_merge_compareILb1ELb1ElNS0_19identity_decomposerEEEEEvT0_T1_T2_T3_T4_SL_jT5_PKSL_NS1_7vsmem_tE.has_recursion, 0
	.set _ZN7rocprim17ROCPRIM_304000_NS6detail35device_block_merge_mergepath_kernelINS1_37wrapped_merge_sort_block_merge_configINS0_14default_configElN2at4cuda3cub6detail10OpaqueTypeILi8EEEEEPlSC_PSA_SD_jNS1_19radix_merge_compareILb1ELb1ElNS0_19identity_decomposerEEEEEvT0_T1_T2_T3_T4_SL_jT5_PKSL_NS1_7vsmem_tE.has_indirect_call, 0
	.section	.AMDGPU.csdata,"",@progbits
; Kernel info:
; codeLenInByte = 5716
; TotalNumSgprs: 44
; NumVgprs: 49
; NumAgprs: 0
; TotalNumVgprs: 49
; ScratchSize: 0
; MemoryBound: 1
; FloatMode: 240
; IeeeMode: 1
; LDSByteSize: 8448 bytes/workgroup (compile time only)
; SGPRBlocks: 5
; VGPRBlocks: 6
; NumSGPRsForWavesPerEU: 44
; NumVGPRsForWavesPerEU: 49
; AccumOffset: 52
; Occupancy: 8
; WaveLimiterHint : 1
; COMPUTE_PGM_RSRC2:SCRATCH_EN: 0
; COMPUTE_PGM_RSRC2:USER_SGPR: 2
; COMPUTE_PGM_RSRC2:TRAP_HANDLER: 0
; COMPUTE_PGM_RSRC2:TGID_X_EN: 1
; COMPUTE_PGM_RSRC2:TGID_Y_EN: 1
; COMPUTE_PGM_RSRC2:TGID_Z_EN: 1
; COMPUTE_PGM_RSRC2:TIDIG_COMP_CNT: 0
; COMPUTE_PGM_RSRC3_GFX90A:ACCUM_OFFSET: 12
; COMPUTE_PGM_RSRC3_GFX90A:TG_SPLIT: 0
	.section	.text._ZN7rocprim17ROCPRIM_304000_NS6detail33device_block_merge_oddeven_kernelINS1_37wrapped_merge_sort_block_merge_configINS0_14default_configElN2at4cuda3cub6detail10OpaqueTypeILi8EEEEEPlSC_PSA_SD_jNS1_19radix_merge_compareILb1ELb1ElNS0_19identity_decomposerEEEEEvT0_T1_T2_T3_T4_SL_T5_,"axG",@progbits,_ZN7rocprim17ROCPRIM_304000_NS6detail33device_block_merge_oddeven_kernelINS1_37wrapped_merge_sort_block_merge_configINS0_14default_configElN2at4cuda3cub6detail10OpaqueTypeILi8EEEEEPlSC_PSA_SD_jNS1_19radix_merge_compareILb1ELb1ElNS0_19identity_decomposerEEEEEvT0_T1_T2_T3_T4_SL_T5_,comdat
	.protected	_ZN7rocprim17ROCPRIM_304000_NS6detail33device_block_merge_oddeven_kernelINS1_37wrapped_merge_sort_block_merge_configINS0_14default_configElN2at4cuda3cub6detail10OpaqueTypeILi8EEEEEPlSC_PSA_SD_jNS1_19radix_merge_compareILb1ELb1ElNS0_19identity_decomposerEEEEEvT0_T1_T2_T3_T4_SL_T5_ ; -- Begin function _ZN7rocprim17ROCPRIM_304000_NS6detail33device_block_merge_oddeven_kernelINS1_37wrapped_merge_sort_block_merge_configINS0_14default_configElN2at4cuda3cub6detail10OpaqueTypeILi8EEEEEPlSC_PSA_SD_jNS1_19radix_merge_compareILb1ELb1ElNS0_19identity_decomposerEEEEEvT0_T1_T2_T3_T4_SL_T5_
	.globl	_ZN7rocprim17ROCPRIM_304000_NS6detail33device_block_merge_oddeven_kernelINS1_37wrapped_merge_sort_block_merge_configINS0_14default_configElN2at4cuda3cub6detail10OpaqueTypeILi8EEEEEPlSC_PSA_SD_jNS1_19radix_merge_compareILb1ELb1ElNS0_19identity_decomposerEEEEEvT0_T1_T2_T3_T4_SL_T5_
	.p2align	8
	.type	_ZN7rocprim17ROCPRIM_304000_NS6detail33device_block_merge_oddeven_kernelINS1_37wrapped_merge_sort_block_merge_configINS0_14default_configElN2at4cuda3cub6detail10OpaqueTypeILi8EEEEEPlSC_PSA_SD_jNS1_19radix_merge_compareILb1ELb1ElNS0_19identity_decomposerEEEEEvT0_T1_T2_T3_T4_SL_T5_,@function
_ZN7rocprim17ROCPRIM_304000_NS6detail33device_block_merge_oddeven_kernelINS1_37wrapped_merge_sort_block_merge_configINS0_14default_configElN2at4cuda3cub6detail10OpaqueTypeILi8EEEEEPlSC_PSA_SD_jNS1_19radix_merge_compareILb1ELb1ElNS0_19identity_decomposerEEEEEvT0_T1_T2_T3_T4_SL_T5_: ; @_ZN7rocprim17ROCPRIM_304000_NS6detail33device_block_merge_oddeven_kernelINS1_37wrapped_merge_sort_block_merge_configINS0_14default_configElN2at4cuda3cub6detail10OpaqueTypeILi8EEEEEPlSC_PSA_SD_jNS1_19radix_merge_compareILb1ELb1ElNS0_19identity_decomposerEEEEEvT0_T1_T2_T3_T4_SL_T5_
; %bb.0:
	s_load_dwordx2 s[18:19], s[0:1], 0x20
	s_waitcnt lgkmcnt(0)
	s_lshr_b32 s3, s18, 8
	s_cmp_eq_u32 s2, s3
	s_cselect_b64 s[16:17], -1, 0
	s_cmp_lg_u32 s2, s3
	s_cselect_b64 s[4:5], -1, 0
	s_lshl_b32 s20, s2, 8
	s_sub_i32 s3, s18, s20
	v_cmp_gt_u32_e64 s[6:7], s3, v0
	s_or_b64 s[4:5], s[4:5], s[6:7]
	s_and_saveexec_b64 s[8:9], s[4:5]
	s_cbranch_execz .LBB106_24
; %bb.1:
	s_load_dwordx8 s[8:15], s[0:1], 0x0
	s_mov_b32 s21, 0
	s_lshl_b64 s[4:5], s[20:21], 3
	v_lshlrev_b32_e32 v1, 3, v0
	v_add_u32_e32 v0, s20, v0
	s_waitcnt lgkmcnt(0)
	s_add_u32 s22, s8, s4
	s_addc_u32 s23, s9, s5
	s_add_u32 s4, s12, s4
	s_addc_u32 s5, s13, s5
	global_load_dwordx2 v[2:3], v1, s[4:5]
	global_load_dwordx2 v[4:5], v1, s[22:23]
	s_lshr_b32 s3, s19, 8
	s_sub_i32 s4, 0, s3
	s_and_b32 s2, s2, s4
	s_and_b32 s3, s2, s3
	s_lshl_b32 s21, s2, 8
	s_sub_i32 s12, 0, s19
	s_cmp_eq_u32 s3, 0
	s_cselect_b64 s[4:5], -1, 0
	s_and_b64 s[2:3], s[4:5], exec
	s_cselect_b32 s12, s19, s12
	s_add_i32 s12, s12, s21
	s_mov_b64 s[2:3], -1
	s_cmp_gt_u32 s18, s12
	s_cbranch_scc1 .LBB106_9
; %bb.2:
	s_and_b64 vcc, exec, s[16:17]
	s_cbranch_vccz .LBB106_6
; %bb.3:
	v_cmp_gt_u32_e32 vcc, s18, v0
	s_and_saveexec_b64 s[2:3], vcc
	s_cbranch_execz .LBB106_5
; %bb.4:
	v_mov_b32_e32 v1, 0
	v_lshlrev_b64 v[6:7], 3, v[0:1]
	v_lshl_add_u64 v[8:9], s[14:15], 0, v[6:7]
	v_lshl_add_u64 v[6:7], s[10:11], 0, v[6:7]
	s_waitcnt vmcnt(0)
	global_store_dwordx2 v[6:7], v[4:5], off
	global_store_dwordx2 v[8:9], v[2:3], off
.LBB106_5:
	s_or_b64 exec, exec, s[2:3]
	s_mov_b64 s[2:3], 0
.LBB106_6:
	s_andn2_b64 vcc, exec, s[2:3]
	s_cbranch_vccnz .LBB106_8
; %bb.7:
	v_mov_b32_e32 v1, 0
	v_lshlrev_b64 v[6:7], 3, v[0:1]
	v_lshl_add_u64 v[8:9], s[10:11], 0, v[6:7]
	v_lshl_add_u64 v[6:7], s[14:15], 0, v[6:7]
	s_waitcnt vmcnt(0)
	global_store_dwordx2 v[8:9], v[4:5], off
	global_store_dwordx2 v[6:7], v[2:3], off
.LBB106_8:
	s_mov_b64 s[2:3], 0
.LBB106_9:
	s_andn2_b64 vcc, exec, s[2:3]
	s_cbranch_vccnz .LBB106_24
; %bb.10:
	s_load_dwordx2 s[0:1], s[0:1], 0x28
	s_min_u32 s13, s12, s18
	s_add_i32 s2, s13, s19
	s_min_u32 s18, s2, s18
	s_min_u32 s2, s21, s13
	s_add_i32 s21, s21, s13
	v_subrev_u32_e32 v0, s21, v0
	v_add_u32_e32 v8, s2, v0
	s_waitcnt vmcnt(0) lgkmcnt(0)
	v_and_b32_e32 v1, s1, v5
	v_and_b32_e32 v0, s0, v4
	s_mov_b64 s[2:3], -1
	s_and_b64 vcc, exec, s[16:17]
	s_cbranch_vccz .LBB106_18
; %bb.11:
	s_and_saveexec_b64 s[2:3], s[6:7]
	s_cbranch_execz .LBB106_17
; %bb.12:
	s_cmp_ge_u32 s12, s18
	v_mov_b32_e32 v9, s13
	s_cbranch_scc1 .LBB106_16
; %bb.13:
	s_mov_b64 s[6:7], 0
	v_mov_b32_e32 v10, s18
	v_mov_b32_e32 v9, s13
	;; [unrolled: 1-line block ×3, first 2 shown]
.LBB106_14:                             ; =>This Inner Loop Header: Depth=1
	v_add_u32_e32 v6, v9, v10
	v_lshrrev_b32_e32 v6, 1, v6
	v_lshl_add_u64 v[12:13], v[6:7], 3, s[8:9]
	global_load_dwordx2 v[12:13], v[12:13], off
	v_add_u32_e32 v11, 1, v6
	s_waitcnt vmcnt(0)
	v_and_b32_e32 v13, s1, v13
	v_and_b32_e32 v12, s0, v12
	v_cmp_gt_i64_e32 vcc, v[12:13], v[0:1]
	s_nop 1
	v_cndmask_b32_e64 v14, 0, 1, vcc
	v_cmp_le_i64_e32 vcc, v[0:1], v[12:13]
	s_nop 1
	v_cndmask_b32_e64 v12, 0, 1, vcc
	v_cndmask_b32_e64 v12, v12, v14, s[4:5]
	v_and_b32_e32 v12, 1, v12
	v_cmp_eq_u32_e32 vcc, 1, v12
	s_nop 1
	v_cndmask_b32_e32 v10, v6, v10, vcc
	v_cndmask_b32_e32 v9, v9, v11, vcc
	v_cmp_ge_u32_e32 vcc, v9, v10
	s_or_b64 s[6:7], vcc, s[6:7]
	s_andn2_b64 exec, exec, s[6:7]
	s_cbranch_execnz .LBB106_14
; %bb.15:
	s_or_b64 exec, exec, s[6:7]
.LBB106_16:
	v_add_u32_e32 v6, v9, v8
	v_mov_b32_e32 v7, 0
	v_lshlrev_b64 v[6:7], 3, v[6:7]
	v_lshl_add_u64 v[10:11], s[10:11], 0, v[6:7]
	v_lshl_add_u64 v[6:7], s[14:15], 0, v[6:7]
	global_store_dwordx2 v[10:11], v[4:5], off
	global_store_dwordx2 v[6:7], v[2:3], off
.LBB106_17:
	s_or_b64 exec, exec, s[2:3]
	s_mov_b64 s[2:3], 0
.LBB106_18:
	s_andn2_b64 vcc, exec, s[2:3]
	s_cbranch_vccnz .LBB106_24
; %bb.19:
	s_cmp_ge_u32 s12, s18
	v_mov_b32_e32 v9, s13
	s_cbranch_scc1 .LBB106_23
; %bb.20:
	s_mov_b64 s[2:3], 0
	v_mov_b32_e32 v10, s18
	v_mov_b32_e32 v9, s13
	;; [unrolled: 1-line block ×3, first 2 shown]
.LBB106_21:                             ; =>This Inner Loop Header: Depth=1
	v_add_u32_e32 v6, v9, v10
	v_lshrrev_b32_e32 v6, 1, v6
	v_lshl_add_u64 v[12:13], v[6:7], 3, s[8:9]
	global_load_dwordx2 v[12:13], v[12:13], off
	v_add_u32_e32 v11, 1, v6
	s_waitcnt vmcnt(0)
	v_and_b32_e32 v13, s1, v13
	v_and_b32_e32 v12, s0, v12
	v_cmp_gt_i64_e32 vcc, v[12:13], v[0:1]
	s_nop 1
	v_cndmask_b32_e64 v14, 0, 1, vcc
	v_cmp_le_i64_e32 vcc, v[0:1], v[12:13]
	s_nop 1
	v_cndmask_b32_e64 v12, 0, 1, vcc
	v_cndmask_b32_e64 v12, v12, v14, s[4:5]
	v_and_b32_e32 v12, 1, v12
	v_cmp_eq_u32_e32 vcc, 1, v12
	s_nop 1
	v_cndmask_b32_e32 v10, v6, v10, vcc
	v_cndmask_b32_e32 v9, v9, v11, vcc
	v_cmp_ge_u32_e32 vcc, v9, v10
	s_or_b64 s[2:3], vcc, s[2:3]
	s_andn2_b64 exec, exec, s[2:3]
	s_cbranch_execnz .LBB106_21
; %bb.22:
	s_or_b64 exec, exec, s[2:3]
.LBB106_23:
	v_add_u32_e32 v0, v9, v8
	v_mov_b32_e32 v1, 0
	v_lshlrev_b64 v[0:1], 3, v[0:1]
	v_lshl_add_u64 v[6:7], s[10:11], 0, v[0:1]
	v_lshl_add_u64 v[0:1], s[14:15], 0, v[0:1]
	global_store_dwordx2 v[6:7], v[4:5], off
	global_store_dwordx2 v[0:1], v[2:3], off
.LBB106_24:
	s_endpgm
	.section	.rodata,"a",@progbits
	.p2align	6, 0x0
	.amdhsa_kernel _ZN7rocprim17ROCPRIM_304000_NS6detail33device_block_merge_oddeven_kernelINS1_37wrapped_merge_sort_block_merge_configINS0_14default_configElN2at4cuda3cub6detail10OpaqueTypeILi8EEEEEPlSC_PSA_SD_jNS1_19radix_merge_compareILb1ELb1ElNS0_19identity_decomposerEEEEEvT0_T1_T2_T3_T4_SL_T5_
		.amdhsa_group_segment_fixed_size 0
		.amdhsa_private_segment_fixed_size 0
		.amdhsa_kernarg_size 48
		.amdhsa_user_sgpr_count 2
		.amdhsa_user_sgpr_dispatch_ptr 0
		.amdhsa_user_sgpr_queue_ptr 0
		.amdhsa_user_sgpr_kernarg_segment_ptr 1
		.amdhsa_user_sgpr_dispatch_id 0
		.amdhsa_user_sgpr_kernarg_preload_length 0
		.amdhsa_user_sgpr_kernarg_preload_offset 0
		.amdhsa_user_sgpr_private_segment_size 0
		.amdhsa_uses_dynamic_stack 0
		.amdhsa_enable_private_segment 0
		.amdhsa_system_sgpr_workgroup_id_x 1
		.amdhsa_system_sgpr_workgroup_id_y 0
		.amdhsa_system_sgpr_workgroup_id_z 0
		.amdhsa_system_sgpr_workgroup_info 0
		.amdhsa_system_vgpr_workitem_id 0
		.amdhsa_next_free_vgpr 15
		.amdhsa_next_free_sgpr 24
		.amdhsa_accum_offset 16
		.amdhsa_reserve_vcc 1
		.amdhsa_float_round_mode_32 0
		.amdhsa_float_round_mode_16_64 0
		.amdhsa_float_denorm_mode_32 3
		.amdhsa_float_denorm_mode_16_64 3
		.amdhsa_dx10_clamp 1
		.amdhsa_ieee_mode 1
		.amdhsa_fp16_overflow 0
		.amdhsa_tg_split 0
		.amdhsa_exception_fp_ieee_invalid_op 0
		.amdhsa_exception_fp_denorm_src 0
		.amdhsa_exception_fp_ieee_div_zero 0
		.amdhsa_exception_fp_ieee_overflow 0
		.amdhsa_exception_fp_ieee_underflow 0
		.amdhsa_exception_fp_ieee_inexact 0
		.amdhsa_exception_int_div_zero 0
	.end_amdhsa_kernel
	.section	.text._ZN7rocprim17ROCPRIM_304000_NS6detail33device_block_merge_oddeven_kernelINS1_37wrapped_merge_sort_block_merge_configINS0_14default_configElN2at4cuda3cub6detail10OpaqueTypeILi8EEEEEPlSC_PSA_SD_jNS1_19radix_merge_compareILb1ELb1ElNS0_19identity_decomposerEEEEEvT0_T1_T2_T3_T4_SL_T5_,"axG",@progbits,_ZN7rocprim17ROCPRIM_304000_NS6detail33device_block_merge_oddeven_kernelINS1_37wrapped_merge_sort_block_merge_configINS0_14default_configElN2at4cuda3cub6detail10OpaqueTypeILi8EEEEEPlSC_PSA_SD_jNS1_19radix_merge_compareILb1ELb1ElNS0_19identity_decomposerEEEEEvT0_T1_T2_T3_T4_SL_T5_,comdat
.Lfunc_end106:
	.size	_ZN7rocprim17ROCPRIM_304000_NS6detail33device_block_merge_oddeven_kernelINS1_37wrapped_merge_sort_block_merge_configINS0_14default_configElN2at4cuda3cub6detail10OpaqueTypeILi8EEEEEPlSC_PSA_SD_jNS1_19radix_merge_compareILb1ELb1ElNS0_19identity_decomposerEEEEEvT0_T1_T2_T3_T4_SL_T5_, .Lfunc_end106-_ZN7rocprim17ROCPRIM_304000_NS6detail33device_block_merge_oddeven_kernelINS1_37wrapped_merge_sort_block_merge_configINS0_14default_configElN2at4cuda3cub6detail10OpaqueTypeILi8EEEEEPlSC_PSA_SD_jNS1_19radix_merge_compareILb1ELb1ElNS0_19identity_decomposerEEEEEvT0_T1_T2_T3_T4_SL_T5_
                                        ; -- End function
	.set _ZN7rocprim17ROCPRIM_304000_NS6detail33device_block_merge_oddeven_kernelINS1_37wrapped_merge_sort_block_merge_configINS0_14default_configElN2at4cuda3cub6detail10OpaqueTypeILi8EEEEEPlSC_PSA_SD_jNS1_19radix_merge_compareILb1ELb1ElNS0_19identity_decomposerEEEEEvT0_T1_T2_T3_T4_SL_T5_.num_vgpr, 15
	.set _ZN7rocprim17ROCPRIM_304000_NS6detail33device_block_merge_oddeven_kernelINS1_37wrapped_merge_sort_block_merge_configINS0_14default_configElN2at4cuda3cub6detail10OpaqueTypeILi8EEEEEPlSC_PSA_SD_jNS1_19radix_merge_compareILb1ELb1ElNS0_19identity_decomposerEEEEEvT0_T1_T2_T3_T4_SL_T5_.num_agpr, 0
	.set _ZN7rocprim17ROCPRIM_304000_NS6detail33device_block_merge_oddeven_kernelINS1_37wrapped_merge_sort_block_merge_configINS0_14default_configElN2at4cuda3cub6detail10OpaqueTypeILi8EEEEEPlSC_PSA_SD_jNS1_19radix_merge_compareILb1ELb1ElNS0_19identity_decomposerEEEEEvT0_T1_T2_T3_T4_SL_T5_.numbered_sgpr, 24
	.set _ZN7rocprim17ROCPRIM_304000_NS6detail33device_block_merge_oddeven_kernelINS1_37wrapped_merge_sort_block_merge_configINS0_14default_configElN2at4cuda3cub6detail10OpaqueTypeILi8EEEEEPlSC_PSA_SD_jNS1_19radix_merge_compareILb1ELb1ElNS0_19identity_decomposerEEEEEvT0_T1_T2_T3_T4_SL_T5_.num_named_barrier, 0
	.set _ZN7rocprim17ROCPRIM_304000_NS6detail33device_block_merge_oddeven_kernelINS1_37wrapped_merge_sort_block_merge_configINS0_14default_configElN2at4cuda3cub6detail10OpaqueTypeILi8EEEEEPlSC_PSA_SD_jNS1_19radix_merge_compareILb1ELb1ElNS0_19identity_decomposerEEEEEvT0_T1_T2_T3_T4_SL_T5_.private_seg_size, 0
	.set _ZN7rocprim17ROCPRIM_304000_NS6detail33device_block_merge_oddeven_kernelINS1_37wrapped_merge_sort_block_merge_configINS0_14default_configElN2at4cuda3cub6detail10OpaqueTypeILi8EEEEEPlSC_PSA_SD_jNS1_19radix_merge_compareILb1ELb1ElNS0_19identity_decomposerEEEEEvT0_T1_T2_T3_T4_SL_T5_.uses_vcc, 1
	.set _ZN7rocprim17ROCPRIM_304000_NS6detail33device_block_merge_oddeven_kernelINS1_37wrapped_merge_sort_block_merge_configINS0_14default_configElN2at4cuda3cub6detail10OpaqueTypeILi8EEEEEPlSC_PSA_SD_jNS1_19radix_merge_compareILb1ELb1ElNS0_19identity_decomposerEEEEEvT0_T1_T2_T3_T4_SL_T5_.uses_flat_scratch, 0
	.set _ZN7rocprim17ROCPRIM_304000_NS6detail33device_block_merge_oddeven_kernelINS1_37wrapped_merge_sort_block_merge_configINS0_14default_configElN2at4cuda3cub6detail10OpaqueTypeILi8EEEEEPlSC_PSA_SD_jNS1_19radix_merge_compareILb1ELb1ElNS0_19identity_decomposerEEEEEvT0_T1_T2_T3_T4_SL_T5_.has_dyn_sized_stack, 0
	.set _ZN7rocprim17ROCPRIM_304000_NS6detail33device_block_merge_oddeven_kernelINS1_37wrapped_merge_sort_block_merge_configINS0_14default_configElN2at4cuda3cub6detail10OpaqueTypeILi8EEEEEPlSC_PSA_SD_jNS1_19radix_merge_compareILb1ELb1ElNS0_19identity_decomposerEEEEEvT0_T1_T2_T3_T4_SL_T5_.has_recursion, 0
	.set _ZN7rocprim17ROCPRIM_304000_NS6detail33device_block_merge_oddeven_kernelINS1_37wrapped_merge_sort_block_merge_configINS0_14default_configElN2at4cuda3cub6detail10OpaqueTypeILi8EEEEEPlSC_PSA_SD_jNS1_19radix_merge_compareILb1ELb1ElNS0_19identity_decomposerEEEEEvT0_T1_T2_T3_T4_SL_T5_.has_indirect_call, 0
	.section	.AMDGPU.csdata,"",@progbits
; Kernel info:
; codeLenInByte = 800
; TotalNumSgprs: 30
; NumVgprs: 15
; NumAgprs: 0
; TotalNumVgprs: 15
; ScratchSize: 0
; MemoryBound: 0
; FloatMode: 240
; IeeeMode: 1
; LDSByteSize: 0 bytes/workgroup (compile time only)
; SGPRBlocks: 3
; VGPRBlocks: 1
; NumSGPRsForWavesPerEU: 30
; NumVGPRsForWavesPerEU: 15
; AccumOffset: 16
; Occupancy: 8
; WaveLimiterHint : 0
; COMPUTE_PGM_RSRC2:SCRATCH_EN: 0
; COMPUTE_PGM_RSRC2:USER_SGPR: 2
; COMPUTE_PGM_RSRC2:TRAP_HANDLER: 0
; COMPUTE_PGM_RSRC2:TGID_X_EN: 1
; COMPUTE_PGM_RSRC2:TGID_Y_EN: 0
; COMPUTE_PGM_RSRC2:TGID_Z_EN: 0
; COMPUTE_PGM_RSRC2:TIDIG_COMP_CNT: 0
; COMPUTE_PGM_RSRC3_GFX90A:ACCUM_OFFSET: 3
; COMPUTE_PGM_RSRC3_GFX90A:TG_SPLIT: 0
	.section	.text._ZN7rocprim17ROCPRIM_304000_NS6detail26onesweep_histograms_kernelINS1_34wrapped_radix_sort_onesweep_configINS0_14default_configElN2at4cuda3cub6detail10OpaqueTypeILi8EEEEELb1EPKlmNS0_19identity_decomposerEEEvT1_PT2_SG_SG_T3_jj,"axG",@progbits,_ZN7rocprim17ROCPRIM_304000_NS6detail26onesweep_histograms_kernelINS1_34wrapped_radix_sort_onesweep_configINS0_14default_configElN2at4cuda3cub6detail10OpaqueTypeILi8EEEEELb1EPKlmNS0_19identity_decomposerEEEvT1_PT2_SG_SG_T3_jj,comdat
	.protected	_ZN7rocprim17ROCPRIM_304000_NS6detail26onesweep_histograms_kernelINS1_34wrapped_radix_sort_onesweep_configINS0_14default_configElN2at4cuda3cub6detail10OpaqueTypeILi8EEEEELb1EPKlmNS0_19identity_decomposerEEEvT1_PT2_SG_SG_T3_jj ; -- Begin function _ZN7rocprim17ROCPRIM_304000_NS6detail26onesweep_histograms_kernelINS1_34wrapped_radix_sort_onesweep_configINS0_14default_configElN2at4cuda3cub6detail10OpaqueTypeILi8EEEEELb1EPKlmNS0_19identity_decomposerEEEvT1_PT2_SG_SG_T3_jj
	.globl	_ZN7rocprim17ROCPRIM_304000_NS6detail26onesweep_histograms_kernelINS1_34wrapped_radix_sort_onesweep_configINS0_14default_configElN2at4cuda3cub6detail10OpaqueTypeILi8EEEEELb1EPKlmNS0_19identity_decomposerEEEvT1_PT2_SG_SG_T3_jj
	.p2align	8
	.type	_ZN7rocprim17ROCPRIM_304000_NS6detail26onesweep_histograms_kernelINS1_34wrapped_radix_sort_onesweep_configINS0_14default_configElN2at4cuda3cub6detail10OpaqueTypeILi8EEEEELb1EPKlmNS0_19identity_decomposerEEEvT1_PT2_SG_SG_T3_jj,@function
_ZN7rocprim17ROCPRIM_304000_NS6detail26onesweep_histograms_kernelINS1_34wrapped_radix_sort_onesweep_configINS0_14default_configElN2at4cuda3cub6detail10OpaqueTypeILi8EEEEELb1EPKlmNS0_19identity_decomposerEEEvT1_PT2_SG_SG_T3_jj: ; @_ZN7rocprim17ROCPRIM_304000_NS6detail26onesweep_histograms_kernelINS1_34wrapped_radix_sort_onesweep_configINS0_14default_configElN2at4cuda3cub6detail10OpaqueTypeILi8EEEEELb1EPKlmNS0_19identity_decomposerEEEvT1_PT2_SG_SG_T3_jj
; %bb.0:
	s_load_dwordx8 s[12:19], s[0:1], 0x0
	s_load_dwordx2 s[20:21], s[0:1], 0x24
	v_mov_b32_e32 v2, s2
	v_mov_b32_e32 v3, 0
	s_mul_hi_u32 s0, s2, 0xc000
	s_mul_i32 s2, s2, 0xc000
	s_waitcnt lgkmcnt(0)
	v_cmp_le_u64_e32 vcc, s[18:19], v[2:3]
	s_add_u32 s22, s12, s2
	s_addc_u32 s23, s13, s0
	s_mov_b64 s[0:1], -1
	v_lshlrev_b32_e32 v2, 3, v0
	s_cbranch_vccz .LBB107_50
; %bb.1:
	s_mul_i32 s12, s18, 0xffffe800
	s_add_i32 s12, s12, s16
	v_lshl_add_u64 v[16:17], s[22:23], 0, v[2:3]
	v_cmp_gt_u32_e64 s[10:11], s12, v0
                                        ; implicit-def: $vgpr14_vgpr15
	s_and_saveexec_b64 s[0:1], s[10:11]
	s_cbranch_execz .LBB107_3
; %bb.2:
	global_load_dwordx2 v[4:5], v[16:17], off
	s_waitcnt vmcnt(0)
	v_xor_b32_e32 v15, 0x7fffffff, v5
	v_not_b32_e32 v14, v4
.LBB107_3:
	s_or_b64 exec, exec, s[0:1]
	v_or_b32_e32 v1, 0x400, v0
	v_cmp_gt_u32_e64 s[8:9], s12, v1
                                        ; implicit-def: $vgpr12_vgpr13
	s_and_saveexec_b64 s[0:1], s[8:9]
	s_cbranch_execz .LBB107_5
; %bb.4:
	v_add_co_u32_e32 v4, vcc, 0x2000, v16
	s_nop 1
	v_addc_co_u32_e32 v5, vcc, 0, v17, vcc
	global_load_dwordx2 v[4:5], v[4:5], off
	s_waitcnt vmcnt(0)
	v_xor_b32_e32 v13, 0x7fffffff, v5
	v_not_b32_e32 v12, v4
.LBB107_5:
	s_or_b64 exec, exec, s[0:1]
	v_or_b32_e32 v1, 0x800, v0
	v_cmp_gt_u32_e64 s[6:7], s12, v1
                                        ; implicit-def: $vgpr10_vgpr11
	s_and_saveexec_b64 s[0:1], s[6:7]
	s_cbranch_execz .LBB107_7
; %bb.6:
	v_add_co_u32_e32 v4, vcc, 0x4000, v16
	s_nop 1
	v_addc_co_u32_e32 v5, vcc, 0, v17, vcc
	global_load_dwordx2 v[4:5], v[4:5], off
	s_waitcnt vmcnt(0)
	v_xor_b32_e32 v11, 0x7fffffff, v5
	v_not_b32_e32 v10, v4
.LBB107_7:
	s_or_b64 exec, exec, s[0:1]
	v_or_b32_e32 v1, 0xc00, v0
	v_cmp_gt_u32_e64 s[4:5], s12, v1
                                        ; implicit-def: $vgpr8_vgpr9
	s_and_saveexec_b64 s[0:1], s[4:5]
	s_cbranch_execz .LBB107_9
; %bb.8:
	v_add_co_u32_e32 v4, vcc, 0x6000, v16
	s_nop 1
	v_addc_co_u32_e32 v5, vcc, 0, v17, vcc
	global_load_dwordx2 v[4:5], v[4:5], off
	s_waitcnt vmcnt(0)
	v_xor_b32_e32 v9, 0x7fffffff, v5
	v_not_b32_e32 v8, v4
.LBB107_9:
	s_or_b64 exec, exec, s[0:1]
	v_or_b32_e32 v1, 0x1000, v0
	v_cmp_gt_u32_e64 s[2:3], s12, v1
                                        ; implicit-def: $vgpr6_vgpr7
	s_and_saveexec_b64 s[0:1], s[2:3]
	s_cbranch_execz .LBB107_11
; %bb.10:
	v_add_co_u32_e32 v4, vcc, 0x8000, v16
	s_nop 1
	v_addc_co_u32_e32 v5, vcc, 0, v17, vcc
	global_load_dwordx2 v[4:5], v[4:5], off
	s_waitcnt vmcnt(0)
	v_xor_b32_e32 v7, 0x7fffffff, v5
	v_not_b32_e32 v6, v4
.LBB107_11:
	s_or_b64 exec, exec, s[0:1]
	v_or_b32_e32 v1, 0x1400, v0
	v_cmp_gt_u32_e64 s[0:1], s12, v1
                                        ; implicit-def: $vgpr4_vgpr5
	s_and_saveexec_b64 s[12:13], s[0:1]
	s_cbranch_execz .LBB107_13
; %bb.12:
	v_add_co_u32_e32 v4, vcc, 0xa000, v16
	s_nop 1
	v_addc_co_u32_e32 v5, vcc, 0, v17, vcc
	global_load_dwordx2 v[4:5], v[4:5], off
	s_waitcnt vmcnt(0)
	v_xor_b32_e32 v5, 0x7fffffff, v5
	v_not_b32_e32 v4, v4
.LBB107_13:
	s_or_b64 exec, exec, s[12:13]
	v_sub_u32_e32 v1, 0xaff, v0
	v_lshrrev_b32_e32 v16, 10, v1
	v_add_u32_e32 v1, 2, v16
	s_mov_b32 s16, 0
	v_and_b32_e32 v3, 6, v1
	v_mov_b32_e32 v1, v16
	v_lshlrev_b32_e32 v17, 2, v0
	s_mov_b32 s17, 1
	s_mov_b64 s[18:19], 0
	v_mov_b32_e32 v18, 0
	s_mov_b32 s24, s16
	s_branch .LBB107_15
.LBB107_14:                             ;   in Loop: Header=BB107_15 Depth=1
	s_or_b64 exec, exec, s[12:13]
	s_add_i32 s24, s24, 2
	v_cmp_eq_u32_e32 vcc, s24, v3
	s_or_b64 s[18:19], vcc, s[18:19]
	v_add_u32_e32 v17, 0x2000, v17
	s_andn2_b64 exec, exec, s[18:19]
	s_cbranch_execz .LBB107_19
.LBB107_15:                             ; =>This Inner Loop Header: Depth=1
	s_mov_b32 s25, s24
	s_or_b64 s[12:13], s[24:25], s[16:17]
	v_cmp_le_u32_e32 vcc, s13, v1
	v_cmp_le_u32_e64 s[12:13], s12, v16
	s_and_saveexec_b64 s[26:27], s[12:13]
; %bb.16:                               ;   in Loop: Header=BB107_15 Depth=1
	ds_write_b32 v17, v18
; %bb.17:                               ;   in Loop: Header=BB107_15 Depth=1
	s_or_b64 exec, exec, s[26:27]
	s_and_saveexec_b64 s[12:13], vcc
	s_cbranch_execz .LBB107_14
; %bb.18:                               ;   in Loop: Header=BB107_15 Depth=1
	ds_write_b32 v17, v18 offset:4096
	s_branch .LBB107_14
.LBB107_19:
	s_or_b64 exec, exec, s[18:19]
	s_cmp_gt_u32 s21, s20
	s_cselect_b64 s[12:13], -1, 0
	s_cmp_le_u32 s21, s20
	s_waitcnt lgkmcnt(0)
	s_barrier
	s_cbranch_scc1 .LBB107_44
; %bb.20:
	v_and_b32_e32 v1, 3, v0
	v_lshlrev_b32_e32 v1, 2, v1
	s_sub_i32 s18, s21, s20
	v_mov_b32_e32 v3, 1
	s_mov_b32 s19, s18
	v_mov_b32_e32 v16, v1
	s_mov_b32 s24, s20
	s_branch .LBB107_22
.LBB107_21:                             ;   in Loop: Header=BB107_22 Depth=1
	s_or_b64 exec, exec, s[16:17]
	s_add_i32 s24, s24, 6
	s_add_i32 s19, s19, -6
	s_cmp_lt_u32 s24, s21
	v_add_u32_e32 v16, 0x400, v16
	s_cbranch_scc0 .LBB107_24
.LBB107_22:                             ; =>This Inner Loop Header: Depth=1
	s_and_saveexec_b64 s[16:17], s[10:11]
	s_cbranch_execz .LBB107_21
; %bb.23:                               ;   in Loop: Header=BB107_22 Depth=1
	s_min_u32 s25, s19, 6
	v_lshrrev_b64 v[18:19], s24, v[14:15]
	v_bfe_u32 v17, v18, 0, s25
	v_lshl_add_u32 v17, v17, 4, v16
	ds_add_u32 v17, v3
	s_branch .LBB107_21
.LBB107_24:
	v_mov_b32_e32 v3, 1
	s_mov_b32 s16, s18
	v_mov_b32_e32 v14, v1
	s_mov_b32 s17, s20
	s_branch .LBB107_26
.LBB107_25:                             ;   in Loop: Header=BB107_26 Depth=1
	s_or_b64 exec, exec, s[10:11]
	s_add_i32 s17, s17, 6
	s_add_i32 s16, s16, -6
	s_cmp_lt_u32 s17, s21
	v_add_u32_e32 v14, 0x400, v14
	s_cbranch_scc0 .LBB107_28
.LBB107_26:                             ; =>This Inner Loop Header: Depth=1
	s_and_saveexec_b64 s[10:11], s[8:9]
	s_cbranch_execz .LBB107_25
; %bb.27:                               ;   in Loop: Header=BB107_26 Depth=1
	s_min_u32 s19, s16, 6
	v_lshrrev_b64 v[16:17], s17, v[12:13]
	v_bfe_u32 v15, v16, 0, s19
	v_lshl_add_u32 v15, v15, 4, v14
	ds_add_u32 v15, v3
	s_branch .LBB107_25
.LBB107_28:
	v_mov_b32_e32 v3, 1
	s_mov_b32 s10, s18
	v_mov_b32_e32 v12, v1
	s_mov_b32 s11, s20
	s_branch .LBB107_30
.LBB107_29:                             ;   in Loop: Header=BB107_30 Depth=1
	s_or_b64 exec, exec, s[8:9]
	s_add_i32 s11, s11, 6
	s_add_i32 s10, s10, -6
	s_cmp_lt_u32 s11, s21
	v_add_u32_e32 v12, 0x400, v12
	s_cbranch_scc0 .LBB107_32
.LBB107_30:                             ; =>This Inner Loop Header: Depth=1
	s_and_saveexec_b64 s[8:9], s[6:7]
	s_cbranch_execz .LBB107_29
; %bb.31:                               ;   in Loop: Header=BB107_30 Depth=1
	s_min_u32 s16, s10, 6
	v_lshrrev_b64 v[14:15], s11, v[10:11]
	v_bfe_u32 v13, v14, 0, s16
	v_lshl_add_u32 v13, v13, 4, v12
	ds_add_u32 v13, v3
	s_branch .LBB107_29
.LBB107_32:
	v_mov_b32_e32 v3, 1
	s_mov_b32 s8, s18
	v_mov_b32_e32 v10, v1
	s_mov_b32 s9, s20
	s_branch .LBB107_34
.LBB107_33:                             ;   in Loop: Header=BB107_34 Depth=1
	s_or_b64 exec, exec, s[6:7]
	s_add_i32 s9, s9, 6
	s_add_i32 s8, s8, -6
	s_cmp_lt_u32 s9, s21
	v_add_u32_e32 v10, 0x400, v10
	s_cbranch_scc0 .LBB107_36
.LBB107_34:                             ; =>This Inner Loop Header: Depth=1
	s_and_saveexec_b64 s[6:7], s[4:5]
	s_cbranch_execz .LBB107_33
; %bb.35:                               ;   in Loop: Header=BB107_34 Depth=1
	s_min_u32 s10, s8, 6
	v_lshrrev_b64 v[12:13], s9, v[8:9]
	v_bfe_u32 v11, v12, 0, s10
	v_lshl_add_u32 v11, v11, 4, v10
	ds_add_u32 v11, v3
	s_branch .LBB107_33
.LBB107_36:
	v_mov_b32_e32 v3, 1
	s_mov_b32 s6, s18
	v_mov_b32_e32 v8, v1
	s_mov_b32 s7, s20
	s_branch .LBB107_38
.LBB107_37:                             ;   in Loop: Header=BB107_38 Depth=1
	s_or_b64 exec, exec, s[4:5]
	s_add_i32 s7, s7, 6
	s_add_i32 s6, s6, -6
	s_cmp_lt_u32 s7, s21
	v_add_u32_e32 v8, 0x400, v8
	s_cbranch_scc0 .LBB107_40
.LBB107_38:                             ; =>This Inner Loop Header: Depth=1
	s_and_saveexec_b64 s[4:5], s[2:3]
	s_cbranch_execz .LBB107_37
; %bb.39:                               ;   in Loop: Header=BB107_38 Depth=1
	s_min_u32 s8, s6, 6
	v_lshrrev_b64 v[10:11], s7, v[6:7]
	v_bfe_u32 v9, v10, 0, s8
	v_lshl_add_u32 v9, v9, 4, v8
	ds_add_u32 v9, v3
	s_branch .LBB107_37
.LBB107_40:
	v_mov_b32_e32 v3, 1
	s_mov_b32 s4, s20
	s_branch .LBB107_42
.LBB107_41:                             ;   in Loop: Header=BB107_42 Depth=1
	s_or_b64 exec, exec, s[2:3]
	s_add_i32 s4, s4, 6
	s_add_i32 s18, s18, -6
	s_cmp_lt_u32 s4, s21
	v_add_u32_e32 v1, 0x400, v1
	s_cbranch_scc0 .LBB107_44
.LBB107_42:                             ; =>This Inner Loop Header: Depth=1
	s_and_saveexec_b64 s[2:3], s[0:1]
	s_cbranch_execz .LBB107_41
; %bb.43:                               ;   in Loop: Header=BB107_42 Depth=1
	s_min_u32 s5, s18, 6
	v_lshrrev_b64 v[6:7], s4, v[4:5]
	v_bfe_u32 v6, v6, 0, s5
	v_lshl_add_u32 v6, v6, 4, v1
	ds_add_u32 v6, v3
	s_branch .LBB107_41
.LBB107_44:
	s_and_b64 vcc, exec, s[12:13]
	s_waitcnt lgkmcnt(0)
	s_barrier
	s_cbranch_vccz .LBB107_49
; %bb.45:
	v_cmp_gt_u32_e32 vcc, 64, v0
	v_lshlrev_b32_e32 v1, 4, v0
	v_mov_b32_e32 v5, 0
	v_mov_b32_e32 v4, v0
	s_mov_b32 s2, s20
	s_branch .LBB107_47
.LBB107_46:                             ;   in Loop: Header=BB107_47 Depth=1
	s_or_b64 exec, exec, s[0:1]
	s_add_i32 s2, s2, 6
	v_add_u32_e32 v4, 64, v4
	s_cmp_lt_u32 s2, s21
	v_add_u32_e32 v1, 0x400, v1
	s_cbranch_scc0 .LBB107_49
.LBB107_47:                             ; =>This Inner Loop Header: Depth=1
	s_and_saveexec_b64 s[0:1], vcc
	s_cbranch_execz .LBB107_46
; %bb.48:                               ;   in Loop: Header=BB107_47 Depth=1
	ds_read2_b32 v[6:7], v1 offset1:1
	ds_read2_b32 v[8:9], v1 offset0:2 offset1:3
	v_lshl_add_u64 v[10:11], v[4:5], 3, s[14:15]
	s_waitcnt lgkmcnt(1)
	v_add_u32_e32 v3, v7, v6
	s_waitcnt lgkmcnt(0)
	v_add3_u32 v6, v3, v8, v9
	v_mov_b32_e32 v7, v5
	global_atomic_add_x2 v[10:11], v[6:7], off
	s_branch .LBB107_46
.LBB107_49:
	s_mov_b64 s[0:1], 0
.LBB107_50:
	s_and_b64 vcc, exec, s[0:1]
	s_cbranch_vccz .LBB107_86
; %bb.51:
	v_mov_b32_e32 v3, 0
	v_lshl_add_u64 v[12:13], s[22:23], 0, v[2:3]
	v_add_co_u32_e32 v14, vcc, 0x2000, v12
	s_cmp_eq_u32 s20, 0
	s_nop 0
	v_addc_co_u32_e32 v15, vcc, 0, v13, vcc
	v_add_co_u32_e32 v16, vcc, 0x4000, v12
	s_cselect_b64 s[0:1], -1, 0
	s_nop 0
	v_addc_co_u32_e32 v17, vcc, 0, v13, vcc
	v_add_co_u32_e32 v18, vcc, 0x6000, v12
	s_cmp_eq_u32 s21, 64
	s_nop 0
	v_addc_co_u32_e32 v19, vcc, 0, v13, vcc
	v_add_co_u32_e32 v20, vcc, 0x8000, v12
	v_sub_u32_e32 v1, 0xaff, v0
	s_nop 0
	v_addc_co_u32_e32 v21, vcc, 0, v13, vcc
	global_load_dwordx2 v[10:11], v[14:15], off
	global_load_dwordx2 v[6:7], v[16:17], off
	;; [unrolled: 1-line block ×4, first 2 shown]
	v_add_co_u32_e32 v16, vcc, 0xa000, v12
	s_cselect_b64 s[4:5], -1, 0
	s_nop 0
	v_addc_co_u32_e32 v17, vcc, 0, v13, vcc
	global_load_dwordx2 v[14:15], v2, s[22:23]
	global_load_dwordx2 v[12:13], v[16:17], off
	v_lshrrev_b32_e32 v1, 10, v1
	s_and_b64 s[4:5], s[0:1], s[4:5]
	v_add_u32_e32 v16, 2, v1
	s_mov_b32 s2, 0
	v_and_b32_e32 v18, 6, v16
	s_mov_b64 s[0:1], -1
	s_and_b64 vcc, exec, s[4:5]
	v_lshlrev_b32_e32 v19, 2, v0
	s_cbranch_vccnz .LBB107_77
; %bb.52:
	v_lshlrev_b32_e32 v16, 2, v0
	s_mov_b64 s[4:5], 0
	s_mov_b32 s3, 1
	s_mov_b32 s6, s2
	s_branch .LBB107_54
.LBB107_53:                             ;   in Loop: Header=BB107_54 Depth=1
	s_or_b64 exec, exec, s[0:1]
	s_add_i32 s6, s6, 2
	v_cmp_eq_u32_e32 vcc, s6, v18
	s_or_b64 s[4:5], vcc, s[4:5]
	v_add_u32_e32 v16, 0x2000, v16
	s_andn2_b64 exec, exec, s[4:5]
	s_cbranch_execz .LBB107_58
.LBB107_54:                             ; =>This Inner Loop Header: Depth=1
	s_mov_b32 s7, s6
	s_or_b64 s[0:1], s[6:7], s[2:3]
	v_cmp_le_u32_e32 vcc, s1, v1
	v_cmp_le_u32_e64 s[0:1], s0, v1
	s_and_saveexec_b64 s[8:9], s[0:1]
; %bb.55:                               ;   in Loop: Header=BB107_54 Depth=1
	ds_write_b32 v16, v3
; %bb.56:                               ;   in Loop: Header=BB107_54 Depth=1
	s_or_b64 exec, exec, s[8:9]
	s_and_saveexec_b64 s[0:1], vcc
	s_cbranch_execz .LBB107_53
; %bb.57:                               ;   in Loop: Header=BB107_54 Depth=1
	ds_write_b32 v16, v3 offset:4096
	s_branch .LBB107_53
.LBB107_58:
	s_or_b64 exec, exec, s[4:5]
	s_cmp_gt_u32 s21, s20
	s_cselect_b64 s[0:1], -1, 0
	s_cmp_le_u32 s21, s20
	s_waitcnt lgkmcnt(0)
	s_barrier
	s_cbranch_scc1 .LBB107_71
; %bb.59:
	v_and_b32_e32 v3, 3, v0
	v_lshlrev_b32_e32 v3, 2, v3
	s_sub_i32 s2, s21, s20
	s_waitcnt vmcnt(1)
	v_xor_b32_e32 v17, 0x7fffffff, v15
	v_not_b32_e32 v16, v14
	v_mov_b32_e32 v20, 1
	s_mov_b32 s3, s2
	v_mov_b32_e32 v21, v3
	s_mov_b32 s4, s20
.LBB107_60:                             ; =>This Inner Loop Header: Depth=1
	s_min_u32 s5, s3, 6
	v_lshrrev_b64 v[22:23], s4, v[16:17]
	v_bfe_u32 v22, v22, 0, s5
	v_lshl_add_u32 v22, v22, 4, v21
	ds_add_u32 v22, v20
	s_add_i32 s4, s4, 6
	s_add_i32 s3, s3, -6
	s_cmp_lt_u32 s4, s21
	v_add_u32_e32 v21, 0x400, v21
	s_cbranch_scc1 .LBB107_60
; %bb.61:
	v_xor_b32_e32 v17, 0x7fffffff, v11
	v_not_b32_e32 v16, v10
	v_mov_b32_e32 v20, 1
	s_mov_b32 s3, s2
	v_mov_b32_e32 v21, v3
	s_mov_b32 s4, s20
.LBB107_62:                             ; =>This Inner Loop Header: Depth=1
	s_min_u32 s5, s3, 6
	v_lshrrev_b64 v[22:23], s4, v[16:17]
	v_bfe_u32 v22, v22, 0, s5
	v_lshl_add_u32 v22, v22, 4, v21
	ds_add_u32 v22, v20
	s_add_i32 s4, s4, 6
	s_add_i32 s3, s3, -6
	s_cmp_lt_u32 s4, s21
	v_add_u32_e32 v21, 0x400, v21
	s_cbranch_scc1 .LBB107_62
; %bb.63:
	;; [unrolled: 18-line block ×5, first 2 shown]
	s_waitcnt vmcnt(0)
	v_xor_b32_e32 v17, 0x7fffffff, v13
	v_not_b32_e32 v16, v12
	v_mov_b32_e32 v20, 1
	s_mov_b32 s3, s20
.LBB107_70:                             ; =>This Inner Loop Header: Depth=1
	s_min_u32 s4, s2, 6
	v_lshrrev_b64 v[22:23], s3, v[16:17]
	v_bfe_u32 v21, v22, 0, s4
	v_lshl_add_u32 v21, v21, 4, v3
	ds_add_u32 v21, v20
	s_add_i32 s3, s3, 6
	s_add_i32 s2, s2, -6
	s_cmp_lt_u32 s3, s21
	v_add_u32_e32 v3, 0x400, v3
	s_cbranch_scc1 .LBB107_70
.LBB107_71:
	s_and_b64 vcc, exec, s[0:1]
	s_waitcnt lgkmcnt(0)
	s_barrier
	s_cbranch_vccz .LBB107_76
; %bb.72:
	v_cmp_gt_u32_e32 vcc, 64, v0
	v_lshlrev_b32_e32 v3, 4, v0
	v_mov_b32_e32 v17, 0
	v_mov_b32_e32 v16, v0
	s_branch .LBB107_74
.LBB107_73:                             ;   in Loop: Header=BB107_74 Depth=1
	s_or_b64 exec, exec, s[0:1]
	s_add_i32 s20, s20, 6
	v_add_u32_e32 v16, 64, v16
	s_cmp_ge_u32 s20, s21
	v_add_u32_e32 v3, 0x400, v3
	s_cbranch_scc1 .LBB107_76
.LBB107_74:                             ; =>This Inner Loop Header: Depth=1
	s_and_saveexec_b64 s[0:1], vcc
	s_cbranch_execz .LBB107_73
; %bb.75:                               ;   in Loop: Header=BB107_74 Depth=1
	ds_read2_b32 v[20:21], v3 offset1:1
	ds_read2_b32 v[22:23], v3 offset0:2 offset1:3
	v_lshl_add_u64 v[24:25], v[16:17], 3, s[14:15]
	s_waitcnt lgkmcnt(1)
	v_add_u32_e32 v20, v21, v20
	s_waitcnt lgkmcnt(0)
	v_add3_u32 v20, v20, v22, v23
	v_mov_b32_e32 v21, v17
	global_atomic_add_x2 v[24:25], v[20:21], off
	s_branch .LBB107_73
.LBB107_76:
	s_mov_b64 s[0:1], 0
.LBB107_77:
	s_and_b64 vcc, exec, s[0:1]
	s_cbranch_vccz .LBB107_86
; %bb.78:
	s_mov_b32 s2, 0
	s_mov_b32 s3, 1
	s_mov_b64 s[4:5], 0
	v_mov_b32_e32 v3, 0
	s_mov_b32 s6, s2
	s_branch .LBB107_80
.LBB107_79:                             ;   in Loop: Header=BB107_80 Depth=1
	s_or_b64 exec, exec, s[0:1]
	s_add_i32 s6, s6, 2
	v_cmp_eq_u32_e32 vcc, s6, v18
	s_or_b64 s[4:5], vcc, s[4:5]
	v_add_u32_e32 v19, 0x2000, v19
	s_andn2_b64 exec, exec, s[4:5]
	s_cbranch_execz .LBB107_84
.LBB107_80:                             ; =>This Inner Loop Header: Depth=1
	s_mov_b32 s7, s6
	s_or_b64 s[0:1], s[6:7], s[2:3]
	v_cmp_le_u32_e32 vcc, s1, v1
	v_cmp_le_u32_e64 s[0:1], s0, v1
	s_and_saveexec_b64 s[8:9], s[0:1]
; %bb.81:                               ;   in Loop: Header=BB107_80 Depth=1
	ds_write_b32 v19, v3
; %bb.82:                               ;   in Loop: Header=BB107_80 Depth=1
	s_or_b64 exec, exec, s[8:9]
	s_and_saveexec_b64 s[0:1], vcc
	s_cbranch_execz .LBB107_79
; %bb.83:                               ;   in Loop: Header=BB107_80 Depth=1
	ds_write_b32 v19, v3 offset:4096
	s_branch .LBB107_79
.LBB107_84:
	s_or_b64 exec, exec, s[4:5]
	s_waitcnt vmcnt(1)
	v_xor_b32_e32 v3, -1, v14
	v_and_b32_e32 v14, 3, v0
	v_xor_b32_e32 v1, 0x7fffffff, v15
	v_lshlrev_b32_e32 v15, 4, v3
	v_lshlrev_b32_e32 v14, 2, v14
	s_movk_i32 s0, 0x3f0
	v_and_or_b32 v15, v15, s0, v14
	v_mov_b32_e32 v16, 1
	s_waitcnt lgkmcnt(0)
	s_barrier
	ds_add_u32 v15, v16
	v_lshrrev_b32_e32 v15, 2, v3
	v_and_or_b32 v15, v15, s0, v14
	ds_add_u32 v15, v16 offset:1024
	v_lshrrev_b32_e32 v15, 8, v3
	v_and_or_b32 v15, v15, s0, v14
	ds_add_u32 v15, v16 offset:2048
	v_lshrrev_b32_e32 v15, 14, v3
	v_and_or_b32 v15, v15, s0, v14
	ds_add_u32 v15, v16 offset:3072
	v_lshrrev_b32_e32 v15, 20, v3
	v_and_or_b32 v15, v15, s0, v14
	v_alignbit_b32 v3, v1, v3, 26
	ds_add_u32 v15, v16 offset:4096
	v_and_or_b32 v3, v3, s0, v14
	ds_add_u32 v3, v16 offset:5120
	v_and_or_b32 v3, v1, s0, v14
	ds_add_u32 v3, v16 offset:6144
	v_lshrrev_b32_e32 v3, 6, v1
	v_and_or_b32 v3, v3, s0, v14
	ds_add_u32 v3, v16 offset:7168
	v_lshrrev_b32_e32 v3, 12, v1
	;; [unrolled: 3-line block ×3, first 2 shown]
	v_and_or_b32 v3, v3, s0, v14
	v_lshrrev_b32_e32 v1, 24, v1
	s_movk_i32 s1, 0xf0
	v_xor_b32_e32 v10, -1, v10
	ds_add_u32 v3, v16 offset:9216
	v_and_or_b32 v1, v1, s1, v14
	ds_add_u32 v1, v16 offset:10240
	v_lshlrev_b32_e32 v1, 4, v10
	v_and_or_b32 v1, v1, s0, v14
	ds_add_u32 v1, v16
	v_lshrrev_b32_e32 v1, 2, v10
	v_and_or_b32 v1, v1, s0, v14
	ds_add_u32 v1, v16 offset:1024
	v_lshrrev_b32_e32 v1, 8, v10
	v_and_or_b32 v1, v1, s0, v14
	ds_add_u32 v1, v16 offset:2048
	v_lshrrev_b32_e32 v1, 14, v10
	v_and_or_b32 v1, v1, s0, v14
	ds_add_u32 v1, v16 offset:3072
	v_lshrrev_b32_e32 v1, 20, v10
	v_xor_b32_e32 v11, 0x7fffffff, v11
	v_and_or_b32 v1, v1, s0, v14
	ds_add_u32 v1, v16 offset:4096
	v_alignbit_b32 v1, v11, v10, 26
	v_and_or_b32 v1, v1, s0, v14
	ds_add_u32 v1, v16 offset:5120
	v_and_or_b32 v1, v11, s0, v14
	ds_add_u32 v1, v16 offset:6144
	v_lshrrev_b32_e32 v1, 6, v11
	v_and_or_b32 v1, v1, s0, v14
	ds_add_u32 v1, v16 offset:7168
	v_lshrrev_b32_e32 v1, 12, v11
	v_and_or_b32 v1, v1, s0, v14
	ds_add_u32 v1, v16 offset:8192
	v_lshrrev_b32_e32 v1, 18, v11
	v_and_or_b32 v1, v1, s0, v14
	ds_add_u32 v1, v16 offset:9216
	v_lshrrev_b32_e32 v1, 24, v11
	v_xor_b32_e32 v6, -1, v6
	v_and_or_b32 v1, v1, s1, v14
	ds_add_u32 v1, v16 offset:10240
	v_lshlrev_b32_e32 v1, 4, v6
	v_and_or_b32 v1, v1, s0, v14
	ds_add_u32 v1, v16
	v_lshrrev_b32_e32 v1, 2, v6
	v_and_or_b32 v1, v1, s0, v14
	ds_add_u32 v1, v16 offset:1024
	v_lshrrev_b32_e32 v1, 8, v6
	v_and_or_b32 v1, v1, s0, v14
	ds_add_u32 v1, v16 offset:2048
	v_lshrrev_b32_e32 v1, 14, v6
	v_and_or_b32 v1, v1, s0, v14
	ds_add_u32 v1, v16 offset:3072
	v_lshrrev_b32_e32 v1, 20, v6
	v_xor_b32_e32 v7, 0x7fffffff, v7
	v_and_or_b32 v1, v1, s0, v14
	ds_add_u32 v1, v16 offset:4096
	v_alignbit_b32 v1, v7, v6, 26
	v_and_or_b32 v1, v1, s0, v14
	ds_add_u32 v1, v16 offset:5120
	v_and_or_b32 v1, v7, s0, v14
	ds_add_u32 v1, v16 offset:6144
	v_lshrrev_b32_e32 v1, 6, v7
	v_and_or_b32 v1, v1, s0, v14
	ds_add_u32 v1, v16 offset:7168
	v_lshrrev_b32_e32 v1, 12, v7
	v_and_or_b32 v1, v1, s0, v14
	ds_add_u32 v1, v16 offset:8192
	v_lshrrev_b32_e32 v1, 18, v7
	v_and_or_b32 v1, v1, s0, v14
	ds_add_u32 v1, v16 offset:9216
	v_lshrrev_b32_e32 v1, 24, v7
	v_xor_b32_e32 v4, -1, v4
	;; [unrolled: 34-line block ×3, first 2 shown]
	v_and_or_b32 v1, v1, s1, v14
	ds_add_u32 v1, v16 offset:10240
	v_lshlrev_b32_e32 v1, 4, v8
	v_and_or_b32 v1, v1, s0, v14
	ds_add_u32 v1, v16
	v_lshrrev_b32_e32 v1, 2, v8
	v_and_or_b32 v1, v1, s0, v14
	ds_add_u32 v1, v16 offset:1024
	v_lshrrev_b32_e32 v1, 8, v8
	v_and_or_b32 v1, v1, s0, v14
	ds_add_u32 v1, v16 offset:2048
	;; [unrolled: 3-line block ×3, first 2 shown]
	v_lshrrev_b32_e32 v1, 20, v8
	v_xor_b32_e32 v9, 0x7fffffff, v9
	v_and_or_b32 v1, v1, s0, v14
	ds_add_u32 v1, v16 offset:4096
	v_alignbit_b32 v1, v9, v8, 26
	v_and_or_b32 v1, v1, s0, v14
	ds_add_u32 v1, v16 offset:5120
	v_and_or_b32 v1, v9, s0, v14
	ds_add_u32 v1, v16 offset:6144
	v_lshrrev_b32_e32 v1, 6, v9
	v_and_or_b32 v1, v1, s0, v14
	ds_add_u32 v1, v16 offset:7168
	v_lshrrev_b32_e32 v1, 12, v9
	;; [unrolled: 3-line block ×4, first 2 shown]
	s_waitcnt vmcnt(0)
	v_xor_b32_e32 v12, -1, v12
	v_and_or_b32 v1, v1, s1, v14
	ds_add_u32 v1, v16 offset:10240
	v_lshlrev_b32_e32 v1, 4, v12
	v_and_or_b32 v1, v1, s0, v14
	ds_add_u32 v1, v16
	v_lshrrev_b32_e32 v1, 2, v12
	v_and_or_b32 v1, v1, s0, v14
	ds_add_u32 v1, v16 offset:1024
	v_lshrrev_b32_e32 v1, 8, v12
	v_and_or_b32 v1, v1, s0, v14
	ds_add_u32 v1, v16 offset:2048
	;; [unrolled: 3-line block ×3, first 2 shown]
	v_lshrrev_b32_e32 v1, 20, v12
	v_xor_b32_e32 v13, 0x7fffffff, v13
	v_and_or_b32 v1, v1, s0, v14
	ds_add_u32 v1, v16 offset:4096
	v_alignbit_b32 v1, v13, v12, 26
	v_and_or_b32 v1, v1, s0, v14
	ds_add_u32 v1, v16 offset:5120
	v_and_or_b32 v1, v13, s0, v14
	ds_add_u32 v1, v16 offset:6144
	v_lshrrev_b32_e32 v1, 6, v13
	v_and_or_b32 v1, v1, s0, v14
	ds_add_u32 v1, v16 offset:7168
	v_lshrrev_b32_e32 v1, 12, v13
	;; [unrolled: 3-line block ×4, first 2 shown]
	v_and_or_b32 v1, v1, s1, v14
	ds_add_u32 v1, v16 offset:10240
	v_cmp_gt_u32_e32 vcc, 64, v0
	s_waitcnt lgkmcnt(0)
	s_barrier
	s_and_saveexec_b64 s[0:1], vcc
	s_cbranch_execz .LBB107_86
; %bb.85:
	v_lshlrev_b32_e32 v8, 4, v0
	ds_read2_b32 v[0:1], v8 offset1:1
	ds_read2_b32 v[4:5], v8 offset0:2 offset1:3
	v_mov_b32_e32 v3, 0
	v_mov_b32_e32 v7, v3
	v_add_u32_e32 v9, 0x400, v8
	s_waitcnt lgkmcnt(1)
	v_add_u32_e32 v0, v1, v0
	s_waitcnt lgkmcnt(0)
	v_add3_u32 v6, v0, v4, v5
	global_atomic_add_x2 v2, v[6:7], s[14:15]
	v_add_u32_e32 v4, 0x408, v8
	ds_read2_b32 v[0:1], v9 offset1:1
	ds_read2_b32 v[4:5], v4 offset1:1
	v_add_u32_e32 v9, 0x800, v8
	s_movk_i32 s0, 0x1000
	s_waitcnt lgkmcnt(1)
	v_add_u32_e32 v0, v1, v0
	s_waitcnt lgkmcnt(0)
	v_add3_u32 v6, v0, v4, v5
	global_atomic_add_x2 v2, v[6:7], s[14:15] offset:512
	v_add_u32_e32 v4, 0x808, v8
	ds_read2_b32 v[0:1], v9 offset1:1
	ds_read2_b32 v[4:5], v4 offset1:1
	v_add_u32_e32 v9, 0xc00, v8
	s_waitcnt lgkmcnt(1)
	v_add_u32_e32 v0, v1, v0
	s_waitcnt lgkmcnt(0)
	v_add3_u32 v6, v0, v4, v5
	global_atomic_add_x2 v2, v[6:7], s[14:15] offset:1024
	v_add_u32_e32 v4, 0xc08, v8
	ds_read2_b32 v[0:1], v9 offset1:1
	ds_read2_b32 v[4:5], v4 offset1:1
	v_add_u32_e32 v9, 0x1000, v8
	;; [unrolled: 9-line block ×6, first 2 shown]
	s_waitcnt lgkmcnt(1)
	v_add_u32_e32 v0, v1, v0
	s_waitcnt lgkmcnt(0)
	v_add3_u32 v6, v0, v4, v5
	global_atomic_add_x2 v2, v[6:7], s[14:15] offset:3584
	v_add_u32_e32 v4, 0x2008, v8
	ds_read2_b32 v[0:1], v9 offset1:1
	ds_read2_b32 v[4:5], v4 offset1:1
	v_lshl_add_u64 v[6:7], s[14:15], 0, v[2:3]
	s_waitcnt lgkmcnt(1)
	v_add_u32_e32 v0, v1, v0
	s_waitcnt lgkmcnt(0)
	v_add3_u32 v2, v0, v4, v5
	v_add_co_u32_e32 v0, vcc, s0, v6
	v_add_u32_e32 v6, 0x2408, v8
	s_nop 0
	v_addc_co_u32_e32 v1, vcc, 0, v7, vcc
	global_atomic_add_x2 v[0:1], v[2:3], off
	v_add_u32_e32 v2, 0x2400, v8
	ds_read2_b32 v[4:5], v2 offset1:1
	ds_read2_b32 v[6:7], v6 offset1:1
	s_waitcnt lgkmcnt(1)
	v_add_u32_e32 v2, v5, v4
	s_waitcnt lgkmcnt(0)
	v_add3_u32 v2, v2, v6, v7
	global_atomic_add_x2 v[0:1], v[2:3], off offset:512
	v_add_u32_e32 v2, 0x2800, v8
	v_add_u32_e32 v6, 0x2808, v8
	ds_read2_b32 v[4:5], v2 offset1:1
	ds_read2_b32 v[6:7], v6 offset1:1
	s_waitcnt lgkmcnt(1)
	v_add_u32_e32 v2, v5, v4
	s_waitcnt lgkmcnt(0)
	v_add3_u32 v2, v2, v6, v7
	global_atomic_add_x2 v[0:1], v[2:3], off offset:1024
.LBB107_86:
	s_endpgm
	.section	.rodata,"a",@progbits
	.p2align	6, 0x0
	.amdhsa_kernel _ZN7rocprim17ROCPRIM_304000_NS6detail26onesweep_histograms_kernelINS1_34wrapped_radix_sort_onesweep_configINS0_14default_configElN2at4cuda3cub6detail10OpaqueTypeILi8EEEEELb1EPKlmNS0_19identity_decomposerEEEvT1_PT2_SG_SG_T3_jj
		.amdhsa_group_segment_fixed_size 11264
		.amdhsa_private_segment_fixed_size 0
		.amdhsa_kernarg_size 44
		.amdhsa_user_sgpr_count 2
		.amdhsa_user_sgpr_dispatch_ptr 0
		.amdhsa_user_sgpr_queue_ptr 0
		.amdhsa_user_sgpr_kernarg_segment_ptr 1
		.amdhsa_user_sgpr_dispatch_id 0
		.amdhsa_user_sgpr_kernarg_preload_length 0
		.amdhsa_user_sgpr_kernarg_preload_offset 0
		.amdhsa_user_sgpr_private_segment_size 0
		.amdhsa_uses_dynamic_stack 0
		.amdhsa_enable_private_segment 0
		.amdhsa_system_sgpr_workgroup_id_x 1
		.amdhsa_system_sgpr_workgroup_id_y 0
		.amdhsa_system_sgpr_workgroup_id_z 0
		.amdhsa_system_sgpr_workgroup_info 0
		.amdhsa_system_vgpr_workitem_id 0
		.amdhsa_next_free_vgpr 26
		.amdhsa_next_free_sgpr 28
		.amdhsa_accum_offset 28
		.amdhsa_reserve_vcc 1
		.amdhsa_float_round_mode_32 0
		.amdhsa_float_round_mode_16_64 0
		.amdhsa_float_denorm_mode_32 3
		.amdhsa_float_denorm_mode_16_64 3
		.amdhsa_dx10_clamp 1
		.amdhsa_ieee_mode 1
		.amdhsa_fp16_overflow 0
		.amdhsa_tg_split 0
		.amdhsa_exception_fp_ieee_invalid_op 0
		.amdhsa_exception_fp_denorm_src 0
		.amdhsa_exception_fp_ieee_div_zero 0
		.amdhsa_exception_fp_ieee_overflow 0
		.amdhsa_exception_fp_ieee_underflow 0
		.amdhsa_exception_fp_ieee_inexact 0
		.amdhsa_exception_int_div_zero 0
	.end_amdhsa_kernel
	.section	.text._ZN7rocprim17ROCPRIM_304000_NS6detail26onesweep_histograms_kernelINS1_34wrapped_radix_sort_onesweep_configINS0_14default_configElN2at4cuda3cub6detail10OpaqueTypeILi8EEEEELb1EPKlmNS0_19identity_decomposerEEEvT1_PT2_SG_SG_T3_jj,"axG",@progbits,_ZN7rocprim17ROCPRIM_304000_NS6detail26onesweep_histograms_kernelINS1_34wrapped_radix_sort_onesweep_configINS0_14default_configElN2at4cuda3cub6detail10OpaqueTypeILi8EEEEELb1EPKlmNS0_19identity_decomposerEEEvT1_PT2_SG_SG_T3_jj,comdat
.Lfunc_end107:
	.size	_ZN7rocprim17ROCPRIM_304000_NS6detail26onesweep_histograms_kernelINS1_34wrapped_radix_sort_onesweep_configINS0_14default_configElN2at4cuda3cub6detail10OpaqueTypeILi8EEEEELb1EPKlmNS0_19identity_decomposerEEEvT1_PT2_SG_SG_T3_jj, .Lfunc_end107-_ZN7rocprim17ROCPRIM_304000_NS6detail26onesweep_histograms_kernelINS1_34wrapped_radix_sort_onesweep_configINS0_14default_configElN2at4cuda3cub6detail10OpaqueTypeILi8EEEEELb1EPKlmNS0_19identity_decomposerEEEvT1_PT2_SG_SG_T3_jj
                                        ; -- End function
	.set _ZN7rocprim17ROCPRIM_304000_NS6detail26onesweep_histograms_kernelINS1_34wrapped_radix_sort_onesweep_configINS0_14default_configElN2at4cuda3cub6detail10OpaqueTypeILi8EEEEELb1EPKlmNS0_19identity_decomposerEEEvT1_PT2_SG_SG_T3_jj.num_vgpr, 26
	.set _ZN7rocprim17ROCPRIM_304000_NS6detail26onesweep_histograms_kernelINS1_34wrapped_radix_sort_onesweep_configINS0_14default_configElN2at4cuda3cub6detail10OpaqueTypeILi8EEEEELb1EPKlmNS0_19identity_decomposerEEEvT1_PT2_SG_SG_T3_jj.num_agpr, 0
	.set _ZN7rocprim17ROCPRIM_304000_NS6detail26onesweep_histograms_kernelINS1_34wrapped_radix_sort_onesweep_configINS0_14default_configElN2at4cuda3cub6detail10OpaqueTypeILi8EEEEELb1EPKlmNS0_19identity_decomposerEEEvT1_PT2_SG_SG_T3_jj.numbered_sgpr, 28
	.set _ZN7rocprim17ROCPRIM_304000_NS6detail26onesweep_histograms_kernelINS1_34wrapped_radix_sort_onesweep_configINS0_14default_configElN2at4cuda3cub6detail10OpaqueTypeILi8EEEEELb1EPKlmNS0_19identity_decomposerEEEvT1_PT2_SG_SG_T3_jj.num_named_barrier, 0
	.set _ZN7rocprim17ROCPRIM_304000_NS6detail26onesweep_histograms_kernelINS1_34wrapped_radix_sort_onesweep_configINS0_14default_configElN2at4cuda3cub6detail10OpaqueTypeILi8EEEEELb1EPKlmNS0_19identity_decomposerEEEvT1_PT2_SG_SG_T3_jj.private_seg_size, 0
	.set _ZN7rocprim17ROCPRIM_304000_NS6detail26onesweep_histograms_kernelINS1_34wrapped_radix_sort_onesweep_configINS0_14default_configElN2at4cuda3cub6detail10OpaqueTypeILi8EEEEELb1EPKlmNS0_19identity_decomposerEEEvT1_PT2_SG_SG_T3_jj.uses_vcc, 1
	.set _ZN7rocprim17ROCPRIM_304000_NS6detail26onesweep_histograms_kernelINS1_34wrapped_radix_sort_onesweep_configINS0_14default_configElN2at4cuda3cub6detail10OpaqueTypeILi8EEEEELb1EPKlmNS0_19identity_decomposerEEEvT1_PT2_SG_SG_T3_jj.uses_flat_scratch, 0
	.set _ZN7rocprim17ROCPRIM_304000_NS6detail26onesweep_histograms_kernelINS1_34wrapped_radix_sort_onesweep_configINS0_14default_configElN2at4cuda3cub6detail10OpaqueTypeILi8EEEEELb1EPKlmNS0_19identity_decomposerEEEvT1_PT2_SG_SG_T3_jj.has_dyn_sized_stack, 0
	.set _ZN7rocprim17ROCPRIM_304000_NS6detail26onesweep_histograms_kernelINS1_34wrapped_radix_sort_onesweep_configINS0_14default_configElN2at4cuda3cub6detail10OpaqueTypeILi8EEEEELb1EPKlmNS0_19identity_decomposerEEEvT1_PT2_SG_SG_T3_jj.has_recursion, 0
	.set _ZN7rocprim17ROCPRIM_304000_NS6detail26onesweep_histograms_kernelINS1_34wrapped_radix_sort_onesweep_configINS0_14default_configElN2at4cuda3cub6detail10OpaqueTypeILi8EEEEELb1EPKlmNS0_19identity_decomposerEEEvT1_PT2_SG_SG_T3_jj.has_indirect_call, 0
	.section	.AMDGPU.csdata,"",@progbits
; Kernel info:
; codeLenInByte = 4636
; TotalNumSgprs: 34
; NumVgprs: 26
; NumAgprs: 0
; TotalNumVgprs: 26
; ScratchSize: 0
; MemoryBound: 1
; FloatMode: 240
; IeeeMode: 1
; LDSByteSize: 11264 bytes/workgroup (compile time only)
; SGPRBlocks: 4
; VGPRBlocks: 3
; NumSGPRsForWavesPerEU: 34
; NumVGPRsForWavesPerEU: 26
; AccumOffset: 28
; Occupancy: 8
; WaveLimiterHint : 1
; COMPUTE_PGM_RSRC2:SCRATCH_EN: 0
; COMPUTE_PGM_RSRC2:USER_SGPR: 2
; COMPUTE_PGM_RSRC2:TRAP_HANDLER: 0
; COMPUTE_PGM_RSRC2:TGID_X_EN: 1
; COMPUTE_PGM_RSRC2:TGID_Y_EN: 0
; COMPUTE_PGM_RSRC2:TGID_Z_EN: 0
; COMPUTE_PGM_RSRC2:TIDIG_COMP_CNT: 0
; COMPUTE_PGM_RSRC3_GFX90A:ACCUM_OFFSET: 6
; COMPUTE_PGM_RSRC3_GFX90A:TG_SPLIT: 0
	.section	.text._ZN7rocprim17ROCPRIM_304000_NS6detail31onesweep_scan_histograms_kernelINS1_34wrapped_radix_sort_onesweep_configINS0_14default_configElN2at4cuda3cub6detail10OpaqueTypeILi8EEEEEmEEvPT0_,"axG",@progbits,_ZN7rocprim17ROCPRIM_304000_NS6detail31onesweep_scan_histograms_kernelINS1_34wrapped_radix_sort_onesweep_configINS0_14default_configElN2at4cuda3cub6detail10OpaqueTypeILi8EEEEEmEEvPT0_,comdat
	.protected	_ZN7rocprim17ROCPRIM_304000_NS6detail31onesweep_scan_histograms_kernelINS1_34wrapped_radix_sort_onesweep_configINS0_14default_configElN2at4cuda3cub6detail10OpaqueTypeILi8EEEEEmEEvPT0_ ; -- Begin function _ZN7rocprim17ROCPRIM_304000_NS6detail31onesweep_scan_histograms_kernelINS1_34wrapped_radix_sort_onesweep_configINS0_14default_configElN2at4cuda3cub6detail10OpaqueTypeILi8EEEEEmEEvPT0_
	.globl	_ZN7rocprim17ROCPRIM_304000_NS6detail31onesweep_scan_histograms_kernelINS1_34wrapped_radix_sort_onesweep_configINS0_14default_configElN2at4cuda3cub6detail10OpaqueTypeILi8EEEEEmEEvPT0_
	.p2align	8
	.type	_ZN7rocprim17ROCPRIM_304000_NS6detail31onesweep_scan_histograms_kernelINS1_34wrapped_radix_sort_onesweep_configINS0_14default_configElN2at4cuda3cub6detail10OpaqueTypeILi8EEEEEmEEvPT0_,@function
_ZN7rocprim17ROCPRIM_304000_NS6detail31onesweep_scan_histograms_kernelINS1_34wrapped_radix_sort_onesweep_configINS0_14default_configElN2at4cuda3cub6detail10OpaqueTypeILi8EEEEEmEEvPT0_: ; @_ZN7rocprim17ROCPRIM_304000_NS6detail31onesweep_scan_histograms_kernelINS1_34wrapped_radix_sort_onesweep_configINS0_14default_configElN2at4cuda3cub6detail10OpaqueTypeILi8EEEEEmEEvPT0_
; %bb.0:
	s_load_dwordx2 s[0:1], s[0:1], 0x0
	s_lshl_b32 s2, s2, 6
	s_mov_b32 s3, 0
	s_lshl_b64 s[2:3], s[2:3], 3
	v_cmp_gt_u32_e32 vcc, 64, v0
	s_waitcnt lgkmcnt(0)
	s_add_u32 s16, s0, s2
	s_addc_u32 s17, s1, s3
	v_cmp_lt_u32_e64 s[0:1], 63, v0
	v_lshlrev_b32_e32 v8, 3, v0
                                        ; implicit-def: $vgpr2_vgpr3
	s_and_saveexec_b64 s[2:3], vcc
	s_cbranch_execz .LBB108_2
; %bb.1:
	global_load_dwordx2 v[2:3], v8, s[16:17]
.LBB108_2:
	s_or_b64 exec, exec, s[2:3]
	v_mbcnt_lo_u32_b32 v1, -1, 0
	v_mov_b32_e32 v6, 0
	v_mbcnt_hi_u32_b32 v9, -1, v1
	s_waitcnt vmcnt(0)
	v_mov_b32_dpp v4, v2 row_shr:1 row_mask:0xf bank_mask:0xf
	v_mov_b32_e32 v5, v6
	v_and_b32_e32 v1, 15, v9
	v_mov_b32_dpp v7, v3 row_shr:1 row_mask:0xf bank_mask:0xf
	v_lshl_add_u64 v[4:5], v[2:3], 0, v[4:5]
	v_lshl_add_u64 v[6:7], v[6:7], 0, v[4:5]
	v_cmp_eq_u32_e64 s[6:7], 0, v1
	v_cmp_lt_u32_e64 s[8:9], 1, v1
	v_cmp_lt_u32_e64 s[4:5], 3, v1
	v_cndmask_b32_e64 v10, v4, v2, s[6:7]
	v_cndmask_b32_e64 v5, v7, v3, s[6:7]
	v_cndmask_b32_e64 v4, v6, v2, s[6:7]
	v_mov_b32_dpp v6, v10 row_shr:2 row_mask:0xf bank_mask:0xf
	v_mov_b32_dpp v7, v5 row_shr:2 row_mask:0xf bank_mask:0xf
	v_lshl_add_u64 v[6:7], v[6:7], 0, v[4:5]
	v_cndmask_b32_e64 v10, v10, v6, s[8:9]
	v_cndmask_b32_e64 v5, v5, v7, s[8:9]
	v_cndmask_b32_e64 v4, v4, v6, s[8:9]
	v_mov_b32_dpp v6, v10 row_shr:4 row_mask:0xf bank_mask:0xf
	v_mov_b32_dpp v7, v5 row_shr:4 row_mask:0xf bank_mask:0xf
	v_lshl_add_u64 v[6:7], v[6:7], 0, v[4:5]
	;; [unrolled: 6-line block ×3, first 2 shown]
	v_cmp_lt_u32_e64 s[10:11], 7, v1
	v_cmp_eq_u32_e64 s[2:3], 0, v9
	v_cmp_ne_u32_e64 s[14:15], 0, v9
	v_cndmask_b32_e64 v1, v10, v6, s[10:11]
	v_cndmask_b32_e64 v5, v5, v7, s[10:11]
	;; [unrolled: 1-line block ×3, first 2 shown]
	v_mov_b32_dpp v6, v1 row_bcast:15 row_mask:0xf bank_mask:0xf
	v_mov_b32_dpp v7, v5 row_bcast:15 row_mask:0xf bank_mask:0xf
	v_and_b32_e32 v10, 16, v9
	v_lshl_add_u64 v[6:7], v[6:7], 0, v[4:5]
	v_cmp_eq_u32_e64 s[12:13], 0, v10
	s_nop 1
	v_cndmask_b32_e64 v10, v7, v5, s[12:13]
	v_cndmask_b32_e64 v1, v6, v1, s[12:13]
	s_nop 0
	v_mov_b32_dpp v10, v10 row_bcast:31 row_mask:0xf bank_mask:0xf
	v_mov_b32_dpp v1, v1 row_bcast:31 row_mask:0xf bank_mask:0xf
	s_and_saveexec_b64 s[18:19], s[14:15]
; %bb.3:
	v_cndmask_b32_e64 v3, v7, v5, s[12:13]
	v_cndmask_b32_e64 v2, v6, v4, s[12:13]
	v_cmp_lt_u32_e64 s[12:13], 31, v9
	s_nop 1
	v_cndmask_b32_e64 v5, 0, v10, s[12:13]
	v_cndmask_b32_e64 v4, 0, v1, s[12:13]
	v_lshl_add_u64 v[2:3], v[4:5], 0, v[2:3]
; %bb.4:
	s_or_b64 exec, exec, s[18:19]
	v_and_b32_e32 v1, 63, v0
	v_lshrrev_b32_e32 v4, 6, v0
	v_cmp_eq_u32_e64 s[12:13], 63, v1
	s_and_saveexec_b64 s[14:15], s[12:13]
; %bb.5:
	v_lshlrev_b32_e32 v1, 3, v4
	ds_write_b64 v1, v[2:3]
; %bb.6:
	s_or_b64 exec, exec, s[14:15]
	v_cmp_gt_u32_e64 s[12:13], 16, v0
	s_waitcnt lgkmcnt(0)
	s_barrier
	s_and_saveexec_b64 s[14:15], s[12:13]
	s_cbranch_execz .LBB108_8
; %bb.7:
	ds_read_b64 v[0:1], v8
	v_mov_b32_e32 v6, 0
	v_mov_b32_e32 v11, v6
	s_waitcnt lgkmcnt(0)
	v_mov_b32_dpp v10, v0 row_shr:1 row_mask:0xf bank_mask:0xf
	v_mov_b32_dpp v7, v1 row_shr:1 row_mask:0xf bank_mask:0xf
	v_lshl_add_u64 v[10:11], v[0:1], 0, v[10:11]
	v_lshl_add_u64 v[12:13], v[6:7], 0, v[10:11]
	v_cndmask_b32_e64 v5, v10, v0, s[6:7]
	v_cndmask_b32_e64 v13, v13, v1, s[6:7]
	;; [unrolled: 1-line block ×3, first 2 shown]
	v_mov_b32_dpp v0, v5 row_shr:2 row_mask:0xf bank_mask:0xf
	v_mov_b32_e32 v1, v6
	v_mov_b32_dpp v7, v13 row_shr:2 row_mask:0xf bank_mask:0xf
	v_lshl_add_u64 v[0:1], v[12:13], 0, v[0:1]
	v_lshl_add_u64 v[10:11], v[0:1], 0, v[6:7]
	v_cndmask_b32_e64 v5, v5, v0, s[8:9]
	v_cndmask_b32_e64 v1, v13, v11, s[8:9]
	;; [unrolled: 1-line block ×3, first 2 shown]
	v_mov_b32_dpp v10, v5 row_shr:4 row_mask:0xf bank_mask:0xf
	v_mov_b32_e32 v11, v6
	v_mov_b32_dpp v7, v1 row_shr:4 row_mask:0xf bank_mask:0xf
	v_lshl_add_u64 v[10:11], v[0:1], 0, v[10:11]
	v_lshl_add_u64 v[6:7], v[10:11], 0, v[6:7]
	v_cndmask_b32_e64 v1, v1, v7, s[4:5]
	v_cndmask_b32_e64 v5, v5, v10, s[4:5]
	;; [unrolled: 1-line block ×3, first 2 shown]
	v_mov_b32_dpp v7, v1 row_shr:8 row_mask:0xf bank_mask:0xf
	v_mov_b32_dpp v5, v5 row_shr:8 row_mask:0xf bank_mask:0xf
	v_cndmask_b32_e64 v6, 0, v5, s[10:11]
	v_cndmask_b32_e64 v7, 0, v7, s[10:11]
	v_lshl_add_u64 v[0:1], v[6:7], 0, v[0:1]
	ds_write_b64 v8, v[0:1]
.LBB108_8:
	s_or_b64 exec, exec, s[14:15]
	v_mov_b64_e32 v[0:1], 0
	s_waitcnt lgkmcnt(0)
	s_barrier
	s_and_saveexec_b64 s[4:5], s[0:1]
; %bb.9:
	v_lshl_add_u32 v0, v4, 3, -8
	ds_read_b64 v[0:1], v0
; %bb.10:
	s_or_b64 exec, exec, s[4:5]
	v_add_u32_e32 v4, -1, v9
	v_and_b32_e32 v5, 64, v9
	v_cmp_lt_i32_e64 s[0:1], v4, v5
	s_waitcnt lgkmcnt(0)
	v_lshl_add_u64 v[2:3], v[0:1], 0, v[2:3]
	v_cndmask_b32_e64 v4, v4, v9, s[0:1]
	v_lshlrev_b32_e32 v4, 2, v4
	ds_bpermute_b32 v2, v4, v2
	ds_bpermute_b32 v3, v4, v3
	s_and_saveexec_b64 s[0:1], vcc
	s_cbranch_execz .LBB108_12
; %bb.11:
	s_waitcnt lgkmcnt(0)
	v_cndmask_b32_e64 v1, v3, v1, s[2:3]
	v_cndmask_b32_e64 v0, v2, v0, s[2:3]
	global_store_dwordx2 v8, v[0:1], s[16:17]
.LBB108_12:
	s_endpgm
	.section	.rodata,"a",@progbits
	.p2align	6, 0x0
	.amdhsa_kernel _ZN7rocprim17ROCPRIM_304000_NS6detail31onesweep_scan_histograms_kernelINS1_34wrapped_radix_sort_onesweep_configINS0_14default_configElN2at4cuda3cub6detail10OpaqueTypeILi8EEEEEmEEvPT0_
		.amdhsa_group_segment_fixed_size 128
		.amdhsa_private_segment_fixed_size 0
		.amdhsa_kernarg_size 8
		.amdhsa_user_sgpr_count 2
		.amdhsa_user_sgpr_dispatch_ptr 0
		.amdhsa_user_sgpr_queue_ptr 0
		.amdhsa_user_sgpr_kernarg_segment_ptr 1
		.amdhsa_user_sgpr_dispatch_id 0
		.amdhsa_user_sgpr_kernarg_preload_length 0
		.amdhsa_user_sgpr_kernarg_preload_offset 0
		.amdhsa_user_sgpr_private_segment_size 0
		.amdhsa_uses_dynamic_stack 0
		.amdhsa_enable_private_segment 0
		.amdhsa_system_sgpr_workgroup_id_x 1
		.amdhsa_system_sgpr_workgroup_id_y 0
		.amdhsa_system_sgpr_workgroup_id_z 0
		.amdhsa_system_sgpr_workgroup_info 0
		.amdhsa_system_vgpr_workitem_id 0
		.amdhsa_next_free_vgpr 14
		.amdhsa_next_free_sgpr 20
		.amdhsa_accum_offset 16
		.amdhsa_reserve_vcc 1
		.amdhsa_float_round_mode_32 0
		.amdhsa_float_round_mode_16_64 0
		.amdhsa_float_denorm_mode_32 3
		.amdhsa_float_denorm_mode_16_64 3
		.amdhsa_dx10_clamp 1
		.amdhsa_ieee_mode 1
		.amdhsa_fp16_overflow 0
		.amdhsa_tg_split 0
		.amdhsa_exception_fp_ieee_invalid_op 0
		.amdhsa_exception_fp_denorm_src 0
		.amdhsa_exception_fp_ieee_div_zero 0
		.amdhsa_exception_fp_ieee_overflow 0
		.amdhsa_exception_fp_ieee_underflow 0
		.amdhsa_exception_fp_ieee_inexact 0
		.amdhsa_exception_int_div_zero 0
	.end_amdhsa_kernel
	.section	.text._ZN7rocprim17ROCPRIM_304000_NS6detail31onesweep_scan_histograms_kernelINS1_34wrapped_radix_sort_onesweep_configINS0_14default_configElN2at4cuda3cub6detail10OpaqueTypeILi8EEEEEmEEvPT0_,"axG",@progbits,_ZN7rocprim17ROCPRIM_304000_NS6detail31onesweep_scan_histograms_kernelINS1_34wrapped_radix_sort_onesweep_configINS0_14default_configElN2at4cuda3cub6detail10OpaqueTypeILi8EEEEEmEEvPT0_,comdat
.Lfunc_end108:
	.size	_ZN7rocprim17ROCPRIM_304000_NS6detail31onesweep_scan_histograms_kernelINS1_34wrapped_radix_sort_onesweep_configINS0_14default_configElN2at4cuda3cub6detail10OpaqueTypeILi8EEEEEmEEvPT0_, .Lfunc_end108-_ZN7rocprim17ROCPRIM_304000_NS6detail31onesweep_scan_histograms_kernelINS1_34wrapped_radix_sort_onesweep_configINS0_14default_configElN2at4cuda3cub6detail10OpaqueTypeILi8EEEEEmEEvPT0_
                                        ; -- End function
	.set _ZN7rocprim17ROCPRIM_304000_NS6detail31onesweep_scan_histograms_kernelINS1_34wrapped_radix_sort_onesweep_configINS0_14default_configElN2at4cuda3cub6detail10OpaqueTypeILi8EEEEEmEEvPT0_.num_vgpr, 14
	.set _ZN7rocprim17ROCPRIM_304000_NS6detail31onesweep_scan_histograms_kernelINS1_34wrapped_radix_sort_onesweep_configINS0_14default_configElN2at4cuda3cub6detail10OpaqueTypeILi8EEEEEmEEvPT0_.num_agpr, 0
	.set _ZN7rocprim17ROCPRIM_304000_NS6detail31onesweep_scan_histograms_kernelINS1_34wrapped_radix_sort_onesweep_configINS0_14default_configElN2at4cuda3cub6detail10OpaqueTypeILi8EEEEEmEEvPT0_.numbered_sgpr, 20
	.set _ZN7rocprim17ROCPRIM_304000_NS6detail31onesweep_scan_histograms_kernelINS1_34wrapped_radix_sort_onesweep_configINS0_14default_configElN2at4cuda3cub6detail10OpaqueTypeILi8EEEEEmEEvPT0_.num_named_barrier, 0
	.set _ZN7rocprim17ROCPRIM_304000_NS6detail31onesweep_scan_histograms_kernelINS1_34wrapped_radix_sort_onesweep_configINS0_14default_configElN2at4cuda3cub6detail10OpaqueTypeILi8EEEEEmEEvPT0_.private_seg_size, 0
	.set _ZN7rocprim17ROCPRIM_304000_NS6detail31onesweep_scan_histograms_kernelINS1_34wrapped_radix_sort_onesweep_configINS0_14default_configElN2at4cuda3cub6detail10OpaqueTypeILi8EEEEEmEEvPT0_.uses_vcc, 1
	.set _ZN7rocprim17ROCPRIM_304000_NS6detail31onesweep_scan_histograms_kernelINS1_34wrapped_radix_sort_onesweep_configINS0_14default_configElN2at4cuda3cub6detail10OpaqueTypeILi8EEEEEmEEvPT0_.uses_flat_scratch, 0
	.set _ZN7rocprim17ROCPRIM_304000_NS6detail31onesweep_scan_histograms_kernelINS1_34wrapped_radix_sort_onesweep_configINS0_14default_configElN2at4cuda3cub6detail10OpaqueTypeILi8EEEEEmEEvPT0_.has_dyn_sized_stack, 0
	.set _ZN7rocprim17ROCPRIM_304000_NS6detail31onesweep_scan_histograms_kernelINS1_34wrapped_radix_sort_onesweep_configINS0_14default_configElN2at4cuda3cub6detail10OpaqueTypeILi8EEEEEmEEvPT0_.has_recursion, 0
	.set _ZN7rocprim17ROCPRIM_304000_NS6detail31onesweep_scan_histograms_kernelINS1_34wrapped_radix_sort_onesweep_configINS0_14default_configElN2at4cuda3cub6detail10OpaqueTypeILi8EEEEEmEEvPT0_.has_indirect_call, 0
	.section	.AMDGPU.csdata,"",@progbits
; Kernel info:
; codeLenInByte = 924
; TotalNumSgprs: 26
; NumVgprs: 14
; NumAgprs: 0
; TotalNumVgprs: 14
; ScratchSize: 0
; MemoryBound: 0
; FloatMode: 240
; IeeeMode: 1
; LDSByteSize: 128 bytes/workgroup (compile time only)
; SGPRBlocks: 3
; VGPRBlocks: 1
; NumSGPRsForWavesPerEU: 26
; NumVGPRsForWavesPerEU: 14
; AccumOffset: 16
; Occupancy: 8
; WaveLimiterHint : 0
; COMPUTE_PGM_RSRC2:SCRATCH_EN: 0
; COMPUTE_PGM_RSRC2:USER_SGPR: 2
; COMPUTE_PGM_RSRC2:TRAP_HANDLER: 0
; COMPUTE_PGM_RSRC2:TGID_X_EN: 1
; COMPUTE_PGM_RSRC2:TGID_Y_EN: 0
; COMPUTE_PGM_RSRC2:TGID_Z_EN: 0
; COMPUTE_PGM_RSRC2:TIDIG_COMP_CNT: 0
; COMPUTE_PGM_RSRC3_GFX90A:ACCUM_OFFSET: 3
; COMPUTE_PGM_RSRC3_GFX90A:TG_SPLIT: 0
	.section	.text._ZN7rocprim17ROCPRIM_304000_NS6detail16transform_kernelINS1_24wrapped_transform_configINS0_14default_configElEElPKlPlNS0_8identityIlEEEEvT1_mT2_T3_,"axG",@progbits,_ZN7rocprim17ROCPRIM_304000_NS6detail16transform_kernelINS1_24wrapped_transform_configINS0_14default_configElEElPKlPlNS0_8identityIlEEEEvT1_mT2_T3_,comdat
	.protected	_ZN7rocprim17ROCPRIM_304000_NS6detail16transform_kernelINS1_24wrapped_transform_configINS0_14default_configElEElPKlPlNS0_8identityIlEEEEvT1_mT2_T3_ ; -- Begin function _ZN7rocprim17ROCPRIM_304000_NS6detail16transform_kernelINS1_24wrapped_transform_configINS0_14default_configElEElPKlPlNS0_8identityIlEEEEvT1_mT2_T3_
	.globl	_ZN7rocprim17ROCPRIM_304000_NS6detail16transform_kernelINS1_24wrapped_transform_configINS0_14default_configElEElPKlPlNS0_8identityIlEEEEvT1_mT2_T3_
	.p2align	8
	.type	_ZN7rocprim17ROCPRIM_304000_NS6detail16transform_kernelINS1_24wrapped_transform_configINS0_14default_configElEElPKlPlNS0_8identityIlEEEEvT1_mT2_T3_,@function
_ZN7rocprim17ROCPRIM_304000_NS6detail16transform_kernelINS1_24wrapped_transform_configINS0_14default_configElEElPKlPlNS0_8identityIlEEEEvT1_mT2_T3_: ; @_ZN7rocprim17ROCPRIM_304000_NS6detail16transform_kernelINS1_24wrapped_transform_configINS0_14default_configElEElPKlPlNS0_8identityIlEEEEvT1_mT2_T3_
; %bb.0:
	s_load_dword s3, s[0:1], 0x20
	s_load_dwordx4 s[4:7], s[0:1], 0x0
	s_lshl_b32 s8, s2, 7
	s_waitcnt lgkmcnt(0)
	s_add_i32 s3, s3, -1
	s_cmp_lg_u32 s2, s3
	s_cselect_b64 s[2:3], -1, 0
	s_sub_i32 s6, s6, s8
	v_cmp_gt_u32_e32 vcc, s6, v0
	s_or_b64 s[2:3], vcc, s[2:3]
	s_and_saveexec_b64 s[6:7], s[2:3]
	s_cbranch_execz .LBB109_2
; %bb.1:
	s_load_dwordx2 s[0:1], s[0:1], 0x10
	s_mov_b32 s9, 0
	s_lshl_b64 s[2:3], s[8:9], 3
	v_lshlrev_b32_e32 v2, 3, v0
	s_waitcnt lgkmcnt(0)
	s_add_u32 s0, s0, s2
	s_addc_u32 s1, s1, s3
	s_add_u32 s2, s4, s2
	s_addc_u32 s3, s5, s3
	global_load_dwordx2 v[0:1], v2, s[2:3]
	s_waitcnt vmcnt(0)
	global_store_dwordx2 v2, v[0:1], s[0:1]
.LBB109_2:
	s_endpgm
	.section	.rodata,"a",@progbits
	.p2align	6, 0x0
	.amdhsa_kernel _ZN7rocprim17ROCPRIM_304000_NS6detail16transform_kernelINS1_24wrapped_transform_configINS0_14default_configElEElPKlPlNS0_8identityIlEEEEvT1_mT2_T3_
		.amdhsa_group_segment_fixed_size 0
		.amdhsa_private_segment_fixed_size 0
		.amdhsa_kernarg_size 288
		.amdhsa_user_sgpr_count 2
		.amdhsa_user_sgpr_dispatch_ptr 0
		.amdhsa_user_sgpr_queue_ptr 0
		.amdhsa_user_sgpr_kernarg_segment_ptr 1
		.amdhsa_user_sgpr_dispatch_id 0
		.amdhsa_user_sgpr_kernarg_preload_length 0
		.amdhsa_user_sgpr_kernarg_preload_offset 0
		.amdhsa_user_sgpr_private_segment_size 0
		.amdhsa_uses_dynamic_stack 0
		.amdhsa_enable_private_segment 0
		.amdhsa_system_sgpr_workgroup_id_x 1
		.amdhsa_system_sgpr_workgroup_id_y 0
		.amdhsa_system_sgpr_workgroup_id_z 0
		.amdhsa_system_sgpr_workgroup_info 0
		.amdhsa_system_vgpr_workitem_id 0
		.amdhsa_next_free_vgpr 3
		.amdhsa_next_free_sgpr 10
		.amdhsa_accum_offset 4
		.amdhsa_reserve_vcc 1
		.amdhsa_float_round_mode_32 0
		.amdhsa_float_round_mode_16_64 0
		.amdhsa_float_denorm_mode_32 3
		.amdhsa_float_denorm_mode_16_64 3
		.amdhsa_dx10_clamp 1
		.amdhsa_ieee_mode 1
		.amdhsa_fp16_overflow 0
		.amdhsa_tg_split 0
		.amdhsa_exception_fp_ieee_invalid_op 0
		.amdhsa_exception_fp_denorm_src 0
		.amdhsa_exception_fp_ieee_div_zero 0
		.amdhsa_exception_fp_ieee_overflow 0
		.amdhsa_exception_fp_ieee_underflow 0
		.amdhsa_exception_fp_ieee_inexact 0
		.amdhsa_exception_int_div_zero 0
	.end_amdhsa_kernel
	.section	.text._ZN7rocprim17ROCPRIM_304000_NS6detail16transform_kernelINS1_24wrapped_transform_configINS0_14default_configElEElPKlPlNS0_8identityIlEEEEvT1_mT2_T3_,"axG",@progbits,_ZN7rocprim17ROCPRIM_304000_NS6detail16transform_kernelINS1_24wrapped_transform_configINS0_14default_configElEElPKlPlNS0_8identityIlEEEEvT1_mT2_T3_,comdat
.Lfunc_end109:
	.size	_ZN7rocprim17ROCPRIM_304000_NS6detail16transform_kernelINS1_24wrapped_transform_configINS0_14default_configElEElPKlPlNS0_8identityIlEEEEvT1_mT2_T3_, .Lfunc_end109-_ZN7rocprim17ROCPRIM_304000_NS6detail16transform_kernelINS1_24wrapped_transform_configINS0_14default_configElEElPKlPlNS0_8identityIlEEEEvT1_mT2_T3_
                                        ; -- End function
	.set _ZN7rocprim17ROCPRIM_304000_NS6detail16transform_kernelINS1_24wrapped_transform_configINS0_14default_configElEElPKlPlNS0_8identityIlEEEEvT1_mT2_T3_.num_vgpr, 3
	.set _ZN7rocprim17ROCPRIM_304000_NS6detail16transform_kernelINS1_24wrapped_transform_configINS0_14default_configElEElPKlPlNS0_8identityIlEEEEvT1_mT2_T3_.num_agpr, 0
	.set _ZN7rocprim17ROCPRIM_304000_NS6detail16transform_kernelINS1_24wrapped_transform_configINS0_14default_configElEElPKlPlNS0_8identityIlEEEEvT1_mT2_T3_.numbered_sgpr, 10
	.set _ZN7rocprim17ROCPRIM_304000_NS6detail16transform_kernelINS1_24wrapped_transform_configINS0_14default_configElEElPKlPlNS0_8identityIlEEEEvT1_mT2_T3_.num_named_barrier, 0
	.set _ZN7rocprim17ROCPRIM_304000_NS6detail16transform_kernelINS1_24wrapped_transform_configINS0_14default_configElEElPKlPlNS0_8identityIlEEEEvT1_mT2_T3_.private_seg_size, 0
	.set _ZN7rocprim17ROCPRIM_304000_NS6detail16transform_kernelINS1_24wrapped_transform_configINS0_14default_configElEElPKlPlNS0_8identityIlEEEEvT1_mT2_T3_.uses_vcc, 1
	.set _ZN7rocprim17ROCPRIM_304000_NS6detail16transform_kernelINS1_24wrapped_transform_configINS0_14default_configElEElPKlPlNS0_8identityIlEEEEvT1_mT2_T3_.uses_flat_scratch, 0
	.set _ZN7rocprim17ROCPRIM_304000_NS6detail16transform_kernelINS1_24wrapped_transform_configINS0_14default_configElEElPKlPlNS0_8identityIlEEEEvT1_mT2_T3_.has_dyn_sized_stack, 0
	.set _ZN7rocprim17ROCPRIM_304000_NS6detail16transform_kernelINS1_24wrapped_transform_configINS0_14default_configElEElPKlPlNS0_8identityIlEEEEvT1_mT2_T3_.has_recursion, 0
	.set _ZN7rocprim17ROCPRIM_304000_NS6detail16transform_kernelINS1_24wrapped_transform_configINS0_14default_configElEElPKlPlNS0_8identityIlEEEEvT1_mT2_T3_.has_indirect_call, 0
	.section	.AMDGPU.csdata,"",@progbits
; Kernel info:
; codeLenInByte = 120
; TotalNumSgprs: 16
; NumVgprs: 3
; NumAgprs: 0
; TotalNumVgprs: 3
; ScratchSize: 0
; MemoryBound: 0
; FloatMode: 240
; IeeeMode: 1
; LDSByteSize: 0 bytes/workgroup (compile time only)
; SGPRBlocks: 1
; VGPRBlocks: 0
; NumSGPRsForWavesPerEU: 16
; NumVGPRsForWavesPerEU: 3
; AccumOffset: 4
; Occupancy: 8
; WaveLimiterHint : 0
; COMPUTE_PGM_RSRC2:SCRATCH_EN: 0
; COMPUTE_PGM_RSRC2:USER_SGPR: 2
; COMPUTE_PGM_RSRC2:TRAP_HANDLER: 0
; COMPUTE_PGM_RSRC2:TGID_X_EN: 1
; COMPUTE_PGM_RSRC2:TGID_Y_EN: 0
; COMPUTE_PGM_RSRC2:TGID_Z_EN: 0
; COMPUTE_PGM_RSRC2:TIDIG_COMP_CNT: 0
; COMPUTE_PGM_RSRC3_GFX90A:ACCUM_OFFSET: 0
; COMPUTE_PGM_RSRC3_GFX90A:TG_SPLIT: 0
	.section	.text._ZN7rocprim17ROCPRIM_304000_NS6detail25onesweep_iteration_kernelINS1_34wrapped_radix_sort_onesweep_configINS0_14default_configElN2at4cuda3cub6detail10OpaqueTypeILi8EEEEELb1EPKlPlPKSA_PSA_mNS0_19identity_decomposerEEEvT1_T2_T3_T4_jPT5_SO_PNS1_23onesweep_lookback_stateET6_jjj,"axG",@progbits,_ZN7rocprim17ROCPRIM_304000_NS6detail25onesweep_iteration_kernelINS1_34wrapped_radix_sort_onesweep_configINS0_14default_configElN2at4cuda3cub6detail10OpaqueTypeILi8EEEEELb1EPKlPlPKSA_PSA_mNS0_19identity_decomposerEEEvT1_T2_T3_T4_jPT5_SO_PNS1_23onesweep_lookback_stateET6_jjj,comdat
	.protected	_ZN7rocprim17ROCPRIM_304000_NS6detail25onesweep_iteration_kernelINS1_34wrapped_radix_sort_onesweep_configINS0_14default_configElN2at4cuda3cub6detail10OpaqueTypeILi8EEEEELb1EPKlPlPKSA_PSA_mNS0_19identity_decomposerEEEvT1_T2_T3_T4_jPT5_SO_PNS1_23onesweep_lookback_stateET6_jjj ; -- Begin function _ZN7rocprim17ROCPRIM_304000_NS6detail25onesweep_iteration_kernelINS1_34wrapped_radix_sort_onesweep_configINS0_14default_configElN2at4cuda3cub6detail10OpaqueTypeILi8EEEEELb1EPKlPlPKSA_PSA_mNS0_19identity_decomposerEEEvT1_T2_T3_T4_jPT5_SO_PNS1_23onesweep_lookback_stateET6_jjj
	.globl	_ZN7rocprim17ROCPRIM_304000_NS6detail25onesweep_iteration_kernelINS1_34wrapped_radix_sort_onesweep_configINS0_14default_configElN2at4cuda3cub6detail10OpaqueTypeILi8EEEEELb1EPKlPlPKSA_PSA_mNS0_19identity_decomposerEEEvT1_T2_T3_T4_jPT5_SO_PNS1_23onesweep_lookback_stateET6_jjj
	.p2align	8
	.type	_ZN7rocprim17ROCPRIM_304000_NS6detail25onesweep_iteration_kernelINS1_34wrapped_radix_sort_onesweep_configINS0_14default_configElN2at4cuda3cub6detail10OpaqueTypeILi8EEEEELb1EPKlPlPKSA_PSA_mNS0_19identity_decomposerEEEvT1_T2_T3_T4_jPT5_SO_PNS1_23onesweep_lookback_stateET6_jjj,@function
_ZN7rocprim17ROCPRIM_304000_NS6detail25onesweep_iteration_kernelINS1_34wrapped_radix_sort_onesweep_configINS0_14default_configElN2at4cuda3cub6detail10OpaqueTypeILi8EEEEELb1EPKlPlPKSA_PSA_mNS0_19identity_decomposerEEEvT1_T2_T3_T4_jPT5_SO_PNS1_23onesweep_lookback_stateET6_jjj: ; @_ZN7rocprim17ROCPRIM_304000_NS6detail25onesweep_iteration_kernelINS1_34wrapped_radix_sort_onesweep_configINS0_14default_configElN2at4cuda3cub6detail10OpaqueTypeILi8EEEEELb1EPKlPlPKSA_PSA_mNS0_19identity_decomposerEEEvT1_T2_T3_T4_jPT5_SO_PNS1_23onesweep_lookback_stateET6_jjj
; %bb.0:
	s_load_dwordx4 s[44:47], s[0:1], 0x44
	s_load_dwordx8 s[36:43], s[0:1], 0x0
	s_load_dwordx4 s[28:31], s[0:1], 0x28
	s_load_dwordx2 s[34:35], s[0:1], 0x38
	s_mov_b64 s[4:5], -1
	s_waitcnt lgkmcnt(0)
	s_cmp_ge_u32 s2, s46
	s_mul_i32 s48, s2, 0x1800
	v_mbcnt_lo_u32_b32 v1, -1, 0
	s_cbranch_scc0 .LBB110_96
; %bb.1:
	s_load_dword s3, s[0:1], 0x20
	s_mul_i32 s4, s46, 0xffffe800
	s_mov_b32 s49, 0
	s_lshl_b64 s[46:47], s[48:49], 3
	v_mbcnt_hi_u32_b32 v9, -1, v1
	s_waitcnt lgkmcnt(0)
	s_add_i32 s49, s4, s3
	s_add_u32 s4, s36, s46
	v_and_b32_e32 v2, 0x3c0, v0
	s_addc_u32 s5, s37, s47
	v_mul_u32_u24_e32 v8, 6, v2
	v_mov_b32_e32 v5, 0
	v_lshlrev_b32_e32 v4, 3, v9
	v_lshl_add_u64 v[2:3], s[4:5], 0, v[4:5]
	v_lshlrev_b32_e32 v6, 3, v8
	v_mov_b32_e32 v7, v5
	v_or_b32_e32 v5, v9, v8
	v_lshl_add_u64 v[2:3], v[2:3], 0, v[6:7]
	v_cmp_gt_u32_e32 vcc, s49, v5
	v_mov_b64_e32 v[10:11], -1
	v_mov_b64_e32 v[12:13], -1
	s_and_saveexec_b64 s[4:5], vcc
	s_cbranch_execz .LBB110_3
; %bb.2:
	global_load_dwordx2 v[12:13], v[2:3], off
	s_waitcnt vmcnt(0)
	v_xor_b32_e32 v13, 0x7fffffff, v13
	v_not_b32_e32 v12, v12
.LBB110_3:
	s_or_b64 exec, exec, s[4:5]
	v_add_u32_e32 v7, 64, v5
	v_cmp_gt_u32_e64 s[26:27], s49, v7
	s_and_saveexec_b64 s[4:5], s[26:27]
	s_cbranch_execz .LBB110_5
; %bb.4:
	global_load_dwordx2 v[10:11], v[2:3], off offset:512
	s_waitcnt vmcnt(0)
	v_xor_b32_e32 v11, 0x7fffffff, v11
	v_not_b32_e32 v10, v10
.LBB110_5:
	s_or_b64 exec, exec, s[4:5]
	v_add_u32_e32 v7, 0x80, v5
	v_cmp_gt_u32_e64 s[4:5], s49, v7
	v_mov_b64_e32 v[14:15], -1
	v_mov_b64_e32 v[16:17], -1
	s_and_saveexec_b64 s[6:7], s[4:5]
	s_cbranch_execz .LBB110_7
; %bb.6:
	global_load_dwordx2 v[16:17], v[2:3], off offset:1024
	s_waitcnt vmcnt(0)
	v_xor_b32_e32 v17, 0x7fffffff, v17
	v_not_b32_e32 v16, v16
.LBB110_7:
	s_or_b64 exec, exec, s[6:7]
	v_add_u32_e32 v7, 0xc0, v5
	v_cmp_gt_u32_e64 s[6:7], s49, v7
	s_and_saveexec_b64 s[8:9], s[6:7]
	s_cbranch_execz .LBB110_9
; %bb.8:
	global_load_dwordx2 v[14:15], v[2:3], off offset:1536
	s_waitcnt vmcnt(0)
	v_xor_b32_e32 v15, 0x7fffffff, v15
	v_not_b32_e32 v14, v14
.LBB110_9:
	s_or_b64 exec, exec, s[8:9]
	v_add_u32_e32 v7, 0x100, v5
	v_cmp_gt_u32_e64 s[8:9], s49, v7
	v_mov_b64_e32 v[18:19], -1
	v_mov_b64_e32 v[20:21], -1
	s_and_saveexec_b64 s[10:11], s[8:9]
	s_cbranch_execz .LBB110_11
; %bb.10:
	global_load_dwordx2 v[20:21], v[2:3], off offset:2048
	s_waitcnt vmcnt(0)
	v_xor_b32_e32 v21, 0x7fffffff, v21
	v_not_b32_e32 v20, v20
.LBB110_11:
	s_or_b64 exec, exec, s[10:11]
	v_add_u32_e32 v5, 0x140, v5
	v_and_b32_e32 v8, 0x3ff, v0
	v_cmp_gt_u32_e64 s[10:11], s49, v5
	s_and_saveexec_b64 s[12:13], s[10:11]
	s_cbranch_execz .LBB110_13
; %bb.12:
	global_load_dwordx2 v[2:3], v[2:3], off offset:2560
	s_waitcnt vmcnt(0)
	v_xor_b32_e32 v19, 0x7fffffff, v3
	v_not_b32_e32 v18, v2
.LBB110_13:
	s_or_b64 exec, exec, s[12:13]
	s_load_dword s12, s[0:1], 0x5c
	s_load_dword s3, s[0:1], 0x50
	s_add_u32 s13, s0, 0x50
	s_addc_u32 s14, s1, 0
	v_mov_b32_e32 v22, 0
	s_waitcnt lgkmcnt(0)
	s_lshr_b32 s15, s12, 16
	s_cmp_lt_u32 s2, s3
	s_cselect_b32 s12, 12, 18
	s_add_u32 s12, s13, s12
	s_addc_u32 s13, s14, 0
	global_load_ushort v5, v22, s[12:13]
	v_bfe_u32 v3, v0, 10, 10
	v_bfe_u32 v7, v0, 20, 10
	v_lshrrev_b64 v[24:25], s44, v[12:13]
	s_lshl_b32 s12, -1, s45
	v_lshlrev_b32_e32 v2, 3, v8
	v_mov_b32_e32 v23, v22
	v_mad_u32_u24 v7, v7, s15, v3
	v_bitop3_b32 v3, v24, s12, v24 bitop3:0x30
	v_mov_b32_e32 v25, v22
	ds_write_b64 v2, v[22:23] offset:64
	v_and_b32_e32 v24, 1, v3
	v_lshlrev_b32_e32 v23, 30, v3
	s_not_b32 s33, s12
	v_lshl_add_u64 v[26:27], v[24:25], 0, -1
	v_cmp_ne_u32_e64 s[12:13], 0, v24
	v_cmp_gt_i64_e64 s[14:15], 0, v[22:23]
	v_not_b32_e32 v24, v23
	v_lshlrev_b32_e32 v23, 29, v3
	v_xor_b32_e32 v25, s13, v27
	v_xor_b32_e32 v26, s12, v26
	v_ashrrev_i32_e32 v24, 31, v24
	v_cmp_gt_i64_e64 s[12:13], 0, v[22:23]
	v_not_b32_e32 v27, v23
	v_lshlrev_b32_e32 v23, 28, v3
	v_and_b32_e32 v25, exec_hi, v25
	v_and_b32_e32 v26, exec_lo, v26
	v_xor_b32_e32 v29, s15, v24
	v_xor_b32_e32 v24, s14, v24
	v_ashrrev_i32_e32 v27, 31, v27
	v_cmp_gt_i64_e64 s[14:15], 0, v[22:23]
	v_not_b32_e32 v30, v23
	v_lshlrev_b32_e32 v23, 27, v3
	s_movk_i32 s16, 0x44
	v_and_b32_e32 v25, v25, v29
	v_and_b32_e32 v24, v26, v24
	v_xor_b32_e32 v26, s13, v27
	v_xor_b32_e32 v27, s12, v27
	v_ashrrev_i32_e32 v29, 31, v30
	v_cmp_gt_i64_e64 s[12:13], 0, v[22:23]
	v_not_b32_e32 v30, v23
	v_lshlrev_b32_e32 v23, 26, v3
	v_mul_lo_u32 v28, v3, s16
	v_and_b32_e32 v3, v25, v26
	v_and_b32_e32 v24, v24, v27
	v_xor_b32_e32 v25, s15, v29
	v_xor_b32_e32 v26, s14, v29
	v_ashrrev_i32_e32 v27, 31, v30
	v_cmp_gt_i64_e64 s[14:15], 0, v[22:23]
	v_not_b32_e32 v23, v23
	v_and_b32_e32 v3, v3, v25
	v_and_b32_e32 v24, v24, v26
	v_xor_b32_e32 v25, s13, v27
	v_xor_b32_e32 v26, s12, v27
	v_ashrrev_i32_e32 v23, 31, v23
	v_and_b32_e32 v3, v3, v25
	v_and_b32_e32 v24, v24, v26
	v_xor_b32_e32 v25, s15, v23
	v_xor_b32_e32 v23, s14, v23
	v_and_b32_e32 v24, v24, v23
	v_and_b32_e32 v25, v3, v25
	v_mbcnt_lo_u32_b32 v3, v24, 0
	v_mbcnt_hi_u32_b32 v3, v25, v3
	v_cmp_ne_u64_e64 s[12:13], 0, v[24:25]
	v_cmp_eq_u32_e64 s[14:15], 0, v3
	s_and_b64 s[14:15], s[12:13], s[14:15]
	s_waitcnt lgkmcnt(0)
	s_barrier
	s_waitcnt vmcnt(0)
	; wave barrier
	v_mad_u64_u32 v[26:27], s[18:19], v7, v5, v[8:9]
	v_lshrrev_b32_e32 v32, 6, v26
	v_lshl_add_u32 v7, v32, 2, v28
	s_and_saveexec_b64 s[12:13], s[14:15]
; %bb.14:
	v_bcnt_u32_b32 v5, v24, 0
	v_bcnt_u32_b32 v5, v25, v5
	ds_write_b32 v7, v5 offset:64
; %bb.15:
	s_or_b64 exec, exec, s[12:13]
	v_lshrrev_b64 v[24:25], s44, v[10:11]
	v_and_b32_e32 v27, s33, v24
	v_and_b32_e32 v24, 1, v27
	v_mov_b32_e32 v25, v22
	v_lshl_add_u64 v[28:29], v[24:25], 0, -1
	v_cmp_ne_u32_e64 s[12:13], 0, v24
	v_mul_lo_u32 v5, v27, s16
	v_lshl_add_u32 v26, v32, 2, v5
	v_xor_b32_e32 v23, s13, v29
	v_and_b32_e32 v25, exec_hi, v23
	v_lshlrev_b32_e32 v23, 30, v27
	v_xor_b32_e32 v24, s12, v28
	v_cmp_gt_i64_e64 s[12:13], 0, v[22:23]
	v_not_b32_e32 v23, v23
	v_ashrrev_i32_e32 v23, 31, v23
	v_and_b32_e32 v24, exec_lo, v24
	v_xor_b32_e32 v28, s13, v23
	v_xor_b32_e32 v23, s12, v23
	v_and_b32_e32 v24, v24, v23
	v_lshlrev_b32_e32 v23, 29, v27
	v_cmp_gt_i64_e64 s[12:13], 0, v[22:23]
	v_not_b32_e32 v23, v23
	v_ashrrev_i32_e32 v23, 31, v23
	v_and_b32_e32 v25, v25, v28
	v_xor_b32_e32 v28, s13, v23
	v_xor_b32_e32 v23, s12, v23
	v_and_b32_e32 v24, v24, v23
	v_lshlrev_b32_e32 v23, 28, v27
	v_cmp_gt_i64_e64 s[12:13], 0, v[22:23]
	v_not_b32_e32 v23, v23
	v_ashrrev_i32_e32 v23, 31, v23
	v_and_b32_e32 v25, v25, v28
	v_xor_b32_e32 v28, s13, v23
	v_xor_b32_e32 v23, s12, v23
	v_and_b32_e32 v24, v24, v23
	v_lshlrev_b32_e32 v23, 27, v27
	v_cmp_gt_i64_e64 s[12:13], 0, v[22:23]
	v_not_b32_e32 v23, v23
	v_ashrrev_i32_e32 v23, 31, v23
	v_and_b32_e32 v25, v25, v28
	v_xor_b32_e32 v28, s13, v23
	v_xor_b32_e32 v23, s12, v23
	v_and_b32_e32 v24, v24, v23
	v_lshlrev_b32_e32 v23, 26, v27
	v_cmp_gt_i64_e64 s[12:13], 0, v[22:23]
	v_not_b32_e32 v22, v23
	v_ashrrev_i32_e32 v22, 31, v22
	v_xor_b32_e32 v23, s13, v22
	v_xor_b32_e32 v22, s12, v22
	; wave barrier
	ds_read_b32 v5, v26 offset:64
	v_and_b32_e32 v25, v25, v28
	v_and_b32_e32 v22, v24, v22
	;; [unrolled: 1-line block ×3, first 2 shown]
	v_mbcnt_lo_u32_b32 v24, v22, 0
	v_mbcnt_hi_u32_b32 v27, v23, v24
	v_cmp_eq_u32_e64 s[12:13], 0, v27
	v_cmp_ne_u64_e64 s[14:15], 0, v[22:23]
	s_and_b64 s[14:15], s[14:15], s[12:13]
	; wave barrier
	s_and_saveexec_b64 s[12:13], s[14:15]
	s_cbranch_execz .LBB110_17
; %bb.16:
	v_bcnt_u32_b32 v22, v22, 0
	v_bcnt_u32_b32 v22, v23, v22
	s_waitcnt lgkmcnt(0)
	v_add_u32_e32 v22, v5, v22
	ds_write_b32 v26, v22 offset:64
.LBB110_17:
	s_or_b64 exec, exec, s[12:13]
	v_lshrrev_b64 v[22:23], s44, v[16:17]
	v_and_b32_e32 v30, s33, v22
	v_mul_lo_u32 v22, v30, s16
	v_lshl_add_u32 v29, v32, 2, v22
	v_and_b32_e32 v22, 1, v30
	v_mov_b32_e32 v23, 0
	v_lshl_add_u64 v[24:25], v[22:23], 0, -1
	v_cmp_ne_u32_e64 s[12:13], 0, v22
	; wave barrier
	s_nop 1
	v_xor_b32_e32 v24, s12, v24
	v_xor_b32_e32 v22, s13, v25
	v_and_b32_e32 v31, exec_lo, v24
	v_lshlrev_b32_e32 v25, 30, v30
	v_mov_b32_e32 v24, v23
	v_cmp_gt_i64_e64 s[12:13], 0, v[24:25]
	v_not_b32_e32 v24, v25
	v_ashrrev_i32_e32 v24, 31, v24
	v_and_b32_e32 v22, exec_hi, v22
	v_xor_b32_e32 v25, s13, v24
	v_xor_b32_e32 v24, s12, v24
	v_and_b32_e32 v22, v22, v25
	v_and_b32_e32 v31, v31, v24
	v_lshlrev_b32_e32 v25, 29, v30
	v_mov_b32_e32 v24, v23
	v_cmp_gt_i64_e64 s[12:13], 0, v[24:25]
	v_not_b32_e32 v24, v25
	v_ashrrev_i32_e32 v24, 31, v24
	v_xor_b32_e32 v25, s13, v24
	v_xor_b32_e32 v24, s12, v24
	v_and_b32_e32 v22, v22, v25
	v_and_b32_e32 v31, v31, v24
	v_lshlrev_b32_e32 v25, 28, v30
	v_mov_b32_e32 v24, v23
	v_cmp_gt_i64_e64 s[12:13], 0, v[24:25]
	v_not_b32_e32 v24, v25
	v_ashrrev_i32_e32 v24, 31, v24
	;; [unrolled: 9-line block ×4, first 2 shown]
	v_xor_b32_e32 v25, s13, v24
	v_xor_b32_e32 v24, s12, v24
	ds_read_b32 v28, v29 offset:64
	v_and_b32_e32 v24, v31, v24
	v_and_b32_e32 v25, v22, v25
	v_mbcnt_lo_u32_b32 v22, v24, 0
	v_mbcnt_hi_u32_b32 v30, v25, v22
	v_cmp_eq_u32_e64 s[12:13], 0, v30
	v_cmp_ne_u64_e64 s[14:15], 0, v[24:25]
	s_and_b64 s[14:15], s[14:15], s[12:13]
	; wave barrier
	s_and_saveexec_b64 s[12:13], s[14:15]
	s_cbranch_execz .LBB110_19
; %bb.18:
	v_bcnt_u32_b32 v22, v24, 0
	v_bcnt_u32_b32 v22, v25, v22
	s_waitcnt lgkmcnt(0)
	v_add_u32_e32 v22, v28, v22
	ds_write_b32 v29, v22 offset:64
.LBB110_19:
	s_or_b64 exec, exec, s[12:13]
	v_lshrrev_b64 v[24:25], s44, v[14:15]
	v_and_b32_e32 v34, s33, v24
	v_mul_lo_u32 v22, v34, s16
	v_lshl_add_u32 v33, v32, 2, v22
	v_and_b32_e32 v22, 1, v34
	v_lshl_add_u64 v[24:25], v[22:23], 0, -1
	v_cmp_ne_u32_e64 s[12:13], 0, v22
	; wave barrier
	s_nop 1
	v_xor_b32_e32 v24, s12, v24
	v_xor_b32_e32 v22, s13, v25
	v_and_b32_e32 v35, exec_lo, v24
	v_lshlrev_b32_e32 v25, 30, v34
	v_mov_b32_e32 v24, v23
	v_cmp_gt_i64_e64 s[12:13], 0, v[24:25]
	v_not_b32_e32 v24, v25
	v_ashrrev_i32_e32 v24, 31, v24
	v_and_b32_e32 v22, exec_hi, v22
	v_xor_b32_e32 v25, s13, v24
	v_xor_b32_e32 v24, s12, v24
	v_and_b32_e32 v22, v22, v25
	v_and_b32_e32 v35, v35, v24
	v_lshlrev_b32_e32 v25, 29, v34
	v_mov_b32_e32 v24, v23
	v_cmp_gt_i64_e64 s[12:13], 0, v[24:25]
	v_not_b32_e32 v24, v25
	v_ashrrev_i32_e32 v24, 31, v24
	v_xor_b32_e32 v25, s13, v24
	v_xor_b32_e32 v24, s12, v24
	v_and_b32_e32 v22, v22, v25
	v_and_b32_e32 v35, v35, v24
	v_lshlrev_b32_e32 v25, 28, v34
	v_mov_b32_e32 v24, v23
	v_cmp_gt_i64_e64 s[12:13], 0, v[24:25]
	v_not_b32_e32 v24, v25
	v_ashrrev_i32_e32 v24, 31, v24
	;; [unrolled: 9-line block ×3, first 2 shown]
	v_xor_b32_e32 v25, s13, v24
	v_xor_b32_e32 v24, s12, v24
	v_and_b32_e32 v22, v22, v25
	v_lshlrev_b32_e32 v25, 26, v34
	v_and_b32_e32 v35, v35, v24
	v_mov_b32_e32 v24, v23
	v_not_b32_e32 v23, v25
	v_cmp_gt_i64_e64 s[12:13], 0, v[24:25]
	v_ashrrev_i32_e32 v23, 31, v23
	ds_read_b32 v31, v33 offset:64
	v_xor_b32_e32 v24, s13, v23
	v_xor_b32_e32 v25, s12, v23
	v_and_b32_e32 v23, v22, v24
	v_and_b32_e32 v22, v35, v25
	v_mbcnt_lo_u32_b32 v24, v22, 0
	v_mbcnt_hi_u32_b32 v34, v23, v24
	v_cmp_eq_u32_e64 s[12:13], 0, v34
	v_cmp_ne_u64_e64 s[14:15], 0, v[22:23]
	s_and_b64 s[14:15], s[14:15], s[12:13]
	; wave barrier
	s_and_saveexec_b64 s[12:13], s[14:15]
	s_cbranch_execz .LBB110_21
; %bb.20:
	v_bcnt_u32_b32 v22, v22, 0
	v_bcnt_u32_b32 v22, v23, v22
	s_waitcnt lgkmcnt(0)
	v_add_u32_e32 v22, v31, v22
	ds_write_b32 v33, v22 offset:64
.LBB110_21:
	s_or_b64 exec, exec, s[12:13]
	v_lshrrev_b64 v[22:23], s44, v[20:21]
	v_and_b32_e32 v37, s33, v22
	v_mul_lo_u32 v22, v37, s16
	v_lshl_add_u32 v36, v32, 2, v22
	v_and_b32_e32 v22, 1, v37
	v_mov_b32_e32 v23, 0
	v_lshl_add_u64 v[24:25], v[22:23], 0, -1
	v_cmp_ne_u32_e64 s[12:13], 0, v22
	; wave barrier
	s_nop 1
	v_xor_b32_e32 v24, s12, v24
	v_xor_b32_e32 v22, s13, v25
	v_and_b32_e32 v38, exec_lo, v24
	v_lshlrev_b32_e32 v25, 30, v37
	v_mov_b32_e32 v24, v23
	v_cmp_gt_i64_e64 s[12:13], 0, v[24:25]
	v_not_b32_e32 v24, v25
	v_ashrrev_i32_e32 v24, 31, v24
	v_and_b32_e32 v22, exec_hi, v22
	v_xor_b32_e32 v25, s13, v24
	v_xor_b32_e32 v24, s12, v24
	v_and_b32_e32 v22, v22, v25
	v_and_b32_e32 v38, v38, v24
	v_lshlrev_b32_e32 v25, 29, v37
	v_mov_b32_e32 v24, v23
	v_cmp_gt_i64_e64 s[12:13], 0, v[24:25]
	v_not_b32_e32 v24, v25
	v_ashrrev_i32_e32 v24, 31, v24
	v_xor_b32_e32 v25, s13, v24
	v_xor_b32_e32 v24, s12, v24
	v_and_b32_e32 v22, v22, v25
	v_and_b32_e32 v38, v38, v24
	v_lshlrev_b32_e32 v25, 28, v37
	v_mov_b32_e32 v24, v23
	v_cmp_gt_i64_e64 s[12:13], 0, v[24:25]
	v_not_b32_e32 v24, v25
	v_ashrrev_i32_e32 v24, 31, v24
	;; [unrolled: 9-line block ×4, first 2 shown]
	v_xor_b32_e32 v25, s13, v24
	v_xor_b32_e32 v24, s12, v24
	ds_read_b32 v35, v36 offset:64
	v_and_b32_e32 v24, v38, v24
	v_and_b32_e32 v25, v22, v25
	v_mbcnt_lo_u32_b32 v22, v24, 0
	v_mbcnt_hi_u32_b32 v37, v25, v22
	v_cmp_eq_u32_e64 s[12:13], 0, v37
	v_cmp_ne_u64_e64 s[14:15], 0, v[24:25]
	s_and_b64 s[14:15], s[14:15], s[12:13]
	; wave barrier
	s_and_saveexec_b64 s[12:13], s[14:15]
	s_cbranch_execz .LBB110_23
; %bb.22:
	v_bcnt_u32_b32 v22, v24, 0
	v_bcnt_u32_b32 v22, v25, v22
	s_waitcnt lgkmcnt(0)
	v_add_u32_e32 v22, v35, v22
	ds_write_b32 v36, v22 offset:64
.LBB110_23:
	s_or_b64 exec, exec, s[12:13]
	v_lshrrev_b64 v[24:25], s44, v[18:19]
	v_and_b32_e32 v25, s33, v24
	v_mul_lo_u32 v22, v25, s16
	v_lshl_add_u32 v24, v32, 2, v22
	v_and_b32_e32 v22, 1, v25
	v_lshl_add_u64 v[40:41], v[22:23], 0, -1
	v_cmp_ne_u32_e64 s[12:13], 0, v22
	; wave barrier
	s_nop 1
	v_xor_b32_e32 v22, s13, v41
	v_lshlrev_b32_e32 v41, 30, v25
	v_xor_b32_e32 v32, s12, v40
	v_mov_b32_e32 v40, v23
	v_not_b32_e32 v39, v41
	v_cmp_gt_i64_e64 s[12:13], 0, v[40:41]
	v_ashrrev_i32_e32 v39, 31, v39
	v_and_b32_e32 v22, exec_hi, v22
	v_and_b32_e32 v32, exec_lo, v32
	v_xor_b32_e32 v40, s13, v39
	v_xor_b32_e32 v39, s12, v39
	v_lshlrev_b32_e32 v41, 29, v25
	v_and_b32_e32 v22, v22, v40
	v_and_b32_e32 v32, v32, v39
	v_mov_b32_e32 v40, v23
	v_not_b32_e32 v39, v41
	v_cmp_gt_i64_e64 s[12:13], 0, v[40:41]
	v_ashrrev_i32_e32 v39, 31, v39
	v_lshlrev_b32_e32 v41, 28, v25
	v_xor_b32_e32 v40, s13, v39
	v_xor_b32_e32 v39, s12, v39
	v_and_b32_e32 v22, v22, v40
	v_and_b32_e32 v32, v32, v39
	v_mov_b32_e32 v40, v23
	v_not_b32_e32 v39, v41
	v_cmp_gt_i64_e64 s[12:13], 0, v[40:41]
	v_ashrrev_i32_e32 v39, 31, v39
	v_lshlrev_b32_e32 v41, 27, v25
	v_xor_b32_e32 v40, s13, v39
	v_xor_b32_e32 v39, s12, v39
	v_and_b32_e32 v22, v22, v40
	v_and_b32_e32 v32, v32, v39
	v_mov_b32_e32 v40, v23
	v_not_b32_e32 v39, v41
	v_cmp_gt_i64_e64 s[12:13], 0, v[40:41]
	v_ashrrev_i32_e32 v39, 31, v39
	v_lshlrev_b32_e32 v41, 26, v25
	v_xor_b32_e32 v40, s13, v39
	v_and_b32_e32 v22, v22, v40
	v_mov_b32_e32 v40, v23
	v_not_b32_e32 v23, v41
	v_xor_b32_e32 v39, s12, v39
	v_cmp_gt_i64_e64 s[12:13], 0, v[40:41]
	v_ashrrev_i32_e32 v23, 31, v23
	v_and_b32_e32 v32, v32, v39
	v_xor_b32_e32 v25, s13, v23
	v_xor_b32_e32 v39, s12, v23
	ds_read_b32 v38, v24 offset:64
	v_and_b32_e32 v23, v22, v25
	v_and_b32_e32 v22, v32, v39
	v_mbcnt_lo_u32_b32 v25, v22, 0
	v_mbcnt_hi_u32_b32 v39, v23, v25
	v_cmp_eq_u32_e64 s[12:13], 0, v39
	v_cmp_ne_u64_e64 s[14:15], 0, v[22:23]
	s_and_b64 s[14:15], s[14:15], s[12:13]
	; wave barrier
	s_and_saveexec_b64 s[12:13], s[14:15]
	s_cbranch_execz .LBB110_25
; %bb.24:
	v_bcnt_u32_b32 v22, v22, 0
	v_bcnt_u32_b32 v22, v23, v22
	s_waitcnt lgkmcnt(0)
	v_add_u32_e32 v22, v38, v22
	ds_write_b32 v24, v22 offset:64
.LBB110_25:
	s_or_b64 exec, exec, s[12:13]
	; wave barrier
	s_waitcnt lgkmcnt(0)
	s_barrier
	ds_read_b64 v[22:23], v2 offset:64
	v_and_b32_e32 v25, 15, v9
	v_cmp_eq_u32_e64 s[12:13], 0, v25
	v_cmp_lt_u32_e64 s[14:15], 1, v25
	v_cmp_lt_u32_e64 s[16:17], 3, v25
	s_waitcnt lgkmcnt(0)
	v_add_u32_e32 v23, v23, v22
	v_cmp_lt_u32_e64 s[18:19], 7, v25
	v_cmp_lt_u32_e64 s[20:21], 31, v9
	v_mov_b32_dpp v32, v23 row_shr:1 row_mask:0xf bank_mask:0xf
	v_cndmask_b32_e64 v32, v32, 0, s[12:13]
	v_add_u32_e32 v23, v32, v23
	s_nop 1
	v_mov_b32_dpp v32, v23 row_shr:2 row_mask:0xf bank_mask:0xf
	v_cndmask_b32_e64 v32, 0, v32, s[14:15]
	v_add_u32_e32 v23, v23, v32
	s_nop 1
	;; [unrolled: 4-line block ×3, first 2 shown]
	v_mov_b32_dpp v32, v23 row_shr:8 row_mask:0xf bank_mask:0xf
	v_cndmask_b32_e64 v25, 0, v32, s[18:19]
	v_add_u32_e32 v23, v23, v25
	v_bfe_i32 v32, v9, 4, 1
	s_nop 0
	v_mov_b32_dpp v25, v23 row_bcast:15 row_mask:0xf bank_mask:0xf
	v_and_b32_e32 v25, v32, v25
	v_add_u32_e32 v23, v23, v25
	v_and_b32_e32 v32, 63, v8
	s_nop 0
	v_mov_b32_dpp v25, v23 row_bcast:31 row_mask:0xf bank_mask:0xf
	v_cndmask_b32_e64 v25, 0, v25, s[20:21]
	v_add_u32_e32 v23, v23, v25
	v_lshrrev_b32_e32 v25, 6, v8
	v_cmp_eq_u32_e64 s[20:21], 63, v32
	s_and_saveexec_b64 s[22:23], s[20:21]
; %bb.26:
	v_lshlrev_b32_e32 v32, 2, v25
	ds_write_b32 v32, v23
; %bb.27:
	s_or_b64 exec, exec, s[22:23]
	v_cmp_gt_u32_e64 s[20:21], 16, v8
	s_waitcnt lgkmcnt(0)
	s_barrier
	s_and_saveexec_b64 s[22:23], s[20:21]
	s_cbranch_execz .LBB110_29
; %bb.28:
	v_lshlrev_b32_e32 v32, 2, v8
	ds_read_b32 v40, v32
	s_waitcnt lgkmcnt(0)
	s_nop 0
	v_mov_b32_dpp v41, v40 row_shr:1 row_mask:0xf bank_mask:0xf
	v_cndmask_b32_e64 v41, v41, 0, s[12:13]
	v_add_u32_e32 v40, v41, v40
	s_nop 1
	v_mov_b32_dpp v41, v40 row_shr:2 row_mask:0xf bank_mask:0xf
	v_cndmask_b32_e64 v41, 0, v41, s[14:15]
	v_add_u32_e32 v40, v40, v41
	;; [unrolled: 4-line block ×4, first 2 shown]
	ds_write_b32 v32, v40
.LBB110_29:
	s_or_b64 exec, exec, s[22:23]
	v_cmp_gt_u32_e64 s[14:15], 64, v8
	v_cmp_lt_u32_e64 s[12:13], 63, v8
	v_mov_b32_e32 v32, 0
	s_waitcnt lgkmcnt(0)
	s_barrier
	s_and_saveexec_b64 s[16:17], s[12:13]
; %bb.30:
	v_lshl_add_u32 v25, v25, 2, -4
	ds_read_b32 v32, v25
; %bb.31:
	s_or_b64 exec, exec, s[16:17]
	v_add_u32_e32 v25, -1, v9
	v_and_b32_e32 v40, 64, v9
	v_cmp_lt_i32_e64 s[16:17], v25, v40
	s_waitcnt lgkmcnt(0)
	v_add_u32_e32 v23, v32, v23
	v_cndmask_b32_e64 v25, v25, v9, s[16:17]
	v_lshlrev_b32_e32 v25, 2, v25
	ds_bpermute_b32 v23, v25, v23
	v_cmp_eq_u32_e64 s[16:17], 0, v9
	s_waitcnt lgkmcnt(0)
	s_nop 0
	v_cndmask_b32_e64 v9, v23, v32, s[16:17]
	v_cmp_ne_u32_e64 s[16:17], 0, v8
	s_nop 1
	v_cndmask_b32_e64 v40, 0, v9, s[16:17]
	v_add_u32_e32 v41, v40, v22
	ds_write_b64 v2, v[40:41] offset:64
	s_waitcnt lgkmcnt(0)
	s_barrier
	ds_read_b32 v25, v7 offset:64
	ds_read_b32 v32, v26 offset:64
	;; [unrolled: 1-line block ×6, first 2 shown]
	v_mov_b64_e32 v[22:23], 0
                                        ; implicit-def: $vgpr24
	s_and_saveexec_b64 s[18:19], s[14:15]
	s_cbranch_execz .LBB110_35
; %bb.32:
	v_mul_u32_u24_e32 v22, 0x44, v8
	ds_read_b32 v22, v22 offset:64
	v_add_u32_e32 v24, 1, v8
	v_cmp_ne_u32_e64 s[16:17], 64, v24
	v_mov_b32_e32 v23, 0x1800
	s_and_saveexec_b64 s[20:21], s[16:17]
; %bb.33:
	v_mul_u32_u24_e32 v23, 0x44, v24
	ds_read_b32 v23, v23 offset:64
; %bb.34:
	s_or_b64 exec, exec, s[20:21]
	s_waitcnt lgkmcnt(0)
	v_sub_u32_e32 v24, v23, v22
	v_mov_b32_e32 v23, 0
.LBB110_35:
	s_or_b64 exec, exec, s[18:19]
	v_lshlrev_b32_e32 v3, 3, v3
	s_waitcnt lgkmcnt(5)
	v_lshl_add_u32 v25, v25, 3, v3
	s_waitcnt lgkmcnt(0)
	s_barrier
	ds_write_b64 v25, v[12:13] offset:512
	v_lshlrev_b32_e32 v3, 3, v32
	v_lshlrev_b32_e32 v12, 3, v27
	;; [unrolled: 1-line block ×3, first 2 shown]
	v_add3_u32 v32, v3, v12, v5
	ds_write_b64 v32, v[10:11] offset:512
	v_lshlrev_b32_e32 v3, 3, v29
	v_lshlrev_b32_e32 v5, 3, v30
	v_lshlrev_b32_e32 v10, 3, v28
	v_add3_u32 v33, v3, v5, v10
	v_lshlrev_b32_e32 v3, 3, v26
	v_lshlrev_b32_e32 v5, 3, v34
	v_lshlrev_b32_e32 v10, 3, v31
	v_add3_u32 v34, v3, v5, v10
	;; [unrolled: 4-line block ×4, first 2 shown]
	v_mov_b32_e32 v11, 0
	ds_write_b64 v33, v[16:17] offset:512
	ds_write_b64 v34, v[14:15] offset:512
	;; [unrolled: 1-line block ×4, first 2 shown]
	s_waitcnt lgkmcnt(0)
	s_barrier
	s_and_saveexec_b64 s[16:17], s[14:15]
	s_cbranch_execz .LBB110_45
; %bb.36:
	v_lshl_add_u32 v10, s2, 6, v8
	v_lshl_add_u64 v[12:13], v[10:11], 2, s[34:35]
	v_or_b32_e32 v3, 2.0, v24
	global_store_dword v[12:13], v3, off sc1
	s_mov_b64 s[18:19], 0
	s_brev_b32 s24, -4
	s_mov_b32 s25, s2
	v_mov_b32_e32 v3, 0
                                        ; implicit-def: $sgpr14_sgpr15
	s_branch .LBB110_39
.LBB110_37:                             ;   in Loop: Header=BB110_39 Depth=1
	s_or_b64 exec, exec, s[22:23]
.LBB110_38:                             ;   in Loop: Header=BB110_39 Depth=1
	s_or_b64 exec, exec, s[20:21]
	v_and_b32_e32 v7, 0x3fffffff, v5
	v_add_u32_e32 v3, v7, v3
	v_cmp_gt_i32_e64 s[14:15], -2.0, v5
	s_and_b64 s[20:21], exec, s[14:15]
	s_or_b64 s[18:19], s[20:21], s[18:19]
	s_andn2_b64 exec, exec, s[18:19]
	s_cbranch_execz .LBB110_44
.LBB110_39:                             ; =>This Loop Header: Depth=1
                                        ;     Child Loop BB110_42 Depth 2
	s_or_b64 s[14:15], s[14:15], exec
	s_cmp_eq_u32 s25, 0
	s_cbranch_scc1 .LBB110_43
; %bb.40:                               ;   in Loop: Header=BB110_39 Depth=1
	s_add_i32 s25, s25, -1
	v_lshl_or_b32 v10, s25, 6, v8
	v_lshl_add_u64 v[14:15], v[10:11], 2, s[34:35]
	global_load_dword v5, v[14:15], off sc1
	s_waitcnt vmcnt(0)
	v_cmp_gt_u32_e64 s[14:15], 2.0, v5
	s_and_saveexec_b64 s[20:21], s[14:15]
	s_cbranch_execz .LBB110_38
; %bb.41:                               ;   in Loop: Header=BB110_39 Depth=1
	s_mov_b64 s[22:23], 0
.LBB110_42:                             ;   Parent Loop BB110_39 Depth=1
                                        ; =>  This Inner Loop Header: Depth=2
	global_load_dword v5, v[14:15], off sc1
	s_waitcnt vmcnt(0)
	v_cmp_lt_u32_e64 s[14:15], s24, v5
	s_or_b64 s[22:23], s[14:15], s[22:23]
	s_andn2_b64 exec, exec, s[22:23]
	s_cbranch_execnz .LBB110_42
	s_branch .LBB110_37
.LBB110_43:                             ;   in Loop: Header=BB110_39 Depth=1
                                        ; implicit-def: $sgpr25
	s_and_b64 s[20:21], exec, s[14:15]
	s_or_b64 s[18:19], s[20:21], s[18:19]
	s_andn2_b64 exec, exec, s[18:19]
	s_cbranch_execnz .LBB110_39
.LBB110_44:
	s_or_b64 exec, exec, s[18:19]
	v_add_u32_e32 v5, v3, v24
	v_or_b32_e32 v5, 0x80000000, v5
	global_store_dword v[12:13], v5, off sc1
	global_load_dwordx2 v[10:11], v2, s[28:29]
	v_sub_co_u32_e64 v12, s[14:15], v3, v22
	s_nop 1
	v_subb_co_u32_e64 v13, s[14:15], 0, v23, s[14:15]
	s_waitcnt vmcnt(0)
	v_lshl_add_u64 v[10:11], v[12:13], 0, v[10:11]
	ds_write_b64 v2, v[10:11]
.LBB110_45:
	s_or_b64 exec, exec, s[16:17]
	v_cmp_gt_u32_e64 s[14:15], s49, v8
	s_waitcnt lgkmcnt(0)
	s_barrier
	s_and_saveexec_b64 s[16:17], s[14:15]
	s_cbranch_execz .LBB110_47
; %bb.46:
	ds_read_b64 v[10:11], v2 offset:512
	s_waitcnt lgkmcnt(0)
	v_lshrrev_b64 v[12:13], s44, v[10:11]
	v_and_b32_e32 v3, s33, v12
	v_lshlrev_b32_e32 v3, 3, v3
	ds_read_b64 v[12:13], v3
	v_mov_b32_e32 v3, 0
	v_xor_b32_e32 v11, 0x7fffffff, v11
	v_not_b32_e32 v10, v10
	s_waitcnt lgkmcnt(0)
	v_lshl_add_u64 v[12:13], v[12:13], 3, s[38:39]
	v_lshl_add_u64 v[12:13], v[12:13], 0, v[2:3]
	global_store_dwordx2 v[12:13], v[10:11], off
.LBB110_47:
	s_or_b64 exec, exec, s[16:17]
	v_or_b32_e32 v3, 0x400, v8
	v_cmp_gt_u32_e64 s[16:17], s49, v3
	v_lshlrev_b32_e32 v10, 3, v3
	s_and_saveexec_b64 s[18:19], s[16:17]
	s_cbranch_execz .LBB110_49
; %bb.48:
	ds_read_b64 v[12:13], v2 offset:8704
	v_mov_b32_e32 v11, 0
	s_waitcnt lgkmcnt(0)
	v_lshrrev_b64 v[14:15], s44, v[12:13]
	v_and_b32_e32 v3, s33, v14
	v_lshlrev_b32_e32 v3, 3, v3
	ds_read_b64 v[14:15], v3
	v_xor_b32_e32 v13, 0x7fffffff, v13
	v_not_b32_e32 v12, v12
	s_waitcnt lgkmcnt(0)
	v_lshl_add_u64 v[14:15], v[14:15], 3, s[38:39]
	v_lshl_add_u64 v[14:15], v[14:15], 0, v[10:11]
	global_store_dwordx2 v[14:15], v[12:13], off
.LBB110_49:
	s_or_b64 exec, exec, s[18:19]
	v_or_b32_e32 v3, 0x800, v8
	v_cmp_gt_u32_e64 s[18:19], s49, v3
	v_lshlrev_b32_e32 v12, 3, v3
	s_and_saveexec_b64 s[20:21], s[18:19]
	s_cbranch_execz .LBB110_51
; %bb.50:
	ds_read_b64 v[14:15], v2 offset:16896
	v_mov_b32_e32 v13, 0
	s_waitcnt lgkmcnt(0)
	v_lshrrev_b64 v[16:17], s44, v[14:15]
	v_and_b32_e32 v3, s33, v16
	v_lshlrev_b32_e32 v3, 3, v3
	ds_read_b64 v[16:17], v3
	v_xor_b32_e32 v15, 0x7fffffff, v15
	v_not_b32_e32 v14, v14
	s_waitcnt lgkmcnt(0)
	v_lshl_add_u64 v[16:17], v[16:17], 3, s[38:39]
	v_lshl_add_u64 v[16:17], v[16:17], 0, v[12:13]
	global_store_dwordx2 v[16:17], v[14:15], off
.LBB110_51:
	s_or_b64 exec, exec, s[20:21]
	v_or_b32_e32 v3, 0xc00, v8
	v_cmp_gt_u32_e64 s[20:21], s49, v3
	v_lshlrev_b32_e32 v14, 3, v3
	s_and_saveexec_b64 s[22:23], s[20:21]
	s_cbranch_execz .LBB110_53
; %bb.52:
	ds_read_b64 v[16:17], v2 offset:25088
	v_mov_b32_e32 v15, 0
	s_waitcnt lgkmcnt(0)
	v_lshrrev_b64 v[18:19], s44, v[16:17]
	v_and_b32_e32 v3, s33, v18
	v_lshlrev_b32_e32 v3, 3, v3
	ds_read_b64 v[18:19], v3
	v_xor_b32_e32 v17, 0x7fffffff, v17
	v_not_b32_e32 v16, v16
	s_waitcnt lgkmcnt(0)
	v_lshl_add_u64 v[18:19], v[18:19], 3, s[38:39]
	v_lshl_add_u64 v[18:19], v[18:19], 0, v[14:15]
	global_store_dwordx2 v[18:19], v[16:17], off
.LBB110_53:
	s_or_b64 exec, exec, s[22:23]
	v_or_b32_e32 v3, 0x1000, v8
	v_cmp_gt_u32_e64 s[22:23], s49, v3
	v_lshlrev_b32_e32 v16, 3, v3
	s_and_saveexec_b64 s[24:25], s[22:23]
	s_cbranch_execz .LBB110_55
; %bb.54:
	ds_read_b64 v[18:19], v2 offset:33280
	v_mov_b32_e32 v17, 0
	s_waitcnt lgkmcnt(0)
	v_lshrrev_b64 v[20:21], s44, v[18:19]
	v_and_b32_e32 v3, s33, v20
	v_lshlrev_b32_e32 v3, 3, v3
	ds_read_b64 v[20:21], v3
	v_xor_b32_e32 v19, 0x7fffffff, v19
	v_not_b32_e32 v18, v18
	s_waitcnt lgkmcnt(0)
	v_lshl_add_u64 v[20:21], v[20:21], 3, s[38:39]
	v_lshl_add_u64 v[20:21], v[20:21], 0, v[16:17]
	global_store_dwordx2 v[20:21], v[18:19], off
.LBB110_55:
	s_or_b64 exec, exec, s[24:25]
	v_or_b32_e32 v3, 0x1400, v8
	v_cmp_gt_u32_e64 s[24:25], s49, v3
	v_lshlrev_b32_e32 v8, 3, v3
	s_and_saveexec_b64 s[50:51], s[24:25]
	s_cbranch_execz .LBB110_57
; %bb.56:
	ds_read_b64 v[18:19], v2 offset:41472
	v_mov_b32_e32 v9, 0
	s_waitcnt lgkmcnt(0)
	v_lshrrev_b64 v[20:21], s44, v[18:19]
	v_and_b32_e32 v3, s33, v20
	v_lshlrev_b32_e32 v3, 3, v3
	ds_read_b64 v[20:21], v3
	v_xor_b32_e32 v19, 0x7fffffff, v19
	v_not_b32_e32 v18, v18
	s_waitcnt lgkmcnt(0)
	v_lshl_add_u64 v[20:21], v[20:21], 3, s[38:39]
	v_lshl_add_u64 v[20:21], v[20:21], 0, v[8:9]
	global_store_dwordx2 v[20:21], v[18:19], off
.LBB110_57:
	s_or_b64 exec, exec, s[50:51]
	s_add_u32 s46, s40, s46
	s_addc_u32 s47, s41, s47
	v_mov_b32_e32 v5, 0
	v_lshl_add_u64 v[18:19], s[46:47], 0, v[4:5]
	v_mov_b32_e32 v7, v5
	v_lshl_add_u64 v[30:31], v[18:19], 0, v[6:7]
                                        ; implicit-def: $vgpr4_vgpr5
	s_and_saveexec_b64 s[46:47], vcc
	s_xor_b64 s[46:47], exec, s[46:47]
	s_cbranch_execz .LBB110_63
; %bb.58:
	global_load_dwordx2 v[4:5], v[30:31], off
	s_or_b64 exec, exec, s[46:47]
                                        ; implicit-def: $vgpr6_vgpr7
	s_and_saveexec_b64 s[46:47], s[26:27]
	s_cbranch_execnz .LBB110_64
.LBB110_59:
	s_or_b64 exec, exec, s[46:47]
                                        ; implicit-def: $vgpr18_vgpr19
	s_and_saveexec_b64 s[26:27], s[4:5]
	s_cbranch_execz .LBB110_65
.LBB110_60:
	global_load_dwordx2 v[18:19], v[30:31], off offset:1024
	s_or_b64 exec, exec, s[26:27]
                                        ; implicit-def: $vgpr20_vgpr21
	s_and_saveexec_b64 s[4:5], s[6:7]
	s_cbranch_execnz .LBB110_66
.LBB110_61:
	s_or_b64 exec, exec, s[4:5]
                                        ; implicit-def: $vgpr26_vgpr27
	s_and_saveexec_b64 s[4:5], s[8:9]
	s_cbranch_execz .LBB110_67
.LBB110_62:
	global_load_dwordx2 v[26:27], v[30:31], off offset:2048
	s_or_b64 exec, exec, s[4:5]
                                        ; implicit-def: $vgpr28_vgpr29
	s_and_saveexec_b64 s[4:5], s[10:11]
	s_cbranch_execnz .LBB110_68
	s_branch .LBB110_69
.LBB110_63:
	s_or_b64 exec, exec, s[46:47]
                                        ; implicit-def: $vgpr6_vgpr7
	s_and_saveexec_b64 s[46:47], s[26:27]
	s_cbranch_execz .LBB110_59
.LBB110_64:
	global_load_dwordx2 v[6:7], v[30:31], off offset:512
	s_or_b64 exec, exec, s[46:47]
                                        ; implicit-def: $vgpr18_vgpr19
	s_and_saveexec_b64 s[26:27], s[4:5]
	s_cbranch_execnz .LBB110_60
.LBB110_65:
	s_or_b64 exec, exec, s[26:27]
                                        ; implicit-def: $vgpr20_vgpr21
	s_and_saveexec_b64 s[4:5], s[6:7]
	s_cbranch_execz .LBB110_61
.LBB110_66:
	global_load_dwordx2 v[20:21], v[30:31], off offset:1536
	s_or_b64 exec, exec, s[4:5]
                                        ; implicit-def: $vgpr26_vgpr27
	s_and_saveexec_b64 s[4:5], s[8:9]
	s_cbranch_execnz .LBB110_62
.LBB110_67:
	s_or_b64 exec, exec, s[4:5]
                                        ; implicit-def: $vgpr28_vgpr29
	s_and_saveexec_b64 s[4:5], s[10:11]
	s_cbranch_execz .LBB110_69
.LBB110_68:
	global_load_dwordx2 v[28:29], v[30:31], off offset:2560
.LBB110_69:
	s_or_b64 exec, exec, s[4:5]
	v_mov_b32_e32 v11, 0
	v_mov_b32_e32 v3, 0
	s_and_saveexec_b64 s[4:5], s[14:15]
	s_cbranch_execz .LBB110_71
; %bb.70:
	ds_read_b64 v[30:31], v2 offset:512
	s_waitcnt lgkmcnt(0)
	v_lshrrev_b64 v[30:31], s44, v[30:31]
	v_and_b32_e32 v3, s33, v30
.LBB110_71:
	s_or_b64 exec, exec, s[4:5]
	s_and_saveexec_b64 s[4:5], s[16:17]
	s_cbranch_execz .LBB110_73
; %bb.72:
	ds_read_b64 v[30:31], v2 offset:8704
	s_waitcnt lgkmcnt(0)
	v_lshrrev_b64 v[30:31], s44, v[30:31]
	v_and_b32_e32 v11, s33, v30
.LBB110_73:
	s_or_b64 exec, exec, s[4:5]
	v_mov_b32_e32 v15, 0
	v_mov_b32_e32 v13, 0
	s_and_saveexec_b64 s[4:5], s[18:19]
	s_cbranch_execz .LBB110_75
; %bb.74:
	ds_read_b64 v[30:31], v2 offset:16896
	s_waitcnt lgkmcnt(0)
	v_lshrrev_b64 v[30:31], s44, v[30:31]
	v_and_b32_e32 v13, s33, v30
.LBB110_75:
	s_or_b64 exec, exec, s[4:5]
	s_and_saveexec_b64 s[4:5], s[20:21]
	s_cbranch_execz .LBB110_77
; %bb.76:
	ds_read_b64 v[30:31], v2 offset:25088
	s_waitcnt lgkmcnt(0)
	v_lshrrev_b64 v[30:31], s44, v[30:31]
	v_and_b32_e32 v15, s33, v30
.LBB110_77:
	;; [unrolled: 20-line block ×3, first 2 shown]
	s_or_b64 exec, exec, s[4:5]
	s_barrier
	s_waitcnt vmcnt(0)
	ds_write_b64 v25, v[4:5] offset:512
	ds_write_b64 v32, v[6:7] offset:512
	;; [unrolled: 1-line block ×6, first 2 shown]
	s_waitcnt lgkmcnt(0)
	s_barrier
	s_and_saveexec_b64 s[4:5], s[14:15]
	s_cbranch_execz .LBB110_87
; %bb.82:
	v_lshlrev_b32_e32 v3, 3, v3
	ds_read_b64 v[4:5], v3
	ds_read_b64 v[6:7], v2 offset:512
	v_mov_b32_e32 v3, 0
	s_waitcnt lgkmcnt(1)
	v_lshl_add_u64 v[4:5], v[4:5], 3, s[42:43]
	v_lshl_add_u64 v[4:5], v[4:5], 0, v[2:3]
	s_waitcnt lgkmcnt(0)
	global_store_dwordx2 v[4:5], v[6:7], off
	s_or_b64 exec, exec, s[4:5]
	s_and_saveexec_b64 s[4:5], s[16:17]
	s_cbranch_execnz .LBB110_88
.LBB110_83:
	s_or_b64 exec, exec, s[4:5]
	s_and_saveexec_b64 s[4:5], s[18:19]
	s_cbranch_execz .LBB110_89
.LBB110_84:
	v_lshlrev_b32_e32 v3, 3, v13
	ds_read_b64 v[4:5], v3
	ds_read_b64 v[6:7], v2 offset:16896
	v_mov_b32_e32 v13, 0
	s_waitcnt lgkmcnt(1)
	v_lshl_add_u64 v[4:5], v[4:5], 3, s[42:43]
	v_lshl_add_u64 v[4:5], v[4:5], 0, v[12:13]
	s_waitcnt lgkmcnt(0)
	global_store_dwordx2 v[4:5], v[6:7], off
	s_or_b64 exec, exec, s[4:5]
	s_and_saveexec_b64 s[4:5], s[20:21]
	s_cbranch_execnz .LBB110_90
.LBB110_85:
	s_or_b64 exec, exec, s[4:5]
	s_and_saveexec_b64 s[4:5], s[22:23]
	s_cbranch_execz .LBB110_91
.LBB110_86:
	v_lshlrev_b32_e32 v3, 3, v17
	ds_read_b64 v[4:5], v3
	ds_read_b64 v[6:7], v2 offset:33280
	v_mov_b32_e32 v17, 0
	s_waitcnt lgkmcnt(1)
	v_lshl_add_u64 v[4:5], v[4:5], 3, s[42:43]
	v_lshl_add_u64 v[4:5], v[4:5], 0, v[16:17]
	s_waitcnt lgkmcnt(0)
	global_store_dwordx2 v[4:5], v[6:7], off
	s_or_b64 exec, exec, s[4:5]
	s_and_saveexec_b64 s[4:5], s[24:25]
	s_cbranch_execnz .LBB110_92
	s_branch .LBB110_93
.LBB110_87:
	s_or_b64 exec, exec, s[4:5]
	s_and_saveexec_b64 s[4:5], s[16:17]
	s_cbranch_execz .LBB110_83
.LBB110_88:
	v_lshlrev_b32_e32 v3, 3, v11
	ds_read_b64 v[4:5], v3
	ds_read_b64 v[6:7], v2 offset:8704
	v_mov_b32_e32 v11, 0
	s_waitcnt lgkmcnt(1)
	v_lshl_add_u64 v[4:5], v[4:5], 3, s[42:43]
	v_lshl_add_u64 v[4:5], v[4:5], 0, v[10:11]
	s_waitcnt lgkmcnt(0)
	global_store_dwordx2 v[4:5], v[6:7], off
	s_or_b64 exec, exec, s[4:5]
	s_and_saveexec_b64 s[4:5], s[18:19]
	s_cbranch_execnz .LBB110_84
.LBB110_89:
	s_or_b64 exec, exec, s[4:5]
	s_and_saveexec_b64 s[4:5], s[20:21]
	s_cbranch_execz .LBB110_85
.LBB110_90:
	v_lshlrev_b32_e32 v3, 3, v15
	ds_read_b64 v[4:5], v3
	ds_read_b64 v[6:7], v2 offset:25088
	v_mov_b32_e32 v15, 0
	s_waitcnt lgkmcnt(1)
	v_lshl_add_u64 v[4:5], v[4:5], 3, s[42:43]
	v_lshl_add_u64 v[4:5], v[4:5], 0, v[14:15]
	s_waitcnt lgkmcnt(0)
	global_store_dwordx2 v[4:5], v[6:7], off
	s_or_b64 exec, exec, s[4:5]
	s_and_saveexec_b64 s[4:5], s[22:23]
	s_cbranch_execnz .LBB110_86
.LBB110_91:
	s_or_b64 exec, exec, s[4:5]
	s_and_saveexec_b64 s[4:5], s[24:25]
	s_cbranch_execz .LBB110_93
.LBB110_92:
	v_lshlrev_b32_e32 v3, 3, v9
	ds_read_b64 v[4:5], v3
	ds_read_b64 v[6:7], v2 offset:41472
	v_mov_b32_e32 v9, 0
	s_waitcnt lgkmcnt(1)
	v_lshl_add_u64 v[4:5], v[4:5], 3, s[42:43]
	v_lshl_add_u64 v[4:5], v[4:5], 0, v[8:9]
	s_waitcnt lgkmcnt(0)
	global_store_dwordx2 v[4:5], v[6:7], off
.LBB110_93:
	s_or_b64 exec, exec, s[4:5]
	s_add_i32 s3, s3, -1
	s_cmp_eq_u32 s2, s3
	s_cselect_b64 s[4:5], -1, 0
	s_xor_b64 s[6:7], s[12:13], -1
	s_and_b64 s[6:7], s[6:7], s[4:5]
	s_and_saveexec_b64 s[4:5], s[6:7]
	s_cbranch_execz .LBB110_95
; %bb.94:
	ds_read_b64 v[4:5], v2
	v_mov_b32_e32 v25, 0
	v_lshl_add_u64 v[6:7], v[22:23], 0, v[24:25]
	s_waitcnt lgkmcnt(0)
	v_lshl_add_u64 v[4:5], v[6:7], 0, v[4:5]
	global_store_dwordx2 v2, v[4:5], s[30:31]
.LBB110_95:
	s_or_b64 exec, exec, s[4:5]
	s_mov_b64 s[4:5], 0
.LBB110_96:
	s_and_b64 vcc, exec, s[4:5]
	s_cbranch_vccz .LBB110_131
; %bb.97:
	s_mov_b32 s49, 0
	s_lshl_b64 s[10:11], s[48:49], 3
	s_add_u32 s4, s36, s10
	v_mbcnt_hi_u32_b32 v1, -1, v1
	v_and_b32_e32 v2, 0x3c0, v0
	v_mov_b32_e32 v13, 0
	s_addc_u32 s5, s37, s11
	v_mul_u32_u24_e32 v4, 6, v2
	v_lshlrev_b32_e32 v2, 3, v1
	v_mov_b32_e32 v3, v13
	v_lshl_add_u64 v[6:7], s[4:5], 0, v[2:3]
	v_lshlrev_b32_e32 v4, 3, v4
	v_mov_b32_e32 v5, v13
	v_lshl_add_u64 v[8:9], v[6:7], 0, v[4:5]
	global_load_dwordx2 v[22:23], v[8:9], off
	s_load_dword s4, s[0:1], 0x5c
	s_load_dword s3, s[0:1], 0x50
	s_add_u32 s0, s0, 0x50
	s_addc_u32 s1, s1, 0
	v_and_b32_e32 v6, 0x3ff, v0
	s_waitcnt lgkmcnt(0)
	s_lshr_b32 s4, s4, 16
	s_cmp_lt_u32 s2, s3
	s_cselect_b32 s5, 12, 18
	s_add_u32 s0, s0, s5
	s_addc_u32 s1, s1, 0
	global_load_ushort v3, v13, s[0:1]
	global_load_dwordx2 v[10:11], v[8:9], off offset:512
	global_load_dwordx2 v[20:21], v[8:9], off offset:1024
	;; [unrolled: 1-line block ×5, first 2 shown]
	v_bfe_u32 v5, v0, 10, 10
	v_bfe_u32 v7, v0, 20, 10
	s_lshl_b32 s0, -1, s45
	v_lshlrev_b32_e32 v0, 3, v6
	v_mov_b32_e32 v12, v13
	v_mad_u32_u24 v5, v7, s4, v5
	ds_write_b64 v0, v[12:13] offset:64
	v_mov_b32_e32 v24, v13
	s_not_b32 s14, s0
	s_movk_i32 s12, 0x44
	v_mov_b32_e32 v26, v13
	v_mov_b32_e32 v28, v13
	;; [unrolled: 1-line block ×4, first 2 shown]
	s_waitcnt lgkmcnt(0)
	s_barrier
	s_waitcnt vmcnt(6)
	; wave barrier
	v_xor_b32_e32 v9, 0x7fffffff, v23
	v_not_b32_e32 v8, v22
	v_lshrrev_b64 v[22:23], s44, v[8:9]
	v_bitop3_b32 v7, v22, s0, v22 bitop3:0x30
	v_and_b32_e32 v12, 1, v7
	v_lshlrev_b32_e32 v25, 30, v7
	v_lshlrev_b32_e32 v27, 29, v7
	v_lshl_add_u64 v[34:35], v[12:13], 0, -1
	v_cmp_ne_u32_e32 vcc, 0, v12
	v_lshlrev_b32_e32 v29, 28, v7
	s_waitcnt vmcnt(5)
	v_mad_u64_u32 v[22:23], s[0:1], v5, v3, v[6:7]
	v_not_b32_e32 v3, v25
	v_cmp_gt_i64_e64 s[0:1], 0, v[24:25]
	v_not_b32_e32 v5, v27
	v_xor_b32_e32 v23, vcc_lo, v34
	v_ashrrev_i32_e32 v3, 31, v3
	v_mul_lo_u32 v36, v7, s12
	v_lshlrev_b32_e32 v31, 27, v7
	v_lshlrev_b32_e32 v33, 26, v7
	v_cmp_gt_i64_e64 s[4:5], 0, v[26:27]
	v_not_b32_e32 v7, v29
	v_ashrrev_i32_e32 v24, 31, v5
	v_and_b32_e32 v23, exec_lo, v23
	v_xor_b32_e32 v25, s1, v3
	v_xor_b32_e32 v3, s0, v3
	v_cmp_gt_i64_e64 s[6:7], 0, v[28:29]
	v_cmp_gt_i64_e64 s[8:9], 0, v[30:31]
	v_not_b32_e32 v12, v31
	v_lshrrev_b32_e32 v30, 6, v22
	v_xor_b32_e32 v22, vcc_hi, v35
	v_ashrrev_i32_e32 v7, 31, v7
	v_xor_b32_e32 v26, s5, v24
	v_xor_b32_e32 v24, s4, v24
	v_and_b32_e32 v3, v23, v3
	v_ashrrev_i32_e32 v12, 31, v12
	v_and_b32_e32 v22, exec_hi, v22
	v_xor_b32_e32 v27, s7, v7
	v_xor_b32_e32 v7, s6, v7
	v_and_b32_e32 v3, v3, v24
	v_xor_b32_e32 v28, s9, v12
	v_xor_b32_e32 v12, s8, v12
	v_and_b32_e32 v22, v22, v25
	v_and_b32_e32 v3, v3, v7
	;; [unrolled: 1-line block ×4, first 2 shown]
	v_not_b32_e32 v12, v33
	v_and_b32_e32 v22, v22, v27
	v_cmp_gt_i64_e32 vcc, 0, v[32:33]
	v_ashrrev_i32_e32 v12, 31, v12
	v_and_b32_e32 v7, v22, v28
	v_xor_b32_e32 v22, vcc_hi, v12
	v_xor_b32_e32 v12, vcc_lo, v12
	v_and_b32_e32 v23, v7, v22
	v_and_b32_e32 v22, v3, v12
	v_mbcnt_lo_u32_b32 v3, v22, 0
	v_mbcnt_hi_u32_b32 v3, v23, v3
	v_cmp_eq_u32_e32 vcc, 0, v3
	v_cmp_ne_u64_e64 s[0:1], 0, v[22:23]
	v_lshl_add_u32 v5, v30, 2, v36
	s_and_b64 s[4:5], s[0:1], vcc
	s_and_saveexec_b64 s[0:1], s[4:5]
; %bb.98:
	v_bcnt_u32_b32 v7, v22, 0
	v_bcnt_u32_b32 v7, v23, v7
	ds_write_b32 v5, v7 offset:64
; %bb.99:
	s_or_b64 exec, exec, s[0:1]
	s_waitcnt vmcnt(4)
	v_xor_b32_e32 v11, 0x7fffffff, v11
	v_not_b32_e32 v10, v10
	v_lshrrev_b64 v[22:23], s44, v[10:11]
	v_and_b32_e32 v25, s14, v22
	v_and_b32_e32 v12, 1, v25
	v_lshl_add_u64 v[22:23], v[12:13], 0, -1
	v_cmp_ne_u32_e32 vcc, 0, v12
	v_mul_lo_u32 v7, v25, s12
	v_lshl_add_u32 v24, v30, 2, v7
	v_xor_b32_e32 v22, vcc_lo, v22
	v_xor_b32_e32 v12, vcc_hi, v23
	v_and_b32_e32 v26, exec_lo, v22
	v_lshlrev_b32_e32 v23, 30, v25
	v_mov_b32_e32 v22, v13
	v_cmp_gt_i64_e32 vcc, 0, v[22:23]
	v_not_b32_e32 v22, v23
	v_ashrrev_i32_e32 v22, 31, v22
	v_and_b32_e32 v12, exec_hi, v12
	v_xor_b32_e32 v23, vcc_hi, v22
	v_xor_b32_e32 v22, vcc_lo, v22
	v_and_b32_e32 v12, v12, v23
	v_and_b32_e32 v26, v26, v22
	v_lshlrev_b32_e32 v23, 29, v25
	v_mov_b32_e32 v22, v13
	v_cmp_gt_i64_e32 vcc, 0, v[22:23]
	v_not_b32_e32 v22, v23
	v_ashrrev_i32_e32 v22, 31, v22
	v_xor_b32_e32 v23, vcc_hi, v22
	v_xor_b32_e32 v22, vcc_lo, v22
	v_and_b32_e32 v12, v12, v23
	v_and_b32_e32 v26, v26, v22
	v_lshlrev_b32_e32 v23, 28, v25
	v_mov_b32_e32 v22, v13
	v_cmp_gt_i64_e32 vcc, 0, v[22:23]
	v_not_b32_e32 v22, v23
	v_ashrrev_i32_e32 v22, 31, v22
	;; [unrolled: 9-line block ×3, first 2 shown]
	v_xor_b32_e32 v23, vcc_hi, v22
	v_xor_b32_e32 v22, vcc_lo, v22
	v_and_b32_e32 v12, v12, v23
	v_lshlrev_b32_e32 v23, 26, v25
	v_and_b32_e32 v26, v26, v22
	v_mov_b32_e32 v22, v13
	v_not_b32_e32 v13, v23
	v_cmp_gt_i64_e32 vcc, 0, v[22:23]
	v_ashrrev_i32_e32 v13, 31, v13
	s_nop 0
	v_xor_b32_e32 v22, vcc_hi, v13
	v_xor_b32_e32 v23, vcc_lo, v13
	; wave barrier
	ds_read_b32 v7, v24 offset:64
	v_and_b32_e32 v13, v12, v22
	v_and_b32_e32 v12, v26, v23
	v_mbcnt_lo_u32_b32 v22, v12, 0
	v_mbcnt_hi_u32_b32 v25, v13, v22
	v_cmp_eq_u32_e32 vcc, 0, v25
	v_cmp_ne_u64_e64 s[0:1], 0, v[12:13]
	s_and_b64 s[4:5], s[0:1], vcc
	; wave barrier
	s_and_saveexec_b64 s[0:1], s[4:5]
	s_cbranch_execz .LBB110_101
; %bb.100:
	v_bcnt_u32_b32 v12, v12, 0
	v_bcnt_u32_b32 v12, v13, v12
	s_waitcnt lgkmcnt(0)
	v_add_u32_e32 v12, v7, v12
	ds_write_b32 v24, v12 offset:64
.LBB110_101:
	s_or_b64 exec, exec, s[0:1]
	s_waitcnt vmcnt(3)
	v_xor_b32_e32 v13, 0x7fffffff, v21
	v_not_b32_e32 v12, v20
	v_lshrrev_b64 v[20:21], s44, v[12:13]
	v_and_b32_e32 v28, s14, v20
	s_movk_i32 s4, 0x44
	v_mul_lo_u32 v20, v28, s4
	v_lshl_add_u32 v27, v30, 2, v20
	v_and_b32_e32 v20, 1, v28
	v_mov_b32_e32 v21, 0
	v_lshl_add_u64 v[22:23], v[20:21], 0, -1
	v_cmp_ne_u32_e32 vcc, 0, v20
	; wave barrier
	s_nop 1
	v_xor_b32_e32 v22, vcc_lo, v22
	v_xor_b32_e32 v20, vcc_hi, v23
	v_and_b32_e32 v29, exec_lo, v22
	v_lshlrev_b32_e32 v23, 30, v28
	v_mov_b32_e32 v22, v21
	v_cmp_gt_i64_e32 vcc, 0, v[22:23]
	v_not_b32_e32 v22, v23
	v_ashrrev_i32_e32 v22, 31, v22
	v_and_b32_e32 v20, exec_hi, v20
	v_xor_b32_e32 v23, vcc_hi, v22
	v_xor_b32_e32 v22, vcc_lo, v22
	v_and_b32_e32 v20, v20, v23
	v_and_b32_e32 v29, v29, v22
	v_lshlrev_b32_e32 v23, 29, v28
	v_mov_b32_e32 v22, v21
	v_cmp_gt_i64_e32 vcc, 0, v[22:23]
	v_not_b32_e32 v22, v23
	v_ashrrev_i32_e32 v22, 31, v22
	v_xor_b32_e32 v23, vcc_hi, v22
	v_xor_b32_e32 v22, vcc_lo, v22
	v_and_b32_e32 v20, v20, v23
	v_and_b32_e32 v29, v29, v22
	v_lshlrev_b32_e32 v23, 28, v28
	v_mov_b32_e32 v22, v21
	v_cmp_gt_i64_e32 vcc, 0, v[22:23]
	v_not_b32_e32 v22, v23
	v_ashrrev_i32_e32 v22, 31, v22
	;; [unrolled: 9-line block ×4, first 2 shown]
	v_xor_b32_e32 v23, vcc_hi, v22
	v_xor_b32_e32 v22, vcc_lo, v22
	ds_read_b32 v26, v27 offset:64
	v_and_b32_e32 v22, v29, v22
	v_and_b32_e32 v23, v20, v23
	v_mbcnt_lo_u32_b32 v20, v22, 0
	v_mbcnt_hi_u32_b32 v28, v23, v20
	v_cmp_eq_u32_e32 vcc, 0, v28
	v_cmp_ne_u64_e64 s[0:1], 0, v[22:23]
	s_and_b64 s[6:7], s[0:1], vcc
	; wave barrier
	s_and_saveexec_b64 s[0:1], s[6:7]
	s_cbranch_execz .LBB110_103
; %bb.102:
	v_bcnt_u32_b32 v20, v22, 0
	v_bcnt_u32_b32 v20, v23, v20
	s_waitcnt lgkmcnt(0)
	v_add_u32_e32 v20, v26, v20
	ds_write_b32 v27, v20 offset:64
.LBB110_103:
	s_or_b64 exec, exec, s[0:1]
	s_waitcnt vmcnt(2)
	v_xor_b32_e32 v17, 0x7fffffff, v17
	v_not_b32_e32 v16, v16
	v_lshrrev_b64 v[22:23], s44, v[16:17]
	v_and_b32_e32 v32, s14, v22
	v_mul_lo_u32 v20, v32, s4
	v_lshl_add_u32 v31, v30, 2, v20
	v_and_b32_e32 v20, 1, v32
	v_lshl_add_u64 v[22:23], v[20:21], 0, -1
	v_cmp_ne_u32_e32 vcc, 0, v20
	; wave barrier
	s_nop 1
	v_xor_b32_e32 v22, vcc_lo, v22
	v_xor_b32_e32 v20, vcc_hi, v23
	v_and_b32_e32 v33, exec_lo, v22
	v_lshlrev_b32_e32 v23, 30, v32
	v_mov_b32_e32 v22, v21
	v_cmp_gt_i64_e32 vcc, 0, v[22:23]
	v_not_b32_e32 v22, v23
	v_ashrrev_i32_e32 v22, 31, v22
	v_and_b32_e32 v20, exec_hi, v20
	v_xor_b32_e32 v23, vcc_hi, v22
	v_xor_b32_e32 v22, vcc_lo, v22
	v_and_b32_e32 v20, v20, v23
	v_and_b32_e32 v33, v33, v22
	v_lshlrev_b32_e32 v23, 29, v32
	v_mov_b32_e32 v22, v21
	v_cmp_gt_i64_e32 vcc, 0, v[22:23]
	v_not_b32_e32 v22, v23
	v_ashrrev_i32_e32 v22, 31, v22
	v_xor_b32_e32 v23, vcc_hi, v22
	v_xor_b32_e32 v22, vcc_lo, v22
	v_and_b32_e32 v20, v20, v23
	v_and_b32_e32 v33, v33, v22
	v_lshlrev_b32_e32 v23, 28, v32
	v_mov_b32_e32 v22, v21
	v_cmp_gt_i64_e32 vcc, 0, v[22:23]
	v_not_b32_e32 v22, v23
	v_ashrrev_i32_e32 v22, 31, v22
	;; [unrolled: 9-line block ×3, first 2 shown]
	v_xor_b32_e32 v23, vcc_hi, v22
	v_xor_b32_e32 v22, vcc_lo, v22
	v_and_b32_e32 v20, v20, v23
	v_lshlrev_b32_e32 v23, 26, v32
	v_and_b32_e32 v33, v33, v22
	v_mov_b32_e32 v22, v21
	v_not_b32_e32 v21, v23
	v_cmp_gt_i64_e32 vcc, 0, v[22:23]
	v_ashrrev_i32_e32 v21, 31, v21
	ds_read_b32 v29, v31 offset:64
	v_xor_b32_e32 v22, vcc_hi, v21
	v_xor_b32_e32 v23, vcc_lo, v21
	v_and_b32_e32 v21, v20, v22
	v_and_b32_e32 v20, v33, v23
	v_mbcnt_lo_u32_b32 v22, v20, 0
	v_mbcnt_hi_u32_b32 v32, v21, v22
	v_cmp_eq_u32_e32 vcc, 0, v32
	v_cmp_ne_u64_e64 s[0:1], 0, v[20:21]
	s_and_b64 s[4:5], s[0:1], vcc
	; wave barrier
	s_and_saveexec_b64 s[0:1], s[4:5]
	s_cbranch_execz .LBB110_105
; %bb.104:
	v_bcnt_u32_b32 v20, v20, 0
	v_bcnt_u32_b32 v20, v21, v20
	s_waitcnt lgkmcnt(0)
	v_add_u32_e32 v20, v29, v20
	ds_write_b32 v31, v20 offset:64
.LBB110_105:
	s_or_b64 exec, exec, s[0:1]
	s_waitcnt vmcnt(1)
	v_xor_b32_e32 v21, 0x7fffffff, v19
	v_not_b32_e32 v20, v18
	v_lshrrev_b64 v[18:19], s44, v[20:21]
	v_and_b32_e32 v35, s14, v18
	s_movk_i32 s4, 0x44
	v_mul_lo_u32 v18, v35, s4
	v_lshl_add_u32 v34, v30, 2, v18
	v_and_b32_e32 v18, 1, v35
	v_mov_b32_e32 v19, 0
	v_lshl_add_u64 v[22:23], v[18:19], 0, -1
	v_cmp_ne_u32_e32 vcc, 0, v18
	; wave barrier
	s_nop 1
	v_xor_b32_e32 v22, vcc_lo, v22
	v_xor_b32_e32 v18, vcc_hi, v23
	v_and_b32_e32 v36, exec_lo, v22
	v_lshlrev_b32_e32 v23, 30, v35
	v_mov_b32_e32 v22, v19
	v_cmp_gt_i64_e32 vcc, 0, v[22:23]
	v_not_b32_e32 v22, v23
	v_ashrrev_i32_e32 v22, 31, v22
	v_and_b32_e32 v18, exec_hi, v18
	v_xor_b32_e32 v23, vcc_hi, v22
	v_xor_b32_e32 v22, vcc_lo, v22
	v_and_b32_e32 v18, v18, v23
	v_and_b32_e32 v36, v36, v22
	v_lshlrev_b32_e32 v23, 29, v35
	v_mov_b32_e32 v22, v19
	v_cmp_gt_i64_e32 vcc, 0, v[22:23]
	v_not_b32_e32 v22, v23
	v_ashrrev_i32_e32 v22, 31, v22
	v_xor_b32_e32 v23, vcc_hi, v22
	v_xor_b32_e32 v22, vcc_lo, v22
	v_and_b32_e32 v18, v18, v23
	v_and_b32_e32 v36, v36, v22
	v_lshlrev_b32_e32 v23, 28, v35
	v_mov_b32_e32 v22, v19
	v_cmp_gt_i64_e32 vcc, 0, v[22:23]
	v_not_b32_e32 v22, v23
	v_ashrrev_i32_e32 v22, 31, v22
	v_xor_b32_e32 v23, vcc_hi, v22
	v_xor_b32_e32 v22, vcc_lo, v22
	v_and_b32_e32 v18, v18, v23
	v_and_b32_e32 v36, v36, v22
	v_lshlrev_b32_e32 v23, 27, v35
	v_mov_b32_e32 v22, v19
	v_cmp_gt_i64_e32 vcc, 0, v[22:23]
	v_not_b32_e32 v22, v23
	v_ashrrev_i32_e32 v22, 31, v22
	v_xor_b32_e32 v23, vcc_hi, v22
	v_xor_b32_e32 v22, vcc_lo, v22
	v_and_b32_e32 v18, v18, v23
	v_and_b32_e32 v36, v36, v22
	v_lshlrev_b32_e32 v23, 26, v35
	v_mov_b32_e32 v22, v19
	v_cmp_gt_i64_e32 vcc, 0, v[22:23]
	v_not_b32_e32 v22, v23
	v_ashrrev_i32_e32 v22, 31, v22
	v_xor_b32_e32 v23, vcc_hi, v22
	v_xor_b32_e32 v22, vcc_lo, v22
	ds_read_b32 v33, v34 offset:64
	v_and_b32_e32 v22, v36, v22
	v_and_b32_e32 v23, v18, v23
	v_mbcnt_lo_u32_b32 v18, v22, 0
	v_mbcnt_hi_u32_b32 v35, v23, v18
	v_cmp_eq_u32_e32 vcc, 0, v35
	v_cmp_ne_u64_e64 s[0:1], 0, v[22:23]
	s_and_b64 s[6:7], s[0:1], vcc
	; wave barrier
	s_and_saveexec_b64 s[0:1], s[6:7]
	s_cbranch_execz .LBB110_107
; %bb.106:
	v_bcnt_u32_b32 v18, v22, 0
	v_bcnt_u32_b32 v18, v23, v18
	s_waitcnt lgkmcnt(0)
	v_add_u32_e32 v18, v33, v18
	ds_write_b32 v34, v18 offset:64
.LBB110_107:
	s_or_b64 exec, exec, s[0:1]
	s_waitcnt vmcnt(0)
	v_xor_b32_e32 v23, 0x7fffffff, v15
	v_not_b32_e32 v22, v14
	v_lshrrev_b64 v[14:15], s44, v[22:23]
	v_and_b32_e32 v36, s14, v14
	v_mul_lo_u32 v14, v36, s4
	v_and_b32_e32 v18, 1, v36
	v_lshl_add_u32 v37, v30, 2, v14
	v_lshl_add_u64 v[14:15], v[18:19], 0, -1
	v_cmp_ne_u32_e32 vcc, 0, v18
	; wave barrier
	s_nop 1
	v_xor_b32_e32 v15, vcc_hi, v15
	v_xor_b32_e32 v14, vcc_lo, v14
	v_and_b32_e32 v18, exec_hi, v15
	v_and_b32_e32 v38, exec_lo, v14
	v_lshlrev_b32_e32 v15, 30, v36
	v_mov_b32_e32 v14, v19
	v_cmp_gt_i64_e32 vcc, 0, v[14:15]
	v_not_b32_e32 v14, v15
	v_ashrrev_i32_e32 v14, 31, v14
	v_xor_b32_e32 v15, vcc_hi, v14
	v_xor_b32_e32 v14, vcc_lo, v14
	v_and_b32_e32 v18, v18, v15
	v_and_b32_e32 v38, v38, v14
	v_lshlrev_b32_e32 v15, 29, v36
	v_mov_b32_e32 v14, v19
	v_cmp_gt_i64_e32 vcc, 0, v[14:15]
	v_not_b32_e32 v14, v15
	v_ashrrev_i32_e32 v14, 31, v14
	v_xor_b32_e32 v15, vcc_hi, v14
	v_xor_b32_e32 v14, vcc_lo, v14
	v_and_b32_e32 v18, v18, v15
	v_and_b32_e32 v38, v38, v14
	;; [unrolled: 9-line block ×4, first 2 shown]
	v_lshlrev_b32_e32 v15, 26, v36
	v_mov_b32_e32 v14, v19
	v_cmp_gt_i64_e32 vcc, 0, v[14:15]
	v_not_b32_e32 v14, v15
	v_ashrrev_i32_e32 v14, 31, v14
	v_xor_b32_e32 v15, vcc_hi, v14
	v_xor_b32_e32 v14, vcc_lo, v14
	ds_read_b32 v30, v37 offset:64
	v_and_b32_e32 v14, v38, v14
	v_and_b32_e32 v15, v18, v15
	v_mbcnt_lo_u32_b32 v18, v14, 0
	v_mbcnt_hi_u32_b32 v36, v15, v18
	v_cmp_eq_u32_e32 vcc, 0, v36
	v_cmp_ne_u64_e64 s[0:1], 0, v[14:15]
	s_and_b64 s[4:5], s[0:1], vcc
	; wave barrier
	s_and_saveexec_b64 s[0:1], s[4:5]
	s_cbranch_execz .LBB110_109
; %bb.108:
	v_bcnt_u32_b32 v14, v14, 0
	v_bcnt_u32_b32 v14, v15, v14
	s_waitcnt lgkmcnt(0)
	v_add_u32_e32 v14, v30, v14
	ds_write_b32 v37, v14 offset:64
.LBB110_109:
	s_or_b64 exec, exec, s[0:1]
	; wave barrier
	s_waitcnt lgkmcnt(0)
	s_barrier
	ds_read_b64 v[14:15], v0 offset:64
	v_and_b32_e32 v18, 15, v1
	v_cmp_eq_u32_e32 vcc, 0, v18
	v_cmp_lt_u32_e64 s[0:1], 1, v18
	v_cmp_lt_u32_e64 s[6:7], 3, v18
	s_waitcnt lgkmcnt(0)
	v_add_u32_e32 v15, v15, v14
	v_cmp_lt_u32_e64 s[4:5], 7, v18
	v_cmp_lt_u32_e64 s[8:9], 31, v1
	v_mov_b32_dpp v19, v15 row_shr:1 row_mask:0xf bank_mask:0xf
	v_cndmask_b32_e64 v19, v19, 0, vcc
	v_add_u32_e32 v15, v19, v15
	s_nop 1
	v_mov_b32_dpp v19, v15 row_shr:2 row_mask:0xf bank_mask:0xf
	v_cndmask_b32_e64 v19, 0, v19, s[0:1]
	v_add_u32_e32 v15, v15, v19
	s_nop 1
	v_mov_b32_dpp v19, v15 row_shr:4 row_mask:0xf bank_mask:0xf
	v_cndmask_b32_e64 v19, 0, v19, s[6:7]
	;; [unrolled: 4-line block ×3, first 2 shown]
	v_add_u32_e32 v15, v15, v18
	v_bfe_i32 v19, v1, 4, 1
	s_nop 0
	v_mov_b32_dpp v18, v15 row_bcast:15 row_mask:0xf bank_mask:0xf
	v_and_b32_e32 v18, v19, v18
	v_add_u32_e32 v15, v15, v18
	v_and_b32_e32 v19, 63, v6
	s_nop 0
	v_mov_b32_dpp v18, v15 row_bcast:31 row_mask:0xf bank_mask:0xf
	v_cndmask_b32_e64 v18, 0, v18, s[8:9]
	v_add_u32_e32 v15, v15, v18
	v_lshrrev_b32_e32 v18, 6, v6
	v_cmp_eq_u32_e64 s[8:9], 63, v19
	s_and_saveexec_b64 s[12:13], s[8:9]
; %bb.110:
	v_lshlrev_b32_e32 v19, 2, v18
	ds_write_b32 v19, v15
; %bb.111:
	s_or_b64 exec, exec, s[12:13]
	v_cmp_gt_u32_e64 s[8:9], 16, v6
	s_waitcnt lgkmcnt(0)
	s_barrier
	s_and_saveexec_b64 s[12:13], s[8:9]
	s_cbranch_execz .LBB110_113
; %bb.112:
	v_lshlrev_b32_e32 v19, 2, v6
	ds_read_b32 v38, v19
	s_waitcnt lgkmcnt(0)
	s_nop 0
	v_mov_b32_dpp v39, v38 row_shr:1 row_mask:0xf bank_mask:0xf
	v_cndmask_b32_e64 v39, v39, 0, vcc
	v_add_u32_e32 v38, v39, v38
	s_nop 1
	v_mov_b32_dpp v39, v38 row_shr:2 row_mask:0xf bank_mask:0xf
	v_cndmask_b32_e64 v39, 0, v39, s[0:1]
	v_add_u32_e32 v38, v38, v39
	s_nop 1
	v_mov_b32_dpp v39, v38 row_shr:4 row_mask:0xf bank_mask:0xf
	v_cndmask_b32_e64 v39, 0, v39, s[6:7]
	;; [unrolled: 4-line block ×3, first 2 shown]
	v_add_u32_e32 v38, v38, v39
	ds_write_b32 v19, v38
.LBB110_113:
	s_or_b64 exec, exec, s[12:13]
	v_cmp_gt_u32_e64 s[0:1], 64, v6
	v_cmp_lt_u32_e32 vcc, 63, v6
	v_mov_b32_e32 v19, 0
	s_waitcnt lgkmcnt(0)
	s_barrier
	s_and_saveexec_b64 s[4:5], vcc
; %bb.114:
	v_lshl_add_u32 v18, v18, 2, -4
	ds_read_b32 v19, v18
; %bb.115:
	s_or_b64 exec, exec, s[4:5]
	v_add_u32_e32 v18, -1, v1
	v_and_b32_e32 v38, 64, v1
	v_cmp_lt_i32_e64 s[4:5], v18, v38
	s_waitcnt lgkmcnt(0)
	v_add_u32_e32 v15, v19, v15
	v_cndmask_b32_e64 v18, v18, v1, s[4:5]
	v_lshlrev_b32_e32 v18, 2, v18
	ds_bpermute_b32 v15, v18, v15
	v_cmp_eq_u32_e64 s[4:5], 0, v1
	s_waitcnt lgkmcnt(0)
	s_nop 0
	v_cndmask_b32_e64 v1, v15, v19, s[4:5]
	v_cmp_ne_u32_e64 s[4:5], 0, v6
	s_nop 1
	v_cndmask_b32_e64 v18, 0, v1, s[4:5]
	v_add_u32_e32 v19, v18, v14
	ds_write_b64 v0, v[18:19] offset:64
	s_waitcnt lgkmcnt(0)
	s_barrier
	ds_read_b32 v19, v5 offset:64
	ds_read_b32 v38, v24 offset:64
	;; [unrolled: 1-line block ×6, first 2 shown]
	v_mov_b64_e32 v[14:15], 0
                                        ; implicit-def: $vgpr18
	s_and_saveexec_b64 s[6:7], s[0:1]
	s_cbranch_execz .LBB110_119
; %bb.116:
	v_mul_u32_u24_e32 v14, 0x44, v6
	ds_read_b32 v14, v14 offset:64
	v_add_u32_e32 v18, 1, v6
	v_cmp_ne_u32_e64 s[4:5], 64, v18
	v_mov_b32_e32 v15, 0x1800
	s_and_saveexec_b64 s[8:9], s[4:5]
; %bb.117:
	v_mul_u32_u24_e32 v15, 0x44, v18
	ds_read_b32 v15, v15 offset:64
; %bb.118:
	s_or_b64 exec, exec, s[8:9]
	s_waitcnt lgkmcnt(0)
	v_sub_u32_e32 v18, v15, v14
	v_mov_b32_e32 v15, 0
.LBB110_119:
	s_or_b64 exec, exec, s[6:7]
	v_lshlrev_b32_e32 v3, 3, v3
	s_waitcnt lgkmcnt(5)
	v_lshl_add_u32 v19, v19, 3, v3
	s_waitcnt lgkmcnt(0)
	s_barrier
	ds_write_b64 v19, v[8:9] offset:512
	v_lshlrev_b32_e32 v3, 3, v25
	v_lshlrev_b32_e32 v7, 3, v7
	v_lshlrev_b32_e32 v8, 3, v38
	v_add3_u32 v7, v3, v7, v8
	v_lshlrev_b32_e32 v3, 3, v28
	v_lshlrev_b32_e32 v8, 3, v26
	v_lshlrev_b32_e32 v9, 3, v24
	v_add3_u32 v24, v3, v8, v9
	;; [unrolled: 4-line block ×3, first 2 shown]
	v_lshlrev_b32_e32 v3, 3, v35
	v_lshlrev_b32_e32 v8, 3, v33
	v_lshlrev_b32_e32 v5, 3, v5
	ds_write_b64 v7, v[10:11] offset:512
	ds_write_b64 v24, v[12:13] offset:512
	;; [unrolled: 1-line block ×3, first 2 shown]
	v_add3_u32 v16, v3, v8, v5
	v_lshlrev_b32_e32 v3, 3, v36
	v_lshlrev_b32_e32 v5, 3, v30
	;; [unrolled: 1-line block ×3, first 2 shown]
	v_add3_u32 v17, v3, v5, v1
	v_mov_b32_e32 v9, 0
	ds_write_b64 v16, v[20:21] offset:512
	ds_write_b64 v17, v[22:23] offset:512
	s_waitcnt lgkmcnt(0)
	s_barrier
	s_and_saveexec_b64 s[4:5], s[0:1]
	s_cbranch_execz .LBB110_129
; %bb.120:
	v_lshl_add_u32 v8, s2, 6, v6
	v_lshl_add_u64 v[10:11], v[8:9], 2, s[34:35]
	v_or_b32_e32 v1, 2.0, v18
	global_store_dword v[10:11], v1, off sc1
	s_mov_b64 s[6:7], 0
	s_brev_b32 s15, -4
	s_mov_b32 s16, s2
	v_mov_b32_e32 v1, 0
                                        ; implicit-def: $sgpr0_sgpr1
	s_branch .LBB110_123
.LBB110_121:                            ;   in Loop: Header=BB110_123 Depth=1
	s_or_b64 exec, exec, s[12:13]
.LBB110_122:                            ;   in Loop: Header=BB110_123 Depth=1
	s_or_b64 exec, exec, s[8:9]
	v_and_b32_e32 v5, 0x3fffffff, v3
	v_add_u32_e32 v1, v5, v1
	v_cmp_gt_i32_e64 s[0:1], -2.0, v3
	s_and_b64 s[8:9], exec, s[0:1]
	s_or_b64 s[6:7], s[8:9], s[6:7]
	s_andn2_b64 exec, exec, s[6:7]
	s_cbranch_execz .LBB110_128
.LBB110_123:                            ; =>This Loop Header: Depth=1
                                        ;     Child Loop BB110_126 Depth 2
	s_or_b64 s[0:1], s[0:1], exec
	s_cmp_eq_u32 s16, 0
	s_cbranch_scc1 .LBB110_127
; %bb.124:                              ;   in Loop: Header=BB110_123 Depth=1
	s_add_i32 s16, s16, -1
	v_lshl_or_b32 v8, s16, 6, v6
	v_lshl_add_u64 v[12:13], v[8:9], 2, s[34:35]
	global_load_dword v3, v[12:13], off sc1
	s_waitcnt vmcnt(0)
	v_cmp_gt_u32_e64 s[0:1], 2.0, v3
	s_and_saveexec_b64 s[8:9], s[0:1]
	s_cbranch_execz .LBB110_122
; %bb.125:                              ;   in Loop: Header=BB110_123 Depth=1
	s_mov_b64 s[12:13], 0
.LBB110_126:                            ;   Parent Loop BB110_123 Depth=1
                                        ; =>  This Inner Loop Header: Depth=2
	global_load_dword v3, v[12:13], off sc1
	s_waitcnt vmcnt(0)
	v_cmp_lt_u32_e64 s[0:1], s15, v3
	s_or_b64 s[12:13], s[0:1], s[12:13]
	s_andn2_b64 exec, exec, s[12:13]
	s_cbranch_execnz .LBB110_126
	s_branch .LBB110_121
.LBB110_127:                            ;   in Loop: Header=BB110_123 Depth=1
                                        ; implicit-def: $sgpr16
	s_and_b64 s[8:9], exec, s[0:1]
	s_or_b64 s[6:7], s[8:9], s[6:7]
	s_andn2_b64 exec, exec, s[6:7]
	s_cbranch_execnz .LBB110_123
.LBB110_128:
	s_or_b64 exec, exec, s[6:7]
	v_add_u32_e32 v3, v1, v18
	v_or_b32_e32 v3, 0x80000000, v3
	global_store_dword v[10:11], v3, off sc1
	global_load_dwordx2 v[8:9], v0, s[28:29]
	v_sub_co_u32_e64 v10, s[0:1], v1, v14
	s_nop 1
	v_subb_co_u32_e64 v11, s[0:1], 0, v15, s[0:1]
	s_waitcnt vmcnt(0)
	v_lshl_add_u64 v[8:9], v[10:11], 0, v[8:9]
	ds_write_b64 v0, v[8:9]
.LBB110_129:
	s_or_b64 exec, exec, s[4:5]
	s_waitcnt lgkmcnt(0)
	s_barrier
	ds_read2st64_b64 v[8:11], v0 offset0:1 offset1:17
	s_add_u32 s0, s40, s10
	s_addc_u32 s1, s41, s11
	s_add_i32 s3, s3, -1
	s_cmp_eq_u32 s2, s3
	s_waitcnt lgkmcnt(0)
	v_lshrrev_b64 v[12:13], s44, v[8:9]
	v_and_b32_e32 v1, s14, v12
	v_lshlrev_b32_e32 v6, 3, v1
	ds_read2st64_b64 v[20:23], v0 offset0:33 offset1:49
	ds_read_b64 v[12:13], v6
	v_lshrrev_b64 v[26:27], s44, v[10:11]
	v_and_b32_e32 v1, s14, v26
	v_lshlrev_b32_e32 v36, 3, v1
	s_waitcnt lgkmcnt(1)
	v_lshrrev_b64 v[26:27], s44, v[20:21]
	v_and_b32_e32 v1, s14, v26
	v_lshrrev_b64 v[26:27], s44, v[22:23]
	v_lshlrev_b32_e32 v37, 3, v1
	v_and_b32_e32 v1, s14, v26
	v_lshlrev_b32_e32 v38, 3, v1
	ds_read_b64 v[26:27], v36
	ds_read_b64 v[28:29], v37
	;; [unrolled: 1-line block ×3, first 2 shown]
	s_waitcnt lgkmcnt(3)
	v_lshl_add_u64 v[12:13], v[12:13], 3, s[38:39]
	v_mov_b32_e32 v1, 0
	v_xor_b32_e32 v9, 0x7fffffff, v9
	v_xor_b32_e32 v8, -1, v8
	v_lshl_add_u64 v[12:13], v[12:13], 0, v[0:1]
	global_store_dwordx2 v[12:13], v[8:9], off
	v_xor_b32_e32 v9, 0x7fffffff, v11
	v_xor_b32_e32 v8, -1, v10
	s_waitcnt lgkmcnt(2)
	v_lshl_add_u64 v[10:11], v[26:27], 3, s[38:39]
	v_or_b32_e32 v12, 0x2000, v0
	v_mov_b32_e32 v13, v1
	v_lshl_add_u64 v[10:11], v[10:11], 0, v[12:13]
	global_store_dwordx2 v[10:11], v[8:9], off
	v_xor_b32_e32 v9, 0x7fffffff, v21
	v_xor_b32_e32 v8, -1, v20
	s_waitcnt lgkmcnt(1)
	v_lshl_add_u64 v[10:11], v[28:29], 3, s[38:39]
	v_or_b32_e32 v20, 0x4000, v0
	v_mov_b32_e32 v21, v1
	v_lshl_add_u64 v[10:11], v[10:11], 0, v[20:21]
	global_store_dwordx2 v[10:11], v[8:9], off
	ds_read2st64_b64 v[8:11], v0 offset0:65 offset1:81
	s_waitcnt lgkmcnt(1)
	v_lshl_add_u64 v[26:27], v[30:31], 3, s[38:39]
	v_or_b32_e32 v28, 0x6000, v0
	v_mov_b32_e32 v29, v1
	v_xor_b32_e32 v23, 0x7fffffff, v23
	v_xor_b32_e32 v22, -1, v22
	v_lshl_add_u64 v[26:27], v[26:27], 0, v[28:29]
	global_store_dwordx2 v[26:27], v[22:23], off
	s_waitcnt lgkmcnt(0)
	v_lshrrev_b64 v[22:23], s44, v[8:9]
	v_and_b32_e32 v3, s14, v22
	v_lshlrev_b32_e32 v39, 3, v3
	v_lshrrev_b64 v[26:27], s44, v[10:11]
	ds_read_b64 v[22:23], v39
	v_and_b32_e32 v3, s14, v26
	v_lshlrev_b32_e32 v40, 3, v3
	ds_read_b64 v[26:27], v40
	v_or_b32_e32 v30, 0x8000, v0
	s_waitcnt lgkmcnt(1)
	v_lshl_add_u64 v[22:23], v[22:23], 3, s[38:39]
	v_mov_b32_e32 v31, v1
	v_xor_b32_e32 v9, 0x7fffffff, v9
	v_xor_b32_e32 v8, -1, v8
	v_lshl_add_u64 v[22:23], v[22:23], 0, v[30:31]
	global_store_dwordx2 v[22:23], v[8:9], off
	v_xor_b32_e32 v9, 0x7fffffff, v11
	v_xor_b32_e32 v8, -1, v10
	s_waitcnt lgkmcnt(0)
	v_lshl_add_u64 v[10:11], v[26:27], 3, s[38:39]
	v_or_b32_e32 v22, 0xa000, v0
	v_mov_b32_e32 v23, v1
	v_mov_b32_e32 v3, v1
	v_lshl_add_u64 v[10:11], v[10:11], 0, v[22:23]
	v_lshl_add_u64 v[2:3], s[0:1], 0, v[2:3]
	v_mov_b32_e32 v5, v1
	global_store_dwordx2 v[10:11], v[8:9], off
	v_lshl_add_u64 v[2:3], v[2:3], 0, v[4:5]
	global_load_dwordx2 v[4:5], v[2:3], off
	global_load_dwordx2 v[8:9], v[2:3], off offset:512
	global_load_dwordx2 v[10:11], v[2:3], off offset:1024
	;; [unrolled: 1-line block ×5, first 2 shown]
	s_barrier
	s_cselect_b64 s[0:1], -1, 0
	s_xor_b64 s[2:3], vcc, -1
	s_and_b64 s[0:1], s[2:3], s[0:1]
	s_waitcnt vmcnt(5)
	ds_write_b64 v19, v[4:5] offset:512
	s_waitcnt vmcnt(4)
	ds_write_b64 v7, v[8:9] offset:512
	;; [unrolled: 2-line block ×6, first 2 shown]
	s_waitcnt lgkmcnt(0)
	s_barrier
	ds_read_b64 v[6:7], v6
	ds_read_b64 v[8:9], v36
	ds_read2st64_b64 v[2:5], v0 offset0:1 offset1:17
	ds_read_b64 v[10:11], v37
	ds_read_b64 v[16:17], v38
	s_waitcnt lgkmcnt(4)
	v_lshl_add_u64 v[6:7], v[6:7], 3, s[42:43]
	v_lshl_add_u64 v[6:7], v[6:7], 0, v[0:1]
	s_waitcnt lgkmcnt(3)
	v_lshl_add_u64 v[24:25], v[8:9], 3, s[42:43]
	s_waitcnt lgkmcnt(2)
	global_store_dwordx2 v[6:7], v[2:3], off
	ds_read2st64_b64 v[6:9], v0 offset0:33 offset1:49
	v_lshl_add_u64 v[2:3], v[24:25], 0, v[12:13]
	global_store_dwordx2 v[2:3], v[4:5], off
	s_waitcnt lgkmcnt(2)
	v_lshl_add_u64 v[2:3], v[10:11], 3, s[42:43]
	v_lshl_add_u64 v[2:3], v[2:3], 0, v[20:21]
	s_waitcnt lgkmcnt(0)
	global_store_dwordx2 v[2:3], v[6:7], off
	ds_read_b64 v[6:7], v39
	v_lshl_add_u64 v[2:3], v[16:17], 3, s[42:43]
	v_lshl_add_u64 v[10:11], v[2:3], 0, v[28:29]
	ds_read2st64_b64 v[2:5], v0 offset0:65 offset1:81
	ds_read_b64 v[12:13], v40
	global_store_dwordx2 v[10:11], v[8:9], off
	s_waitcnt lgkmcnt(2)
	v_lshl_add_u64 v[6:7], v[6:7], 3, s[42:43]
	v_lshl_add_u64 v[6:7], v[6:7], 0, v[30:31]
	s_waitcnt lgkmcnt(1)
	global_store_dwordx2 v[6:7], v[2:3], off
	s_waitcnt lgkmcnt(0)
	v_lshl_add_u64 v[2:3], v[12:13], 3, s[42:43]
	v_lshl_add_u64 v[2:3], v[2:3], 0, v[22:23]
	global_store_dwordx2 v[2:3], v[4:5], off
	s_and_saveexec_b64 s[2:3], s[0:1]
	s_cbranch_execz .LBB110_131
; %bb.130:
	ds_read_b64 v[2:3], v0
	v_mov_b32_e32 v19, v1
	v_lshl_add_u64 v[4:5], v[14:15], 0, v[18:19]
	s_waitcnt lgkmcnt(0)
	v_lshl_add_u64 v[2:3], v[4:5], 0, v[2:3]
	global_store_dwordx2 v0, v[2:3], s[30:31]
.LBB110_131:
	s_endpgm
	.section	.rodata,"a",@progbits
	.p2align	6, 0x0
	.amdhsa_kernel _ZN7rocprim17ROCPRIM_304000_NS6detail25onesweep_iteration_kernelINS1_34wrapped_radix_sort_onesweep_configINS0_14default_configElN2at4cuda3cub6detail10OpaqueTypeILi8EEEEELb1EPKlPlPKSA_PSA_mNS0_19identity_decomposerEEEvT1_T2_T3_T4_jPT5_SO_PNS1_23onesweep_lookback_stateET6_jjj
		.amdhsa_group_segment_fixed_size 49664
		.amdhsa_private_segment_fixed_size 0
		.amdhsa_kernarg_size 336
		.amdhsa_user_sgpr_count 2
		.amdhsa_user_sgpr_dispatch_ptr 0
		.amdhsa_user_sgpr_queue_ptr 0
		.amdhsa_user_sgpr_kernarg_segment_ptr 1
		.amdhsa_user_sgpr_dispatch_id 0
		.amdhsa_user_sgpr_kernarg_preload_length 0
		.amdhsa_user_sgpr_kernarg_preload_offset 0
		.amdhsa_user_sgpr_private_segment_size 0
		.amdhsa_uses_dynamic_stack 0
		.amdhsa_enable_private_segment 0
		.amdhsa_system_sgpr_workgroup_id_x 1
		.amdhsa_system_sgpr_workgroup_id_y 0
		.amdhsa_system_sgpr_workgroup_id_z 0
		.amdhsa_system_sgpr_workgroup_info 0
		.amdhsa_system_vgpr_workitem_id 2
		.amdhsa_next_free_vgpr 42
		.amdhsa_next_free_sgpr 52
		.amdhsa_accum_offset 44
		.amdhsa_reserve_vcc 1
		.amdhsa_float_round_mode_32 0
		.amdhsa_float_round_mode_16_64 0
		.amdhsa_float_denorm_mode_32 3
		.amdhsa_float_denorm_mode_16_64 3
		.amdhsa_dx10_clamp 1
		.amdhsa_ieee_mode 1
		.amdhsa_fp16_overflow 0
		.amdhsa_tg_split 0
		.amdhsa_exception_fp_ieee_invalid_op 0
		.amdhsa_exception_fp_denorm_src 0
		.amdhsa_exception_fp_ieee_div_zero 0
		.amdhsa_exception_fp_ieee_overflow 0
		.amdhsa_exception_fp_ieee_underflow 0
		.amdhsa_exception_fp_ieee_inexact 0
		.amdhsa_exception_int_div_zero 0
	.end_amdhsa_kernel
	.section	.text._ZN7rocprim17ROCPRIM_304000_NS6detail25onesweep_iteration_kernelINS1_34wrapped_radix_sort_onesweep_configINS0_14default_configElN2at4cuda3cub6detail10OpaqueTypeILi8EEEEELb1EPKlPlPKSA_PSA_mNS0_19identity_decomposerEEEvT1_T2_T3_T4_jPT5_SO_PNS1_23onesweep_lookback_stateET6_jjj,"axG",@progbits,_ZN7rocprim17ROCPRIM_304000_NS6detail25onesweep_iteration_kernelINS1_34wrapped_radix_sort_onesweep_configINS0_14default_configElN2at4cuda3cub6detail10OpaqueTypeILi8EEEEELb1EPKlPlPKSA_PSA_mNS0_19identity_decomposerEEEvT1_T2_T3_T4_jPT5_SO_PNS1_23onesweep_lookback_stateET6_jjj,comdat
.Lfunc_end110:
	.size	_ZN7rocprim17ROCPRIM_304000_NS6detail25onesweep_iteration_kernelINS1_34wrapped_radix_sort_onesweep_configINS0_14default_configElN2at4cuda3cub6detail10OpaqueTypeILi8EEEEELb1EPKlPlPKSA_PSA_mNS0_19identity_decomposerEEEvT1_T2_T3_T4_jPT5_SO_PNS1_23onesweep_lookback_stateET6_jjj, .Lfunc_end110-_ZN7rocprim17ROCPRIM_304000_NS6detail25onesweep_iteration_kernelINS1_34wrapped_radix_sort_onesweep_configINS0_14default_configElN2at4cuda3cub6detail10OpaqueTypeILi8EEEEELb1EPKlPlPKSA_PSA_mNS0_19identity_decomposerEEEvT1_T2_T3_T4_jPT5_SO_PNS1_23onesweep_lookback_stateET6_jjj
                                        ; -- End function
	.set _ZN7rocprim17ROCPRIM_304000_NS6detail25onesweep_iteration_kernelINS1_34wrapped_radix_sort_onesweep_configINS0_14default_configElN2at4cuda3cub6detail10OpaqueTypeILi8EEEEELb1EPKlPlPKSA_PSA_mNS0_19identity_decomposerEEEvT1_T2_T3_T4_jPT5_SO_PNS1_23onesweep_lookback_stateET6_jjj.num_vgpr, 42
	.set _ZN7rocprim17ROCPRIM_304000_NS6detail25onesweep_iteration_kernelINS1_34wrapped_radix_sort_onesweep_configINS0_14default_configElN2at4cuda3cub6detail10OpaqueTypeILi8EEEEELb1EPKlPlPKSA_PSA_mNS0_19identity_decomposerEEEvT1_T2_T3_T4_jPT5_SO_PNS1_23onesweep_lookback_stateET6_jjj.num_agpr, 0
	.set _ZN7rocprim17ROCPRIM_304000_NS6detail25onesweep_iteration_kernelINS1_34wrapped_radix_sort_onesweep_configINS0_14default_configElN2at4cuda3cub6detail10OpaqueTypeILi8EEEEELb1EPKlPlPKSA_PSA_mNS0_19identity_decomposerEEEvT1_T2_T3_T4_jPT5_SO_PNS1_23onesweep_lookback_stateET6_jjj.numbered_sgpr, 52
	.set _ZN7rocprim17ROCPRIM_304000_NS6detail25onesweep_iteration_kernelINS1_34wrapped_radix_sort_onesweep_configINS0_14default_configElN2at4cuda3cub6detail10OpaqueTypeILi8EEEEELb1EPKlPlPKSA_PSA_mNS0_19identity_decomposerEEEvT1_T2_T3_T4_jPT5_SO_PNS1_23onesweep_lookback_stateET6_jjj.num_named_barrier, 0
	.set _ZN7rocprim17ROCPRIM_304000_NS6detail25onesweep_iteration_kernelINS1_34wrapped_radix_sort_onesweep_configINS0_14default_configElN2at4cuda3cub6detail10OpaqueTypeILi8EEEEELb1EPKlPlPKSA_PSA_mNS0_19identity_decomposerEEEvT1_T2_T3_T4_jPT5_SO_PNS1_23onesweep_lookback_stateET6_jjj.private_seg_size, 0
	.set _ZN7rocprim17ROCPRIM_304000_NS6detail25onesweep_iteration_kernelINS1_34wrapped_radix_sort_onesweep_configINS0_14default_configElN2at4cuda3cub6detail10OpaqueTypeILi8EEEEELb1EPKlPlPKSA_PSA_mNS0_19identity_decomposerEEEvT1_T2_T3_T4_jPT5_SO_PNS1_23onesweep_lookback_stateET6_jjj.uses_vcc, 1
	.set _ZN7rocprim17ROCPRIM_304000_NS6detail25onesweep_iteration_kernelINS1_34wrapped_radix_sort_onesweep_configINS0_14default_configElN2at4cuda3cub6detail10OpaqueTypeILi8EEEEELb1EPKlPlPKSA_PSA_mNS0_19identity_decomposerEEEvT1_T2_T3_T4_jPT5_SO_PNS1_23onesweep_lookback_stateET6_jjj.uses_flat_scratch, 0
	.set _ZN7rocprim17ROCPRIM_304000_NS6detail25onesweep_iteration_kernelINS1_34wrapped_radix_sort_onesweep_configINS0_14default_configElN2at4cuda3cub6detail10OpaqueTypeILi8EEEEELb1EPKlPlPKSA_PSA_mNS0_19identity_decomposerEEEvT1_T2_T3_T4_jPT5_SO_PNS1_23onesweep_lookback_stateET6_jjj.has_dyn_sized_stack, 0
	.set _ZN7rocprim17ROCPRIM_304000_NS6detail25onesweep_iteration_kernelINS1_34wrapped_radix_sort_onesweep_configINS0_14default_configElN2at4cuda3cub6detail10OpaqueTypeILi8EEEEELb1EPKlPlPKSA_PSA_mNS0_19identity_decomposerEEEvT1_T2_T3_T4_jPT5_SO_PNS1_23onesweep_lookback_stateET6_jjj.has_recursion, 0
	.set _ZN7rocprim17ROCPRIM_304000_NS6detail25onesweep_iteration_kernelINS1_34wrapped_radix_sort_onesweep_configINS0_14default_configElN2at4cuda3cub6detail10OpaqueTypeILi8EEEEELb1EPKlPlPKSA_PSA_mNS0_19identity_decomposerEEEvT1_T2_T3_T4_jPT5_SO_PNS1_23onesweep_lookback_stateET6_jjj.has_indirect_call, 0
	.section	.AMDGPU.csdata,"",@progbits
; Kernel info:
; codeLenInByte = 10108
; TotalNumSgprs: 58
; NumVgprs: 42
; NumAgprs: 0
; TotalNumVgprs: 42
; ScratchSize: 0
; MemoryBound: 1
; FloatMode: 240
; IeeeMode: 1
; LDSByteSize: 49664 bytes/workgroup (compile time only)
; SGPRBlocks: 7
; VGPRBlocks: 5
; NumSGPRsForWavesPerEU: 58
; NumVGPRsForWavesPerEU: 42
; AccumOffset: 44
; Occupancy: 8
; WaveLimiterHint : 1
; COMPUTE_PGM_RSRC2:SCRATCH_EN: 0
; COMPUTE_PGM_RSRC2:USER_SGPR: 2
; COMPUTE_PGM_RSRC2:TRAP_HANDLER: 0
; COMPUTE_PGM_RSRC2:TGID_X_EN: 1
; COMPUTE_PGM_RSRC2:TGID_Y_EN: 0
; COMPUTE_PGM_RSRC2:TGID_Z_EN: 0
; COMPUTE_PGM_RSRC2:TIDIG_COMP_CNT: 2
; COMPUTE_PGM_RSRC3_GFX90A:ACCUM_OFFSET: 10
; COMPUTE_PGM_RSRC3_GFX90A:TG_SPLIT: 0
	.section	.text._ZN7rocprim17ROCPRIM_304000_NS6detail25onesweep_iteration_kernelINS1_34wrapped_radix_sort_onesweep_configINS0_14default_configElN2at4cuda3cub6detail10OpaqueTypeILi8EEEEELb1EPlSC_PSA_SD_mNS0_19identity_decomposerEEEvT1_T2_T3_T4_jPT5_SK_PNS1_23onesweep_lookback_stateET6_jjj,"axG",@progbits,_ZN7rocprim17ROCPRIM_304000_NS6detail25onesweep_iteration_kernelINS1_34wrapped_radix_sort_onesweep_configINS0_14default_configElN2at4cuda3cub6detail10OpaqueTypeILi8EEEEELb1EPlSC_PSA_SD_mNS0_19identity_decomposerEEEvT1_T2_T3_T4_jPT5_SK_PNS1_23onesweep_lookback_stateET6_jjj,comdat
	.protected	_ZN7rocprim17ROCPRIM_304000_NS6detail25onesweep_iteration_kernelINS1_34wrapped_radix_sort_onesweep_configINS0_14default_configElN2at4cuda3cub6detail10OpaqueTypeILi8EEEEELb1EPlSC_PSA_SD_mNS0_19identity_decomposerEEEvT1_T2_T3_T4_jPT5_SK_PNS1_23onesweep_lookback_stateET6_jjj ; -- Begin function _ZN7rocprim17ROCPRIM_304000_NS6detail25onesweep_iteration_kernelINS1_34wrapped_radix_sort_onesweep_configINS0_14default_configElN2at4cuda3cub6detail10OpaqueTypeILi8EEEEELb1EPlSC_PSA_SD_mNS0_19identity_decomposerEEEvT1_T2_T3_T4_jPT5_SK_PNS1_23onesweep_lookback_stateET6_jjj
	.globl	_ZN7rocprim17ROCPRIM_304000_NS6detail25onesweep_iteration_kernelINS1_34wrapped_radix_sort_onesweep_configINS0_14default_configElN2at4cuda3cub6detail10OpaqueTypeILi8EEEEELb1EPlSC_PSA_SD_mNS0_19identity_decomposerEEEvT1_T2_T3_T4_jPT5_SK_PNS1_23onesweep_lookback_stateET6_jjj
	.p2align	8
	.type	_ZN7rocprim17ROCPRIM_304000_NS6detail25onesweep_iteration_kernelINS1_34wrapped_radix_sort_onesweep_configINS0_14default_configElN2at4cuda3cub6detail10OpaqueTypeILi8EEEEELb1EPlSC_PSA_SD_mNS0_19identity_decomposerEEEvT1_T2_T3_T4_jPT5_SK_PNS1_23onesweep_lookback_stateET6_jjj,@function
_ZN7rocprim17ROCPRIM_304000_NS6detail25onesweep_iteration_kernelINS1_34wrapped_radix_sort_onesweep_configINS0_14default_configElN2at4cuda3cub6detail10OpaqueTypeILi8EEEEELb1EPlSC_PSA_SD_mNS0_19identity_decomposerEEEvT1_T2_T3_T4_jPT5_SK_PNS1_23onesweep_lookback_stateET6_jjj: ; @_ZN7rocprim17ROCPRIM_304000_NS6detail25onesweep_iteration_kernelINS1_34wrapped_radix_sort_onesweep_configINS0_14default_configElN2at4cuda3cub6detail10OpaqueTypeILi8EEEEELb1EPlSC_PSA_SD_mNS0_19identity_decomposerEEEvT1_T2_T3_T4_jPT5_SK_PNS1_23onesweep_lookback_stateET6_jjj
; %bb.0:
	s_load_dwordx4 s[44:47], s[0:1], 0x44
	s_load_dwordx8 s[36:43], s[0:1], 0x0
	s_load_dwordx4 s[28:31], s[0:1], 0x28
	s_load_dwordx2 s[34:35], s[0:1], 0x38
	s_mov_b64 s[4:5], -1
	s_waitcnt lgkmcnt(0)
	s_cmp_ge_u32 s2, s46
	s_mul_i32 s48, s2, 0x1800
	v_mbcnt_lo_u32_b32 v1, -1, 0
	s_cbranch_scc0 .LBB111_96
; %bb.1:
	s_load_dword s3, s[0:1], 0x20
	s_mul_i32 s4, s46, 0xffffe800
	s_mov_b32 s49, 0
	s_lshl_b64 s[46:47], s[48:49], 3
	v_mbcnt_hi_u32_b32 v9, -1, v1
	s_waitcnt lgkmcnt(0)
	s_add_i32 s49, s4, s3
	s_add_u32 s4, s36, s46
	v_and_b32_e32 v2, 0x3c0, v0
	s_addc_u32 s5, s37, s47
	v_mul_u32_u24_e32 v8, 6, v2
	v_mov_b32_e32 v5, 0
	v_lshlrev_b32_e32 v4, 3, v9
	v_lshl_add_u64 v[2:3], s[4:5], 0, v[4:5]
	v_lshlrev_b32_e32 v6, 3, v8
	v_mov_b32_e32 v7, v5
	v_or_b32_e32 v5, v9, v8
	v_lshl_add_u64 v[2:3], v[2:3], 0, v[6:7]
	v_cmp_gt_u32_e32 vcc, s49, v5
	v_mov_b64_e32 v[10:11], -1
	v_mov_b64_e32 v[12:13], -1
	s_and_saveexec_b64 s[4:5], vcc
	s_cbranch_execz .LBB111_3
; %bb.2:
	global_load_dwordx2 v[12:13], v[2:3], off
	s_waitcnt vmcnt(0)
	v_xor_b32_e32 v13, 0x7fffffff, v13
	v_not_b32_e32 v12, v12
.LBB111_3:
	s_or_b64 exec, exec, s[4:5]
	v_add_u32_e32 v7, 64, v5
	v_cmp_gt_u32_e64 s[26:27], s49, v7
	s_and_saveexec_b64 s[4:5], s[26:27]
	s_cbranch_execz .LBB111_5
; %bb.4:
	global_load_dwordx2 v[10:11], v[2:3], off offset:512
	s_waitcnt vmcnt(0)
	v_xor_b32_e32 v11, 0x7fffffff, v11
	v_not_b32_e32 v10, v10
.LBB111_5:
	s_or_b64 exec, exec, s[4:5]
	v_add_u32_e32 v7, 0x80, v5
	v_cmp_gt_u32_e64 s[4:5], s49, v7
	v_mov_b64_e32 v[14:15], -1
	v_mov_b64_e32 v[16:17], -1
	s_and_saveexec_b64 s[6:7], s[4:5]
	s_cbranch_execz .LBB111_7
; %bb.6:
	global_load_dwordx2 v[16:17], v[2:3], off offset:1024
	s_waitcnt vmcnt(0)
	v_xor_b32_e32 v17, 0x7fffffff, v17
	v_not_b32_e32 v16, v16
.LBB111_7:
	s_or_b64 exec, exec, s[6:7]
	v_add_u32_e32 v7, 0xc0, v5
	v_cmp_gt_u32_e64 s[6:7], s49, v7
	s_and_saveexec_b64 s[8:9], s[6:7]
	s_cbranch_execz .LBB111_9
; %bb.8:
	global_load_dwordx2 v[14:15], v[2:3], off offset:1536
	s_waitcnt vmcnt(0)
	v_xor_b32_e32 v15, 0x7fffffff, v15
	v_not_b32_e32 v14, v14
.LBB111_9:
	s_or_b64 exec, exec, s[8:9]
	v_add_u32_e32 v7, 0x100, v5
	v_cmp_gt_u32_e64 s[8:9], s49, v7
	v_mov_b64_e32 v[18:19], -1
	v_mov_b64_e32 v[20:21], -1
	s_and_saveexec_b64 s[10:11], s[8:9]
	s_cbranch_execz .LBB111_11
; %bb.10:
	global_load_dwordx2 v[20:21], v[2:3], off offset:2048
	s_waitcnt vmcnt(0)
	v_xor_b32_e32 v21, 0x7fffffff, v21
	v_not_b32_e32 v20, v20
.LBB111_11:
	s_or_b64 exec, exec, s[10:11]
	v_add_u32_e32 v5, 0x140, v5
	v_and_b32_e32 v8, 0x3ff, v0
	v_cmp_gt_u32_e64 s[10:11], s49, v5
	s_and_saveexec_b64 s[12:13], s[10:11]
	s_cbranch_execz .LBB111_13
; %bb.12:
	global_load_dwordx2 v[2:3], v[2:3], off offset:2560
	s_waitcnt vmcnt(0)
	v_xor_b32_e32 v19, 0x7fffffff, v3
	v_not_b32_e32 v18, v2
.LBB111_13:
	s_or_b64 exec, exec, s[12:13]
	s_load_dword s12, s[0:1], 0x5c
	s_load_dword s3, s[0:1], 0x50
	s_add_u32 s13, s0, 0x50
	s_addc_u32 s14, s1, 0
	v_mov_b32_e32 v22, 0
	s_waitcnt lgkmcnt(0)
	s_lshr_b32 s15, s12, 16
	s_cmp_lt_u32 s2, s3
	s_cselect_b32 s12, 12, 18
	s_add_u32 s12, s13, s12
	s_addc_u32 s13, s14, 0
	global_load_ushort v5, v22, s[12:13]
	v_bfe_u32 v3, v0, 10, 10
	v_bfe_u32 v7, v0, 20, 10
	v_lshrrev_b64 v[24:25], s44, v[12:13]
	s_lshl_b32 s12, -1, s45
	v_lshlrev_b32_e32 v2, 3, v8
	v_mov_b32_e32 v23, v22
	v_mad_u32_u24 v7, v7, s15, v3
	v_bitop3_b32 v3, v24, s12, v24 bitop3:0x30
	v_mov_b32_e32 v25, v22
	ds_write_b64 v2, v[22:23] offset:64
	v_and_b32_e32 v24, 1, v3
	v_lshlrev_b32_e32 v23, 30, v3
	s_not_b32 s33, s12
	v_lshl_add_u64 v[26:27], v[24:25], 0, -1
	v_cmp_ne_u32_e64 s[12:13], 0, v24
	v_cmp_gt_i64_e64 s[14:15], 0, v[22:23]
	v_not_b32_e32 v24, v23
	v_lshlrev_b32_e32 v23, 29, v3
	v_xor_b32_e32 v25, s13, v27
	v_xor_b32_e32 v26, s12, v26
	v_ashrrev_i32_e32 v24, 31, v24
	v_cmp_gt_i64_e64 s[12:13], 0, v[22:23]
	v_not_b32_e32 v27, v23
	v_lshlrev_b32_e32 v23, 28, v3
	v_and_b32_e32 v25, exec_hi, v25
	v_and_b32_e32 v26, exec_lo, v26
	v_xor_b32_e32 v29, s15, v24
	v_xor_b32_e32 v24, s14, v24
	v_ashrrev_i32_e32 v27, 31, v27
	v_cmp_gt_i64_e64 s[14:15], 0, v[22:23]
	v_not_b32_e32 v30, v23
	v_lshlrev_b32_e32 v23, 27, v3
	s_movk_i32 s16, 0x44
	v_and_b32_e32 v25, v25, v29
	v_and_b32_e32 v24, v26, v24
	v_xor_b32_e32 v26, s13, v27
	v_xor_b32_e32 v27, s12, v27
	v_ashrrev_i32_e32 v29, 31, v30
	v_cmp_gt_i64_e64 s[12:13], 0, v[22:23]
	v_not_b32_e32 v30, v23
	v_lshlrev_b32_e32 v23, 26, v3
	v_mul_lo_u32 v28, v3, s16
	v_and_b32_e32 v3, v25, v26
	v_and_b32_e32 v24, v24, v27
	v_xor_b32_e32 v25, s15, v29
	v_xor_b32_e32 v26, s14, v29
	v_ashrrev_i32_e32 v27, 31, v30
	v_cmp_gt_i64_e64 s[14:15], 0, v[22:23]
	v_not_b32_e32 v23, v23
	v_and_b32_e32 v3, v3, v25
	v_and_b32_e32 v24, v24, v26
	v_xor_b32_e32 v25, s13, v27
	v_xor_b32_e32 v26, s12, v27
	v_ashrrev_i32_e32 v23, 31, v23
	v_and_b32_e32 v3, v3, v25
	v_and_b32_e32 v24, v24, v26
	v_xor_b32_e32 v25, s15, v23
	v_xor_b32_e32 v23, s14, v23
	v_and_b32_e32 v24, v24, v23
	v_and_b32_e32 v25, v3, v25
	v_mbcnt_lo_u32_b32 v3, v24, 0
	v_mbcnt_hi_u32_b32 v3, v25, v3
	v_cmp_ne_u64_e64 s[12:13], 0, v[24:25]
	v_cmp_eq_u32_e64 s[14:15], 0, v3
	s_and_b64 s[14:15], s[12:13], s[14:15]
	s_waitcnt lgkmcnt(0)
	s_barrier
	s_waitcnt vmcnt(0)
	; wave barrier
	v_mad_u64_u32 v[26:27], s[18:19], v7, v5, v[8:9]
	v_lshrrev_b32_e32 v32, 6, v26
	v_lshl_add_u32 v7, v32, 2, v28
	s_and_saveexec_b64 s[12:13], s[14:15]
; %bb.14:
	v_bcnt_u32_b32 v5, v24, 0
	v_bcnt_u32_b32 v5, v25, v5
	ds_write_b32 v7, v5 offset:64
; %bb.15:
	s_or_b64 exec, exec, s[12:13]
	v_lshrrev_b64 v[24:25], s44, v[10:11]
	v_and_b32_e32 v27, s33, v24
	v_and_b32_e32 v24, 1, v27
	v_mov_b32_e32 v25, v22
	v_lshl_add_u64 v[28:29], v[24:25], 0, -1
	v_cmp_ne_u32_e64 s[12:13], 0, v24
	v_mul_lo_u32 v5, v27, s16
	v_lshl_add_u32 v26, v32, 2, v5
	v_xor_b32_e32 v23, s13, v29
	v_and_b32_e32 v25, exec_hi, v23
	v_lshlrev_b32_e32 v23, 30, v27
	v_xor_b32_e32 v24, s12, v28
	v_cmp_gt_i64_e64 s[12:13], 0, v[22:23]
	v_not_b32_e32 v23, v23
	v_ashrrev_i32_e32 v23, 31, v23
	v_and_b32_e32 v24, exec_lo, v24
	v_xor_b32_e32 v28, s13, v23
	v_xor_b32_e32 v23, s12, v23
	v_and_b32_e32 v24, v24, v23
	v_lshlrev_b32_e32 v23, 29, v27
	v_cmp_gt_i64_e64 s[12:13], 0, v[22:23]
	v_not_b32_e32 v23, v23
	v_ashrrev_i32_e32 v23, 31, v23
	v_and_b32_e32 v25, v25, v28
	v_xor_b32_e32 v28, s13, v23
	v_xor_b32_e32 v23, s12, v23
	v_and_b32_e32 v24, v24, v23
	v_lshlrev_b32_e32 v23, 28, v27
	v_cmp_gt_i64_e64 s[12:13], 0, v[22:23]
	v_not_b32_e32 v23, v23
	v_ashrrev_i32_e32 v23, 31, v23
	v_and_b32_e32 v25, v25, v28
	;; [unrolled: 8-line block ×3, first 2 shown]
	v_xor_b32_e32 v28, s13, v23
	v_xor_b32_e32 v23, s12, v23
	v_and_b32_e32 v24, v24, v23
	v_lshlrev_b32_e32 v23, 26, v27
	v_cmp_gt_i64_e64 s[12:13], 0, v[22:23]
	v_not_b32_e32 v22, v23
	v_ashrrev_i32_e32 v22, 31, v22
	v_xor_b32_e32 v23, s13, v22
	v_xor_b32_e32 v22, s12, v22
	; wave barrier
	ds_read_b32 v5, v26 offset:64
	v_and_b32_e32 v25, v25, v28
	v_and_b32_e32 v22, v24, v22
	;; [unrolled: 1-line block ×3, first 2 shown]
	v_mbcnt_lo_u32_b32 v24, v22, 0
	v_mbcnt_hi_u32_b32 v27, v23, v24
	v_cmp_eq_u32_e64 s[12:13], 0, v27
	v_cmp_ne_u64_e64 s[14:15], 0, v[22:23]
	s_and_b64 s[14:15], s[14:15], s[12:13]
	; wave barrier
	s_and_saveexec_b64 s[12:13], s[14:15]
	s_cbranch_execz .LBB111_17
; %bb.16:
	v_bcnt_u32_b32 v22, v22, 0
	v_bcnt_u32_b32 v22, v23, v22
	s_waitcnt lgkmcnt(0)
	v_add_u32_e32 v22, v5, v22
	ds_write_b32 v26, v22 offset:64
.LBB111_17:
	s_or_b64 exec, exec, s[12:13]
	v_lshrrev_b64 v[22:23], s44, v[16:17]
	v_and_b32_e32 v30, s33, v22
	v_mul_lo_u32 v22, v30, s16
	v_lshl_add_u32 v29, v32, 2, v22
	v_and_b32_e32 v22, 1, v30
	v_mov_b32_e32 v23, 0
	v_lshl_add_u64 v[24:25], v[22:23], 0, -1
	v_cmp_ne_u32_e64 s[12:13], 0, v22
	; wave barrier
	s_nop 1
	v_xor_b32_e32 v24, s12, v24
	v_xor_b32_e32 v22, s13, v25
	v_and_b32_e32 v31, exec_lo, v24
	v_lshlrev_b32_e32 v25, 30, v30
	v_mov_b32_e32 v24, v23
	v_cmp_gt_i64_e64 s[12:13], 0, v[24:25]
	v_not_b32_e32 v24, v25
	v_ashrrev_i32_e32 v24, 31, v24
	v_and_b32_e32 v22, exec_hi, v22
	v_xor_b32_e32 v25, s13, v24
	v_xor_b32_e32 v24, s12, v24
	v_and_b32_e32 v22, v22, v25
	v_and_b32_e32 v31, v31, v24
	v_lshlrev_b32_e32 v25, 29, v30
	v_mov_b32_e32 v24, v23
	v_cmp_gt_i64_e64 s[12:13], 0, v[24:25]
	v_not_b32_e32 v24, v25
	v_ashrrev_i32_e32 v24, 31, v24
	v_xor_b32_e32 v25, s13, v24
	v_xor_b32_e32 v24, s12, v24
	v_and_b32_e32 v22, v22, v25
	v_and_b32_e32 v31, v31, v24
	v_lshlrev_b32_e32 v25, 28, v30
	v_mov_b32_e32 v24, v23
	v_cmp_gt_i64_e64 s[12:13], 0, v[24:25]
	v_not_b32_e32 v24, v25
	v_ashrrev_i32_e32 v24, 31, v24
	;; [unrolled: 9-line block ×4, first 2 shown]
	v_xor_b32_e32 v25, s13, v24
	v_xor_b32_e32 v24, s12, v24
	ds_read_b32 v28, v29 offset:64
	v_and_b32_e32 v24, v31, v24
	v_and_b32_e32 v25, v22, v25
	v_mbcnt_lo_u32_b32 v22, v24, 0
	v_mbcnt_hi_u32_b32 v30, v25, v22
	v_cmp_eq_u32_e64 s[12:13], 0, v30
	v_cmp_ne_u64_e64 s[14:15], 0, v[24:25]
	s_and_b64 s[14:15], s[14:15], s[12:13]
	; wave barrier
	s_and_saveexec_b64 s[12:13], s[14:15]
	s_cbranch_execz .LBB111_19
; %bb.18:
	v_bcnt_u32_b32 v22, v24, 0
	v_bcnt_u32_b32 v22, v25, v22
	s_waitcnt lgkmcnt(0)
	v_add_u32_e32 v22, v28, v22
	ds_write_b32 v29, v22 offset:64
.LBB111_19:
	s_or_b64 exec, exec, s[12:13]
	v_lshrrev_b64 v[24:25], s44, v[14:15]
	v_and_b32_e32 v34, s33, v24
	v_mul_lo_u32 v22, v34, s16
	v_lshl_add_u32 v33, v32, 2, v22
	v_and_b32_e32 v22, 1, v34
	v_lshl_add_u64 v[24:25], v[22:23], 0, -1
	v_cmp_ne_u32_e64 s[12:13], 0, v22
	; wave barrier
	s_nop 1
	v_xor_b32_e32 v24, s12, v24
	v_xor_b32_e32 v22, s13, v25
	v_and_b32_e32 v35, exec_lo, v24
	v_lshlrev_b32_e32 v25, 30, v34
	v_mov_b32_e32 v24, v23
	v_cmp_gt_i64_e64 s[12:13], 0, v[24:25]
	v_not_b32_e32 v24, v25
	v_ashrrev_i32_e32 v24, 31, v24
	v_and_b32_e32 v22, exec_hi, v22
	v_xor_b32_e32 v25, s13, v24
	v_xor_b32_e32 v24, s12, v24
	v_and_b32_e32 v22, v22, v25
	v_and_b32_e32 v35, v35, v24
	v_lshlrev_b32_e32 v25, 29, v34
	v_mov_b32_e32 v24, v23
	v_cmp_gt_i64_e64 s[12:13], 0, v[24:25]
	v_not_b32_e32 v24, v25
	v_ashrrev_i32_e32 v24, 31, v24
	v_xor_b32_e32 v25, s13, v24
	v_xor_b32_e32 v24, s12, v24
	v_and_b32_e32 v22, v22, v25
	v_and_b32_e32 v35, v35, v24
	v_lshlrev_b32_e32 v25, 28, v34
	v_mov_b32_e32 v24, v23
	v_cmp_gt_i64_e64 s[12:13], 0, v[24:25]
	v_not_b32_e32 v24, v25
	v_ashrrev_i32_e32 v24, 31, v24
	;; [unrolled: 9-line block ×3, first 2 shown]
	v_xor_b32_e32 v25, s13, v24
	v_xor_b32_e32 v24, s12, v24
	v_and_b32_e32 v22, v22, v25
	v_lshlrev_b32_e32 v25, 26, v34
	v_and_b32_e32 v35, v35, v24
	v_mov_b32_e32 v24, v23
	v_not_b32_e32 v23, v25
	v_cmp_gt_i64_e64 s[12:13], 0, v[24:25]
	v_ashrrev_i32_e32 v23, 31, v23
	ds_read_b32 v31, v33 offset:64
	v_xor_b32_e32 v24, s13, v23
	v_xor_b32_e32 v25, s12, v23
	v_and_b32_e32 v23, v22, v24
	v_and_b32_e32 v22, v35, v25
	v_mbcnt_lo_u32_b32 v24, v22, 0
	v_mbcnt_hi_u32_b32 v34, v23, v24
	v_cmp_eq_u32_e64 s[12:13], 0, v34
	v_cmp_ne_u64_e64 s[14:15], 0, v[22:23]
	s_and_b64 s[14:15], s[14:15], s[12:13]
	; wave barrier
	s_and_saveexec_b64 s[12:13], s[14:15]
	s_cbranch_execz .LBB111_21
; %bb.20:
	v_bcnt_u32_b32 v22, v22, 0
	v_bcnt_u32_b32 v22, v23, v22
	s_waitcnt lgkmcnt(0)
	v_add_u32_e32 v22, v31, v22
	ds_write_b32 v33, v22 offset:64
.LBB111_21:
	s_or_b64 exec, exec, s[12:13]
	v_lshrrev_b64 v[22:23], s44, v[20:21]
	v_and_b32_e32 v37, s33, v22
	v_mul_lo_u32 v22, v37, s16
	v_lshl_add_u32 v36, v32, 2, v22
	v_and_b32_e32 v22, 1, v37
	v_mov_b32_e32 v23, 0
	v_lshl_add_u64 v[24:25], v[22:23], 0, -1
	v_cmp_ne_u32_e64 s[12:13], 0, v22
	; wave barrier
	s_nop 1
	v_xor_b32_e32 v24, s12, v24
	v_xor_b32_e32 v22, s13, v25
	v_and_b32_e32 v38, exec_lo, v24
	v_lshlrev_b32_e32 v25, 30, v37
	v_mov_b32_e32 v24, v23
	v_cmp_gt_i64_e64 s[12:13], 0, v[24:25]
	v_not_b32_e32 v24, v25
	v_ashrrev_i32_e32 v24, 31, v24
	v_and_b32_e32 v22, exec_hi, v22
	v_xor_b32_e32 v25, s13, v24
	v_xor_b32_e32 v24, s12, v24
	v_and_b32_e32 v22, v22, v25
	v_and_b32_e32 v38, v38, v24
	v_lshlrev_b32_e32 v25, 29, v37
	v_mov_b32_e32 v24, v23
	v_cmp_gt_i64_e64 s[12:13], 0, v[24:25]
	v_not_b32_e32 v24, v25
	v_ashrrev_i32_e32 v24, 31, v24
	v_xor_b32_e32 v25, s13, v24
	v_xor_b32_e32 v24, s12, v24
	v_and_b32_e32 v22, v22, v25
	v_and_b32_e32 v38, v38, v24
	v_lshlrev_b32_e32 v25, 28, v37
	v_mov_b32_e32 v24, v23
	v_cmp_gt_i64_e64 s[12:13], 0, v[24:25]
	v_not_b32_e32 v24, v25
	v_ashrrev_i32_e32 v24, 31, v24
	;; [unrolled: 9-line block ×4, first 2 shown]
	v_xor_b32_e32 v25, s13, v24
	v_xor_b32_e32 v24, s12, v24
	ds_read_b32 v35, v36 offset:64
	v_and_b32_e32 v24, v38, v24
	v_and_b32_e32 v25, v22, v25
	v_mbcnt_lo_u32_b32 v22, v24, 0
	v_mbcnt_hi_u32_b32 v37, v25, v22
	v_cmp_eq_u32_e64 s[12:13], 0, v37
	v_cmp_ne_u64_e64 s[14:15], 0, v[24:25]
	s_and_b64 s[14:15], s[14:15], s[12:13]
	; wave barrier
	s_and_saveexec_b64 s[12:13], s[14:15]
	s_cbranch_execz .LBB111_23
; %bb.22:
	v_bcnt_u32_b32 v22, v24, 0
	v_bcnt_u32_b32 v22, v25, v22
	s_waitcnt lgkmcnt(0)
	v_add_u32_e32 v22, v35, v22
	ds_write_b32 v36, v22 offset:64
.LBB111_23:
	s_or_b64 exec, exec, s[12:13]
	v_lshrrev_b64 v[24:25], s44, v[18:19]
	v_and_b32_e32 v25, s33, v24
	v_mul_lo_u32 v22, v25, s16
	v_lshl_add_u32 v24, v32, 2, v22
	v_and_b32_e32 v22, 1, v25
	v_lshl_add_u64 v[40:41], v[22:23], 0, -1
	v_cmp_ne_u32_e64 s[12:13], 0, v22
	; wave barrier
	s_nop 1
	v_xor_b32_e32 v22, s13, v41
	v_lshlrev_b32_e32 v41, 30, v25
	v_xor_b32_e32 v32, s12, v40
	v_mov_b32_e32 v40, v23
	v_not_b32_e32 v39, v41
	v_cmp_gt_i64_e64 s[12:13], 0, v[40:41]
	v_ashrrev_i32_e32 v39, 31, v39
	v_and_b32_e32 v22, exec_hi, v22
	v_and_b32_e32 v32, exec_lo, v32
	v_xor_b32_e32 v40, s13, v39
	v_xor_b32_e32 v39, s12, v39
	v_lshlrev_b32_e32 v41, 29, v25
	v_and_b32_e32 v22, v22, v40
	v_and_b32_e32 v32, v32, v39
	v_mov_b32_e32 v40, v23
	v_not_b32_e32 v39, v41
	v_cmp_gt_i64_e64 s[12:13], 0, v[40:41]
	v_ashrrev_i32_e32 v39, 31, v39
	v_lshlrev_b32_e32 v41, 28, v25
	v_xor_b32_e32 v40, s13, v39
	v_xor_b32_e32 v39, s12, v39
	v_and_b32_e32 v22, v22, v40
	v_and_b32_e32 v32, v32, v39
	v_mov_b32_e32 v40, v23
	v_not_b32_e32 v39, v41
	v_cmp_gt_i64_e64 s[12:13], 0, v[40:41]
	v_ashrrev_i32_e32 v39, 31, v39
	v_lshlrev_b32_e32 v41, 27, v25
	v_xor_b32_e32 v40, s13, v39
	v_xor_b32_e32 v39, s12, v39
	v_and_b32_e32 v22, v22, v40
	v_and_b32_e32 v32, v32, v39
	v_mov_b32_e32 v40, v23
	v_not_b32_e32 v39, v41
	v_cmp_gt_i64_e64 s[12:13], 0, v[40:41]
	v_ashrrev_i32_e32 v39, 31, v39
	v_lshlrev_b32_e32 v41, 26, v25
	v_xor_b32_e32 v40, s13, v39
	v_and_b32_e32 v22, v22, v40
	v_mov_b32_e32 v40, v23
	v_not_b32_e32 v23, v41
	v_xor_b32_e32 v39, s12, v39
	v_cmp_gt_i64_e64 s[12:13], 0, v[40:41]
	v_ashrrev_i32_e32 v23, 31, v23
	v_and_b32_e32 v32, v32, v39
	v_xor_b32_e32 v25, s13, v23
	v_xor_b32_e32 v39, s12, v23
	ds_read_b32 v38, v24 offset:64
	v_and_b32_e32 v23, v22, v25
	v_and_b32_e32 v22, v32, v39
	v_mbcnt_lo_u32_b32 v25, v22, 0
	v_mbcnt_hi_u32_b32 v39, v23, v25
	v_cmp_eq_u32_e64 s[12:13], 0, v39
	v_cmp_ne_u64_e64 s[14:15], 0, v[22:23]
	s_and_b64 s[14:15], s[14:15], s[12:13]
	; wave barrier
	s_and_saveexec_b64 s[12:13], s[14:15]
	s_cbranch_execz .LBB111_25
; %bb.24:
	v_bcnt_u32_b32 v22, v22, 0
	v_bcnt_u32_b32 v22, v23, v22
	s_waitcnt lgkmcnt(0)
	v_add_u32_e32 v22, v38, v22
	ds_write_b32 v24, v22 offset:64
.LBB111_25:
	s_or_b64 exec, exec, s[12:13]
	; wave barrier
	s_waitcnt lgkmcnt(0)
	s_barrier
	ds_read_b64 v[22:23], v2 offset:64
	v_and_b32_e32 v25, 15, v9
	v_cmp_eq_u32_e64 s[12:13], 0, v25
	v_cmp_lt_u32_e64 s[14:15], 1, v25
	v_cmp_lt_u32_e64 s[16:17], 3, v25
	s_waitcnt lgkmcnt(0)
	v_add_u32_e32 v23, v23, v22
	v_cmp_lt_u32_e64 s[18:19], 7, v25
	v_cmp_lt_u32_e64 s[20:21], 31, v9
	v_mov_b32_dpp v32, v23 row_shr:1 row_mask:0xf bank_mask:0xf
	v_cndmask_b32_e64 v32, v32, 0, s[12:13]
	v_add_u32_e32 v23, v32, v23
	s_nop 1
	v_mov_b32_dpp v32, v23 row_shr:2 row_mask:0xf bank_mask:0xf
	v_cndmask_b32_e64 v32, 0, v32, s[14:15]
	v_add_u32_e32 v23, v23, v32
	s_nop 1
	;; [unrolled: 4-line block ×3, first 2 shown]
	v_mov_b32_dpp v32, v23 row_shr:8 row_mask:0xf bank_mask:0xf
	v_cndmask_b32_e64 v25, 0, v32, s[18:19]
	v_add_u32_e32 v23, v23, v25
	v_bfe_i32 v32, v9, 4, 1
	s_nop 0
	v_mov_b32_dpp v25, v23 row_bcast:15 row_mask:0xf bank_mask:0xf
	v_and_b32_e32 v25, v32, v25
	v_add_u32_e32 v23, v23, v25
	v_and_b32_e32 v32, 63, v8
	s_nop 0
	v_mov_b32_dpp v25, v23 row_bcast:31 row_mask:0xf bank_mask:0xf
	v_cndmask_b32_e64 v25, 0, v25, s[20:21]
	v_add_u32_e32 v23, v23, v25
	v_lshrrev_b32_e32 v25, 6, v8
	v_cmp_eq_u32_e64 s[20:21], 63, v32
	s_and_saveexec_b64 s[22:23], s[20:21]
; %bb.26:
	v_lshlrev_b32_e32 v32, 2, v25
	ds_write_b32 v32, v23
; %bb.27:
	s_or_b64 exec, exec, s[22:23]
	v_cmp_gt_u32_e64 s[20:21], 16, v8
	s_waitcnt lgkmcnt(0)
	s_barrier
	s_and_saveexec_b64 s[22:23], s[20:21]
	s_cbranch_execz .LBB111_29
; %bb.28:
	v_lshlrev_b32_e32 v32, 2, v8
	ds_read_b32 v40, v32
	s_waitcnt lgkmcnt(0)
	s_nop 0
	v_mov_b32_dpp v41, v40 row_shr:1 row_mask:0xf bank_mask:0xf
	v_cndmask_b32_e64 v41, v41, 0, s[12:13]
	v_add_u32_e32 v40, v41, v40
	s_nop 1
	v_mov_b32_dpp v41, v40 row_shr:2 row_mask:0xf bank_mask:0xf
	v_cndmask_b32_e64 v41, 0, v41, s[14:15]
	v_add_u32_e32 v40, v40, v41
	;; [unrolled: 4-line block ×4, first 2 shown]
	ds_write_b32 v32, v40
.LBB111_29:
	s_or_b64 exec, exec, s[22:23]
	v_cmp_gt_u32_e64 s[14:15], 64, v8
	v_cmp_lt_u32_e64 s[12:13], 63, v8
	v_mov_b32_e32 v32, 0
	s_waitcnt lgkmcnt(0)
	s_barrier
	s_and_saveexec_b64 s[16:17], s[12:13]
; %bb.30:
	v_lshl_add_u32 v25, v25, 2, -4
	ds_read_b32 v32, v25
; %bb.31:
	s_or_b64 exec, exec, s[16:17]
	v_add_u32_e32 v25, -1, v9
	v_and_b32_e32 v40, 64, v9
	v_cmp_lt_i32_e64 s[16:17], v25, v40
	s_waitcnt lgkmcnt(0)
	v_add_u32_e32 v23, v32, v23
	v_cndmask_b32_e64 v25, v25, v9, s[16:17]
	v_lshlrev_b32_e32 v25, 2, v25
	ds_bpermute_b32 v23, v25, v23
	v_cmp_eq_u32_e64 s[16:17], 0, v9
	s_waitcnt lgkmcnt(0)
	s_nop 0
	v_cndmask_b32_e64 v9, v23, v32, s[16:17]
	v_cmp_ne_u32_e64 s[16:17], 0, v8
	s_nop 1
	v_cndmask_b32_e64 v40, 0, v9, s[16:17]
	v_add_u32_e32 v41, v40, v22
	ds_write_b64 v2, v[40:41] offset:64
	s_waitcnt lgkmcnt(0)
	s_barrier
	ds_read_b32 v25, v7 offset:64
	ds_read_b32 v32, v26 offset:64
	;; [unrolled: 1-line block ×6, first 2 shown]
	v_mov_b64_e32 v[22:23], 0
                                        ; implicit-def: $vgpr24
	s_and_saveexec_b64 s[18:19], s[14:15]
	s_cbranch_execz .LBB111_35
; %bb.32:
	v_mul_u32_u24_e32 v22, 0x44, v8
	ds_read_b32 v22, v22 offset:64
	v_add_u32_e32 v24, 1, v8
	v_cmp_ne_u32_e64 s[16:17], 64, v24
	v_mov_b32_e32 v23, 0x1800
	s_and_saveexec_b64 s[20:21], s[16:17]
; %bb.33:
	v_mul_u32_u24_e32 v23, 0x44, v24
	ds_read_b32 v23, v23 offset:64
; %bb.34:
	s_or_b64 exec, exec, s[20:21]
	s_waitcnt lgkmcnt(0)
	v_sub_u32_e32 v24, v23, v22
	v_mov_b32_e32 v23, 0
.LBB111_35:
	s_or_b64 exec, exec, s[18:19]
	v_lshlrev_b32_e32 v3, 3, v3
	s_waitcnt lgkmcnt(5)
	v_lshl_add_u32 v25, v25, 3, v3
	s_waitcnt lgkmcnt(0)
	s_barrier
	ds_write_b64 v25, v[12:13] offset:512
	v_lshlrev_b32_e32 v3, 3, v32
	v_lshlrev_b32_e32 v12, 3, v27
	;; [unrolled: 1-line block ×3, first 2 shown]
	v_add3_u32 v32, v3, v12, v5
	ds_write_b64 v32, v[10:11] offset:512
	v_lshlrev_b32_e32 v3, 3, v29
	v_lshlrev_b32_e32 v5, 3, v30
	v_lshlrev_b32_e32 v10, 3, v28
	v_add3_u32 v33, v3, v5, v10
	v_lshlrev_b32_e32 v3, 3, v26
	v_lshlrev_b32_e32 v5, 3, v34
	v_lshlrev_b32_e32 v10, 3, v31
	v_add3_u32 v34, v3, v5, v10
	v_lshlrev_b32_e32 v3, 3, v9
	v_lshlrev_b32_e32 v5, 3, v37
	v_lshlrev_b32_e32 v9, 3, v35
	v_add3_u32 v35, v3, v5, v9
	v_lshlrev_b32_e32 v3, 3, v7
	v_lshlrev_b32_e32 v5, 3, v39
	v_lshlrev_b32_e32 v7, 3, v38
	v_add3_u32 v36, v3, v5, v7
	v_mov_b32_e32 v11, 0
	ds_write_b64 v33, v[16:17] offset:512
	ds_write_b64 v34, v[14:15] offset:512
	;; [unrolled: 1-line block ×4, first 2 shown]
	s_waitcnt lgkmcnt(0)
	s_barrier
	s_and_saveexec_b64 s[16:17], s[14:15]
	s_cbranch_execz .LBB111_45
; %bb.36:
	v_lshl_add_u32 v10, s2, 6, v8
	v_lshl_add_u64 v[12:13], v[10:11], 2, s[34:35]
	v_or_b32_e32 v3, 2.0, v24
	global_store_dword v[12:13], v3, off sc1
	s_mov_b64 s[18:19], 0
	s_brev_b32 s24, -4
	s_mov_b32 s25, s2
	v_mov_b32_e32 v3, 0
                                        ; implicit-def: $sgpr14_sgpr15
	s_branch .LBB111_39
.LBB111_37:                             ;   in Loop: Header=BB111_39 Depth=1
	s_or_b64 exec, exec, s[22:23]
.LBB111_38:                             ;   in Loop: Header=BB111_39 Depth=1
	s_or_b64 exec, exec, s[20:21]
	v_and_b32_e32 v7, 0x3fffffff, v5
	v_add_u32_e32 v3, v7, v3
	v_cmp_gt_i32_e64 s[14:15], -2.0, v5
	s_and_b64 s[20:21], exec, s[14:15]
	s_or_b64 s[18:19], s[20:21], s[18:19]
	s_andn2_b64 exec, exec, s[18:19]
	s_cbranch_execz .LBB111_44
.LBB111_39:                             ; =>This Loop Header: Depth=1
                                        ;     Child Loop BB111_42 Depth 2
	s_or_b64 s[14:15], s[14:15], exec
	s_cmp_eq_u32 s25, 0
	s_cbranch_scc1 .LBB111_43
; %bb.40:                               ;   in Loop: Header=BB111_39 Depth=1
	s_add_i32 s25, s25, -1
	v_lshl_or_b32 v10, s25, 6, v8
	v_lshl_add_u64 v[14:15], v[10:11], 2, s[34:35]
	global_load_dword v5, v[14:15], off sc1
	s_waitcnt vmcnt(0)
	v_cmp_gt_u32_e64 s[14:15], 2.0, v5
	s_and_saveexec_b64 s[20:21], s[14:15]
	s_cbranch_execz .LBB111_38
; %bb.41:                               ;   in Loop: Header=BB111_39 Depth=1
	s_mov_b64 s[22:23], 0
.LBB111_42:                             ;   Parent Loop BB111_39 Depth=1
                                        ; =>  This Inner Loop Header: Depth=2
	global_load_dword v5, v[14:15], off sc1
	s_waitcnt vmcnt(0)
	v_cmp_lt_u32_e64 s[14:15], s24, v5
	s_or_b64 s[22:23], s[14:15], s[22:23]
	s_andn2_b64 exec, exec, s[22:23]
	s_cbranch_execnz .LBB111_42
	s_branch .LBB111_37
.LBB111_43:                             ;   in Loop: Header=BB111_39 Depth=1
                                        ; implicit-def: $sgpr25
	s_and_b64 s[20:21], exec, s[14:15]
	s_or_b64 s[18:19], s[20:21], s[18:19]
	s_andn2_b64 exec, exec, s[18:19]
	s_cbranch_execnz .LBB111_39
.LBB111_44:
	s_or_b64 exec, exec, s[18:19]
	v_add_u32_e32 v5, v3, v24
	v_or_b32_e32 v5, 0x80000000, v5
	global_store_dword v[12:13], v5, off sc1
	global_load_dwordx2 v[10:11], v2, s[28:29]
	v_sub_co_u32_e64 v12, s[14:15], v3, v22
	s_nop 1
	v_subb_co_u32_e64 v13, s[14:15], 0, v23, s[14:15]
	s_waitcnt vmcnt(0)
	v_lshl_add_u64 v[10:11], v[12:13], 0, v[10:11]
	ds_write_b64 v2, v[10:11]
.LBB111_45:
	s_or_b64 exec, exec, s[16:17]
	v_cmp_gt_u32_e64 s[14:15], s49, v8
	s_waitcnt lgkmcnt(0)
	s_barrier
	s_and_saveexec_b64 s[16:17], s[14:15]
	s_cbranch_execz .LBB111_47
; %bb.46:
	ds_read_b64 v[10:11], v2 offset:512
	s_waitcnt lgkmcnt(0)
	v_lshrrev_b64 v[12:13], s44, v[10:11]
	v_and_b32_e32 v3, s33, v12
	v_lshlrev_b32_e32 v3, 3, v3
	ds_read_b64 v[12:13], v3
	v_mov_b32_e32 v3, 0
	v_xor_b32_e32 v11, 0x7fffffff, v11
	v_not_b32_e32 v10, v10
	s_waitcnt lgkmcnt(0)
	v_lshl_add_u64 v[12:13], v[12:13], 3, s[38:39]
	v_lshl_add_u64 v[12:13], v[12:13], 0, v[2:3]
	global_store_dwordx2 v[12:13], v[10:11], off
.LBB111_47:
	s_or_b64 exec, exec, s[16:17]
	v_or_b32_e32 v3, 0x400, v8
	v_cmp_gt_u32_e64 s[16:17], s49, v3
	v_lshlrev_b32_e32 v10, 3, v3
	s_and_saveexec_b64 s[18:19], s[16:17]
	s_cbranch_execz .LBB111_49
; %bb.48:
	ds_read_b64 v[12:13], v2 offset:8704
	v_mov_b32_e32 v11, 0
	s_waitcnt lgkmcnt(0)
	v_lshrrev_b64 v[14:15], s44, v[12:13]
	v_and_b32_e32 v3, s33, v14
	v_lshlrev_b32_e32 v3, 3, v3
	ds_read_b64 v[14:15], v3
	v_xor_b32_e32 v13, 0x7fffffff, v13
	v_not_b32_e32 v12, v12
	s_waitcnt lgkmcnt(0)
	v_lshl_add_u64 v[14:15], v[14:15], 3, s[38:39]
	v_lshl_add_u64 v[14:15], v[14:15], 0, v[10:11]
	global_store_dwordx2 v[14:15], v[12:13], off
.LBB111_49:
	s_or_b64 exec, exec, s[18:19]
	v_or_b32_e32 v3, 0x800, v8
	v_cmp_gt_u32_e64 s[18:19], s49, v3
	v_lshlrev_b32_e32 v12, 3, v3
	s_and_saveexec_b64 s[20:21], s[18:19]
	s_cbranch_execz .LBB111_51
; %bb.50:
	ds_read_b64 v[14:15], v2 offset:16896
	v_mov_b32_e32 v13, 0
	s_waitcnt lgkmcnt(0)
	v_lshrrev_b64 v[16:17], s44, v[14:15]
	v_and_b32_e32 v3, s33, v16
	v_lshlrev_b32_e32 v3, 3, v3
	ds_read_b64 v[16:17], v3
	v_xor_b32_e32 v15, 0x7fffffff, v15
	v_not_b32_e32 v14, v14
	s_waitcnt lgkmcnt(0)
	v_lshl_add_u64 v[16:17], v[16:17], 3, s[38:39]
	v_lshl_add_u64 v[16:17], v[16:17], 0, v[12:13]
	global_store_dwordx2 v[16:17], v[14:15], off
.LBB111_51:
	;; [unrolled: 21-line block ×5, first 2 shown]
	s_or_b64 exec, exec, s[50:51]
	s_add_u32 s46, s40, s46
	s_addc_u32 s47, s41, s47
	v_mov_b32_e32 v5, 0
	v_lshl_add_u64 v[18:19], s[46:47], 0, v[4:5]
	v_mov_b32_e32 v7, v5
	v_lshl_add_u64 v[30:31], v[18:19], 0, v[6:7]
                                        ; implicit-def: $vgpr4_vgpr5
	s_and_saveexec_b64 s[46:47], vcc
	s_xor_b64 s[46:47], exec, s[46:47]
	s_cbranch_execz .LBB111_63
; %bb.58:
	global_load_dwordx2 v[4:5], v[30:31], off
	s_or_b64 exec, exec, s[46:47]
                                        ; implicit-def: $vgpr6_vgpr7
	s_and_saveexec_b64 s[46:47], s[26:27]
	s_cbranch_execnz .LBB111_64
.LBB111_59:
	s_or_b64 exec, exec, s[46:47]
                                        ; implicit-def: $vgpr18_vgpr19
	s_and_saveexec_b64 s[26:27], s[4:5]
	s_cbranch_execz .LBB111_65
.LBB111_60:
	global_load_dwordx2 v[18:19], v[30:31], off offset:1024
	s_or_b64 exec, exec, s[26:27]
                                        ; implicit-def: $vgpr20_vgpr21
	s_and_saveexec_b64 s[4:5], s[6:7]
	s_cbranch_execnz .LBB111_66
.LBB111_61:
	s_or_b64 exec, exec, s[4:5]
                                        ; implicit-def: $vgpr26_vgpr27
	s_and_saveexec_b64 s[4:5], s[8:9]
	s_cbranch_execz .LBB111_67
.LBB111_62:
	global_load_dwordx2 v[26:27], v[30:31], off offset:2048
	s_or_b64 exec, exec, s[4:5]
                                        ; implicit-def: $vgpr28_vgpr29
	s_and_saveexec_b64 s[4:5], s[10:11]
	s_cbranch_execnz .LBB111_68
	s_branch .LBB111_69
.LBB111_63:
	s_or_b64 exec, exec, s[46:47]
                                        ; implicit-def: $vgpr6_vgpr7
	s_and_saveexec_b64 s[46:47], s[26:27]
	s_cbranch_execz .LBB111_59
.LBB111_64:
	global_load_dwordx2 v[6:7], v[30:31], off offset:512
	s_or_b64 exec, exec, s[46:47]
                                        ; implicit-def: $vgpr18_vgpr19
	s_and_saveexec_b64 s[26:27], s[4:5]
	s_cbranch_execnz .LBB111_60
.LBB111_65:
	s_or_b64 exec, exec, s[26:27]
                                        ; implicit-def: $vgpr20_vgpr21
	s_and_saveexec_b64 s[4:5], s[6:7]
	s_cbranch_execz .LBB111_61
.LBB111_66:
	global_load_dwordx2 v[20:21], v[30:31], off offset:1536
	s_or_b64 exec, exec, s[4:5]
                                        ; implicit-def: $vgpr26_vgpr27
	s_and_saveexec_b64 s[4:5], s[8:9]
	s_cbranch_execnz .LBB111_62
.LBB111_67:
	s_or_b64 exec, exec, s[4:5]
                                        ; implicit-def: $vgpr28_vgpr29
	s_and_saveexec_b64 s[4:5], s[10:11]
	s_cbranch_execz .LBB111_69
.LBB111_68:
	global_load_dwordx2 v[28:29], v[30:31], off offset:2560
.LBB111_69:
	s_or_b64 exec, exec, s[4:5]
	v_mov_b32_e32 v11, 0
	v_mov_b32_e32 v3, 0
	s_and_saveexec_b64 s[4:5], s[14:15]
	s_cbranch_execz .LBB111_71
; %bb.70:
	ds_read_b64 v[30:31], v2 offset:512
	s_waitcnt lgkmcnt(0)
	v_lshrrev_b64 v[30:31], s44, v[30:31]
	v_and_b32_e32 v3, s33, v30
.LBB111_71:
	s_or_b64 exec, exec, s[4:5]
	s_and_saveexec_b64 s[4:5], s[16:17]
	s_cbranch_execz .LBB111_73
; %bb.72:
	ds_read_b64 v[30:31], v2 offset:8704
	s_waitcnt lgkmcnt(0)
	v_lshrrev_b64 v[30:31], s44, v[30:31]
	v_and_b32_e32 v11, s33, v30
.LBB111_73:
	s_or_b64 exec, exec, s[4:5]
	v_mov_b32_e32 v15, 0
	v_mov_b32_e32 v13, 0
	s_and_saveexec_b64 s[4:5], s[18:19]
	s_cbranch_execz .LBB111_75
; %bb.74:
	ds_read_b64 v[30:31], v2 offset:16896
	s_waitcnt lgkmcnt(0)
	v_lshrrev_b64 v[30:31], s44, v[30:31]
	v_and_b32_e32 v13, s33, v30
.LBB111_75:
	s_or_b64 exec, exec, s[4:5]
	s_and_saveexec_b64 s[4:5], s[20:21]
	s_cbranch_execz .LBB111_77
; %bb.76:
	ds_read_b64 v[30:31], v2 offset:25088
	s_waitcnt lgkmcnt(0)
	v_lshrrev_b64 v[30:31], s44, v[30:31]
	v_and_b32_e32 v15, s33, v30
.LBB111_77:
	;; [unrolled: 20-line block ×3, first 2 shown]
	s_or_b64 exec, exec, s[4:5]
	s_barrier
	s_waitcnt vmcnt(0)
	ds_write_b64 v25, v[4:5] offset:512
	ds_write_b64 v32, v[6:7] offset:512
	;; [unrolled: 1-line block ×6, first 2 shown]
	s_waitcnt lgkmcnt(0)
	s_barrier
	s_and_saveexec_b64 s[4:5], s[14:15]
	s_cbranch_execz .LBB111_87
; %bb.82:
	v_lshlrev_b32_e32 v3, 3, v3
	ds_read_b64 v[4:5], v3
	ds_read_b64 v[6:7], v2 offset:512
	v_mov_b32_e32 v3, 0
	s_waitcnt lgkmcnt(1)
	v_lshl_add_u64 v[4:5], v[4:5], 3, s[42:43]
	v_lshl_add_u64 v[4:5], v[4:5], 0, v[2:3]
	s_waitcnt lgkmcnt(0)
	global_store_dwordx2 v[4:5], v[6:7], off
	s_or_b64 exec, exec, s[4:5]
	s_and_saveexec_b64 s[4:5], s[16:17]
	s_cbranch_execnz .LBB111_88
.LBB111_83:
	s_or_b64 exec, exec, s[4:5]
	s_and_saveexec_b64 s[4:5], s[18:19]
	s_cbranch_execz .LBB111_89
.LBB111_84:
	v_lshlrev_b32_e32 v3, 3, v13
	ds_read_b64 v[4:5], v3
	ds_read_b64 v[6:7], v2 offset:16896
	v_mov_b32_e32 v13, 0
	s_waitcnt lgkmcnt(1)
	v_lshl_add_u64 v[4:5], v[4:5], 3, s[42:43]
	v_lshl_add_u64 v[4:5], v[4:5], 0, v[12:13]
	s_waitcnt lgkmcnt(0)
	global_store_dwordx2 v[4:5], v[6:7], off
	s_or_b64 exec, exec, s[4:5]
	s_and_saveexec_b64 s[4:5], s[20:21]
	s_cbranch_execnz .LBB111_90
.LBB111_85:
	s_or_b64 exec, exec, s[4:5]
	s_and_saveexec_b64 s[4:5], s[22:23]
	s_cbranch_execz .LBB111_91
.LBB111_86:
	v_lshlrev_b32_e32 v3, 3, v17
	ds_read_b64 v[4:5], v3
	ds_read_b64 v[6:7], v2 offset:33280
	v_mov_b32_e32 v17, 0
	s_waitcnt lgkmcnt(1)
	v_lshl_add_u64 v[4:5], v[4:5], 3, s[42:43]
	v_lshl_add_u64 v[4:5], v[4:5], 0, v[16:17]
	s_waitcnt lgkmcnt(0)
	global_store_dwordx2 v[4:5], v[6:7], off
	s_or_b64 exec, exec, s[4:5]
	s_and_saveexec_b64 s[4:5], s[24:25]
	s_cbranch_execnz .LBB111_92
	s_branch .LBB111_93
.LBB111_87:
	s_or_b64 exec, exec, s[4:5]
	s_and_saveexec_b64 s[4:5], s[16:17]
	s_cbranch_execz .LBB111_83
.LBB111_88:
	v_lshlrev_b32_e32 v3, 3, v11
	ds_read_b64 v[4:5], v3
	ds_read_b64 v[6:7], v2 offset:8704
	v_mov_b32_e32 v11, 0
	s_waitcnt lgkmcnt(1)
	v_lshl_add_u64 v[4:5], v[4:5], 3, s[42:43]
	v_lshl_add_u64 v[4:5], v[4:5], 0, v[10:11]
	s_waitcnt lgkmcnt(0)
	global_store_dwordx2 v[4:5], v[6:7], off
	s_or_b64 exec, exec, s[4:5]
	s_and_saveexec_b64 s[4:5], s[18:19]
	s_cbranch_execnz .LBB111_84
.LBB111_89:
	s_or_b64 exec, exec, s[4:5]
	s_and_saveexec_b64 s[4:5], s[20:21]
	s_cbranch_execz .LBB111_85
.LBB111_90:
	v_lshlrev_b32_e32 v3, 3, v15
	ds_read_b64 v[4:5], v3
	ds_read_b64 v[6:7], v2 offset:25088
	v_mov_b32_e32 v15, 0
	s_waitcnt lgkmcnt(1)
	v_lshl_add_u64 v[4:5], v[4:5], 3, s[42:43]
	v_lshl_add_u64 v[4:5], v[4:5], 0, v[14:15]
	s_waitcnt lgkmcnt(0)
	global_store_dwordx2 v[4:5], v[6:7], off
	s_or_b64 exec, exec, s[4:5]
	s_and_saveexec_b64 s[4:5], s[22:23]
	s_cbranch_execnz .LBB111_86
.LBB111_91:
	s_or_b64 exec, exec, s[4:5]
	s_and_saveexec_b64 s[4:5], s[24:25]
	s_cbranch_execz .LBB111_93
.LBB111_92:
	v_lshlrev_b32_e32 v3, 3, v9
	ds_read_b64 v[4:5], v3
	ds_read_b64 v[6:7], v2 offset:41472
	v_mov_b32_e32 v9, 0
	s_waitcnt lgkmcnt(1)
	v_lshl_add_u64 v[4:5], v[4:5], 3, s[42:43]
	v_lshl_add_u64 v[4:5], v[4:5], 0, v[8:9]
	s_waitcnt lgkmcnt(0)
	global_store_dwordx2 v[4:5], v[6:7], off
.LBB111_93:
	s_or_b64 exec, exec, s[4:5]
	s_add_i32 s3, s3, -1
	s_cmp_eq_u32 s2, s3
	s_cselect_b64 s[4:5], -1, 0
	s_xor_b64 s[6:7], s[12:13], -1
	s_and_b64 s[6:7], s[6:7], s[4:5]
	s_and_saveexec_b64 s[4:5], s[6:7]
	s_cbranch_execz .LBB111_95
; %bb.94:
	ds_read_b64 v[4:5], v2
	v_mov_b32_e32 v25, 0
	v_lshl_add_u64 v[6:7], v[22:23], 0, v[24:25]
	s_waitcnt lgkmcnt(0)
	v_lshl_add_u64 v[4:5], v[6:7], 0, v[4:5]
	global_store_dwordx2 v2, v[4:5], s[30:31]
.LBB111_95:
	s_or_b64 exec, exec, s[4:5]
	s_mov_b64 s[4:5], 0
.LBB111_96:
	s_and_b64 vcc, exec, s[4:5]
	s_cbranch_vccz .LBB111_131
; %bb.97:
	s_mov_b32 s49, 0
	s_lshl_b64 s[10:11], s[48:49], 3
	s_add_u32 s4, s36, s10
	v_mbcnt_hi_u32_b32 v1, -1, v1
	v_and_b32_e32 v2, 0x3c0, v0
	v_mov_b32_e32 v13, 0
	s_addc_u32 s5, s37, s11
	v_mul_u32_u24_e32 v4, 6, v2
	v_lshlrev_b32_e32 v2, 3, v1
	v_mov_b32_e32 v3, v13
	v_lshl_add_u64 v[6:7], s[4:5], 0, v[2:3]
	v_lshlrev_b32_e32 v4, 3, v4
	v_mov_b32_e32 v5, v13
	v_lshl_add_u64 v[8:9], v[6:7], 0, v[4:5]
	global_load_dwordx2 v[22:23], v[8:9], off
	s_load_dword s4, s[0:1], 0x5c
	s_load_dword s3, s[0:1], 0x50
	s_add_u32 s0, s0, 0x50
	s_addc_u32 s1, s1, 0
	v_and_b32_e32 v6, 0x3ff, v0
	s_waitcnt lgkmcnt(0)
	s_lshr_b32 s4, s4, 16
	s_cmp_lt_u32 s2, s3
	s_cselect_b32 s5, 12, 18
	s_add_u32 s0, s0, s5
	s_addc_u32 s1, s1, 0
	global_load_ushort v3, v13, s[0:1]
	global_load_dwordx2 v[10:11], v[8:9], off offset:512
	global_load_dwordx2 v[20:21], v[8:9], off offset:1024
	;; [unrolled: 1-line block ×5, first 2 shown]
	v_bfe_u32 v5, v0, 10, 10
	v_bfe_u32 v7, v0, 20, 10
	s_lshl_b32 s0, -1, s45
	v_lshlrev_b32_e32 v0, 3, v6
	v_mov_b32_e32 v12, v13
	v_mad_u32_u24 v5, v7, s4, v5
	ds_write_b64 v0, v[12:13] offset:64
	v_mov_b32_e32 v24, v13
	s_not_b32 s14, s0
	s_movk_i32 s12, 0x44
	v_mov_b32_e32 v26, v13
	v_mov_b32_e32 v28, v13
	;; [unrolled: 1-line block ×4, first 2 shown]
	s_waitcnt lgkmcnt(0)
	s_barrier
	s_waitcnt vmcnt(6)
	; wave barrier
	v_xor_b32_e32 v9, 0x7fffffff, v23
	v_not_b32_e32 v8, v22
	v_lshrrev_b64 v[22:23], s44, v[8:9]
	v_bitop3_b32 v7, v22, s0, v22 bitop3:0x30
	v_and_b32_e32 v12, 1, v7
	v_lshlrev_b32_e32 v25, 30, v7
	v_lshlrev_b32_e32 v27, 29, v7
	v_lshl_add_u64 v[34:35], v[12:13], 0, -1
	v_cmp_ne_u32_e32 vcc, 0, v12
	v_lshlrev_b32_e32 v29, 28, v7
	s_waitcnt vmcnt(5)
	v_mad_u64_u32 v[22:23], s[0:1], v5, v3, v[6:7]
	v_not_b32_e32 v3, v25
	v_cmp_gt_i64_e64 s[0:1], 0, v[24:25]
	v_not_b32_e32 v5, v27
	v_xor_b32_e32 v23, vcc_lo, v34
	v_ashrrev_i32_e32 v3, 31, v3
	v_mul_lo_u32 v36, v7, s12
	v_lshlrev_b32_e32 v31, 27, v7
	v_lshlrev_b32_e32 v33, 26, v7
	v_cmp_gt_i64_e64 s[4:5], 0, v[26:27]
	v_not_b32_e32 v7, v29
	v_ashrrev_i32_e32 v24, 31, v5
	v_and_b32_e32 v23, exec_lo, v23
	v_xor_b32_e32 v25, s1, v3
	v_xor_b32_e32 v3, s0, v3
	v_cmp_gt_i64_e64 s[6:7], 0, v[28:29]
	v_cmp_gt_i64_e64 s[8:9], 0, v[30:31]
	v_not_b32_e32 v12, v31
	v_lshrrev_b32_e32 v30, 6, v22
	v_xor_b32_e32 v22, vcc_hi, v35
	v_ashrrev_i32_e32 v7, 31, v7
	v_xor_b32_e32 v26, s5, v24
	v_xor_b32_e32 v24, s4, v24
	v_and_b32_e32 v3, v23, v3
	v_ashrrev_i32_e32 v12, 31, v12
	v_and_b32_e32 v22, exec_hi, v22
	v_xor_b32_e32 v27, s7, v7
	v_xor_b32_e32 v7, s6, v7
	v_and_b32_e32 v3, v3, v24
	v_xor_b32_e32 v28, s9, v12
	v_xor_b32_e32 v12, s8, v12
	v_and_b32_e32 v22, v22, v25
	v_and_b32_e32 v3, v3, v7
	;; [unrolled: 1-line block ×4, first 2 shown]
	v_not_b32_e32 v12, v33
	v_and_b32_e32 v22, v22, v27
	v_cmp_gt_i64_e32 vcc, 0, v[32:33]
	v_ashrrev_i32_e32 v12, 31, v12
	v_and_b32_e32 v7, v22, v28
	v_xor_b32_e32 v22, vcc_hi, v12
	v_xor_b32_e32 v12, vcc_lo, v12
	v_and_b32_e32 v23, v7, v22
	v_and_b32_e32 v22, v3, v12
	v_mbcnt_lo_u32_b32 v3, v22, 0
	v_mbcnt_hi_u32_b32 v3, v23, v3
	v_cmp_eq_u32_e32 vcc, 0, v3
	v_cmp_ne_u64_e64 s[0:1], 0, v[22:23]
	v_lshl_add_u32 v5, v30, 2, v36
	s_and_b64 s[4:5], s[0:1], vcc
	s_and_saveexec_b64 s[0:1], s[4:5]
; %bb.98:
	v_bcnt_u32_b32 v7, v22, 0
	v_bcnt_u32_b32 v7, v23, v7
	ds_write_b32 v5, v7 offset:64
; %bb.99:
	s_or_b64 exec, exec, s[0:1]
	s_waitcnt vmcnt(4)
	v_xor_b32_e32 v11, 0x7fffffff, v11
	v_not_b32_e32 v10, v10
	v_lshrrev_b64 v[22:23], s44, v[10:11]
	v_and_b32_e32 v25, s14, v22
	v_and_b32_e32 v12, 1, v25
	v_lshl_add_u64 v[22:23], v[12:13], 0, -1
	v_cmp_ne_u32_e32 vcc, 0, v12
	v_mul_lo_u32 v7, v25, s12
	v_lshl_add_u32 v24, v30, 2, v7
	v_xor_b32_e32 v22, vcc_lo, v22
	v_xor_b32_e32 v12, vcc_hi, v23
	v_and_b32_e32 v26, exec_lo, v22
	v_lshlrev_b32_e32 v23, 30, v25
	v_mov_b32_e32 v22, v13
	v_cmp_gt_i64_e32 vcc, 0, v[22:23]
	v_not_b32_e32 v22, v23
	v_ashrrev_i32_e32 v22, 31, v22
	v_and_b32_e32 v12, exec_hi, v12
	v_xor_b32_e32 v23, vcc_hi, v22
	v_xor_b32_e32 v22, vcc_lo, v22
	v_and_b32_e32 v12, v12, v23
	v_and_b32_e32 v26, v26, v22
	v_lshlrev_b32_e32 v23, 29, v25
	v_mov_b32_e32 v22, v13
	v_cmp_gt_i64_e32 vcc, 0, v[22:23]
	v_not_b32_e32 v22, v23
	v_ashrrev_i32_e32 v22, 31, v22
	v_xor_b32_e32 v23, vcc_hi, v22
	v_xor_b32_e32 v22, vcc_lo, v22
	v_and_b32_e32 v12, v12, v23
	v_and_b32_e32 v26, v26, v22
	v_lshlrev_b32_e32 v23, 28, v25
	v_mov_b32_e32 v22, v13
	v_cmp_gt_i64_e32 vcc, 0, v[22:23]
	v_not_b32_e32 v22, v23
	v_ashrrev_i32_e32 v22, 31, v22
	;; [unrolled: 9-line block ×3, first 2 shown]
	v_xor_b32_e32 v23, vcc_hi, v22
	v_xor_b32_e32 v22, vcc_lo, v22
	v_and_b32_e32 v12, v12, v23
	v_lshlrev_b32_e32 v23, 26, v25
	v_and_b32_e32 v26, v26, v22
	v_mov_b32_e32 v22, v13
	v_not_b32_e32 v13, v23
	v_cmp_gt_i64_e32 vcc, 0, v[22:23]
	v_ashrrev_i32_e32 v13, 31, v13
	s_nop 0
	v_xor_b32_e32 v22, vcc_hi, v13
	v_xor_b32_e32 v23, vcc_lo, v13
	; wave barrier
	ds_read_b32 v7, v24 offset:64
	v_and_b32_e32 v13, v12, v22
	v_and_b32_e32 v12, v26, v23
	v_mbcnt_lo_u32_b32 v22, v12, 0
	v_mbcnt_hi_u32_b32 v25, v13, v22
	v_cmp_eq_u32_e32 vcc, 0, v25
	v_cmp_ne_u64_e64 s[0:1], 0, v[12:13]
	s_and_b64 s[4:5], s[0:1], vcc
	; wave barrier
	s_and_saveexec_b64 s[0:1], s[4:5]
	s_cbranch_execz .LBB111_101
; %bb.100:
	v_bcnt_u32_b32 v12, v12, 0
	v_bcnt_u32_b32 v12, v13, v12
	s_waitcnt lgkmcnt(0)
	v_add_u32_e32 v12, v7, v12
	ds_write_b32 v24, v12 offset:64
.LBB111_101:
	s_or_b64 exec, exec, s[0:1]
	s_waitcnt vmcnt(3)
	v_xor_b32_e32 v13, 0x7fffffff, v21
	v_not_b32_e32 v12, v20
	v_lshrrev_b64 v[20:21], s44, v[12:13]
	v_and_b32_e32 v28, s14, v20
	s_movk_i32 s4, 0x44
	v_mul_lo_u32 v20, v28, s4
	v_lshl_add_u32 v27, v30, 2, v20
	v_and_b32_e32 v20, 1, v28
	v_mov_b32_e32 v21, 0
	v_lshl_add_u64 v[22:23], v[20:21], 0, -1
	v_cmp_ne_u32_e32 vcc, 0, v20
	; wave barrier
	s_nop 1
	v_xor_b32_e32 v22, vcc_lo, v22
	v_xor_b32_e32 v20, vcc_hi, v23
	v_and_b32_e32 v29, exec_lo, v22
	v_lshlrev_b32_e32 v23, 30, v28
	v_mov_b32_e32 v22, v21
	v_cmp_gt_i64_e32 vcc, 0, v[22:23]
	v_not_b32_e32 v22, v23
	v_ashrrev_i32_e32 v22, 31, v22
	v_and_b32_e32 v20, exec_hi, v20
	v_xor_b32_e32 v23, vcc_hi, v22
	v_xor_b32_e32 v22, vcc_lo, v22
	v_and_b32_e32 v20, v20, v23
	v_and_b32_e32 v29, v29, v22
	v_lshlrev_b32_e32 v23, 29, v28
	v_mov_b32_e32 v22, v21
	v_cmp_gt_i64_e32 vcc, 0, v[22:23]
	v_not_b32_e32 v22, v23
	v_ashrrev_i32_e32 v22, 31, v22
	v_xor_b32_e32 v23, vcc_hi, v22
	v_xor_b32_e32 v22, vcc_lo, v22
	v_and_b32_e32 v20, v20, v23
	v_and_b32_e32 v29, v29, v22
	v_lshlrev_b32_e32 v23, 28, v28
	v_mov_b32_e32 v22, v21
	v_cmp_gt_i64_e32 vcc, 0, v[22:23]
	v_not_b32_e32 v22, v23
	v_ashrrev_i32_e32 v22, 31, v22
	;; [unrolled: 9-line block ×4, first 2 shown]
	v_xor_b32_e32 v23, vcc_hi, v22
	v_xor_b32_e32 v22, vcc_lo, v22
	ds_read_b32 v26, v27 offset:64
	v_and_b32_e32 v22, v29, v22
	v_and_b32_e32 v23, v20, v23
	v_mbcnt_lo_u32_b32 v20, v22, 0
	v_mbcnt_hi_u32_b32 v28, v23, v20
	v_cmp_eq_u32_e32 vcc, 0, v28
	v_cmp_ne_u64_e64 s[0:1], 0, v[22:23]
	s_and_b64 s[6:7], s[0:1], vcc
	; wave barrier
	s_and_saveexec_b64 s[0:1], s[6:7]
	s_cbranch_execz .LBB111_103
; %bb.102:
	v_bcnt_u32_b32 v20, v22, 0
	v_bcnt_u32_b32 v20, v23, v20
	s_waitcnt lgkmcnt(0)
	v_add_u32_e32 v20, v26, v20
	ds_write_b32 v27, v20 offset:64
.LBB111_103:
	s_or_b64 exec, exec, s[0:1]
	s_waitcnt vmcnt(2)
	v_xor_b32_e32 v17, 0x7fffffff, v17
	v_not_b32_e32 v16, v16
	v_lshrrev_b64 v[22:23], s44, v[16:17]
	v_and_b32_e32 v32, s14, v22
	v_mul_lo_u32 v20, v32, s4
	v_lshl_add_u32 v31, v30, 2, v20
	v_and_b32_e32 v20, 1, v32
	v_lshl_add_u64 v[22:23], v[20:21], 0, -1
	v_cmp_ne_u32_e32 vcc, 0, v20
	; wave barrier
	s_nop 1
	v_xor_b32_e32 v22, vcc_lo, v22
	v_xor_b32_e32 v20, vcc_hi, v23
	v_and_b32_e32 v33, exec_lo, v22
	v_lshlrev_b32_e32 v23, 30, v32
	v_mov_b32_e32 v22, v21
	v_cmp_gt_i64_e32 vcc, 0, v[22:23]
	v_not_b32_e32 v22, v23
	v_ashrrev_i32_e32 v22, 31, v22
	v_and_b32_e32 v20, exec_hi, v20
	v_xor_b32_e32 v23, vcc_hi, v22
	v_xor_b32_e32 v22, vcc_lo, v22
	v_and_b32_e32 v20, v20, v23
	v_and_b32_e32 v33, v33, v22
	v_lshlrev_b32_e32 v23, 29, v32
	v_mov_b32_e32 v22, v21
	v_cmp_gt_i64_e32 vcc, 0, v[22:23]
	v_not_b32_e32 v22, v23
	v_ashrrev_i32_e32 v22, 31, v22
	v_xor_b32_e32 v23, vcc_hi, v22
	v_xor_b32_e32 v22, vcc_lo, v22
	v_and_b32_e32 v20, v20, v23
	v_and_b32_e32 v33, v33, v22
	v_lshlrev_b32_e32 v23, 28, v32
	v_mov_b32_e32 v22, v21
	v_cmp_gt_i64_e32 vcc, 0, v[22:23]
	v_not_b32_e32 v22, v23
	v_ashrrev_i32_e32 v22, 31, v22
	;; [unrolled: 9-line block ×3, first 2 shown]
	v_xor_b32_e32 v23, vcc_hi, v22
	v_xor_b32_e32 v22, vcc_lo, v22
	v_and_b32_e32 v20, v20, v23
	v_lshlrev_b32_e32 v23, 26, v32
	v_and_b32_e32 v33, v33, v22
	v_mov_b32_e32 v22, v21
	v_not_b32_e32 v21, v23
	v_cmp_gt_i64_e32 vcc, 0, v[22:23]
	v_ashrrev_i32_e32 v21, 31, v21
	ds_read_b32 v29, v31 offset:64
	v_xor_b32_e32 v22, vcc_hi, v21
	v_xor_b32_e32 v23, vcc_lo, v21
	v_and_b32_e32 v21, v20, v22
	v_and_b32_e32 v20, v33, v23
	v_mbcnt_lo_u32_b32 v22, v20, 0
	v_mbcnt_hi_u32_b32 v32, v21, v22
	v_cmp_eq_u32_e32 vcc, 0, v32
	v_cmp_ne_u64_e64 s[0:1], 0, v[20:21]
	s_and_b64 s[4:5], s[0:1], vcc
	; wave barrier
	s_and_saveexec_b64 s[0:1], s[4:5]
	s_cbranch_execz .LBB111_105
; %bb.104:
	v_bcnt_u32_b32 v20, v20, 0
	v_bcnt_u32_b32 v20, v21, v20
	s_waitcnt lgkmcnt(0)
	v_add_u32_e32 v20, v29, v20
	ds_write_b32 v31, v20 offset:64
.LBB111_105:
	s_or_b64 exec, exec, s[0:1]
	s_waitcnt vmcnt(1)
	v_xor_b32_e32 v21, 0x7fffffff, v19
	v_not_b32_e32 v20, v18
	v_lshrrev_b64 v[18:19], s44, v[20:21]
	v_and_b32_e32 v35, s14, v18
	s_movk_i32 s4, 0x44
	v_mul_lo_u32 v18, v35, s4
	v_lshl_add_u32 v34, v30, 2, v18
	v_and_b32_e32 v18, 1, v35
	v_mov_b32_e32 v19, 0
	v_lshl_add_u64 v[22:23], v[18:19], 0, -1
	v_cmp_ne_u32_e32 vcc, 0, v18
	; wave barrier
	s_nop 1
	v_xor_b32_e32 v22, vcc_lo, v22
	v_xor_b32_e32 v18, vcc_hi, v23
	v_and_b32_e32 v36, exec_lo, v22
	v_lshlrev_b32_e32 v23, 30, v35
	v_mov_b32_e32 v22, v19
	v_cmp_gt_i64_e32 vcc, 0, v[22:23]
	v_not_b32_e32 v22, v23
	v_ashrrev_i32_e32 v22, 31, v22
	v_and_b32_e32 v18, exec_hi, v18
	v_xor_b32_e32 v23, vcc_hi, v22
	v_xor_b32_e32 v22, vcc_lo, v22
	v_and_b32_e32 v18, v18, v23
	v_and_b32_e32 v36, v36, v22
	v_lshlrev_b32_e32 v23, 29, v35
	v_mov_b32_e32 v22, v19
	v_cmp_gt_i64_e32 vcc, 0, v[22:23]
	v_not_b32_e32 v22, v23
	v_ashrrev_i32_e32 v22, 31, v22
	v_xor_b32_e32 v23, vcc_hi, v22
	v_xor_b32_e32 v22, vcc_lo, v22
	v_and_b32_e32 v18, v18, v23
	v_and_b32_e32 v36, v36, v22
	v_lshlrev_b32_e32 v23, 28, v35
	v_mov_b32_e32 v22, v19
	v_cmp_gt_i64_e32 vcc, 0, v[22:23]
	v_not_b32_e32 v22, v23
	v_ashrrev_i32_e32 v22, 31, v22
	v_xor_b32_e32 v23, vcc_hi, v22
	v_xor_b32_e32 v22, vcc_lo, v22
	v_and_b32_e32 v18, v18, v23
	v_and_b32_e32 v36, v36, v22
	v_lshlrev_b32_e32 v23, 27, v35
	v_mov_b32_e32 v22, v19
	v_cmp_gt_i64_e32 vcc, 0, v[22:23]
	v_not_b32_e32 v22, v23
	v_ashrrev_i32_e32 v22, 31, v22
	v_xor_b32_e32 v23, vcc_hi, v22
	v_xor_b32_e32 v22, vcc_lo, v22
	v_and_b32_e32 v18, v18, v23
	v_and_b32_e32 v36, v36, v22
	v_lshlrev_b32_e32 v23, 26, v35
	v_mov_b32_e32 v22, v19
	v_cmp_gt_i64_e32 vcc, 0, v[22:23]
	v_not_b32_e32 v22, v23
	v_ashrrev_i32_e32 v22, 31, v22
	v_xor_b32_e32 v23, vcc_hi, v22
	v_xor_b32_e32 v22, vcc_lo, v22
	ds_read_b32 v33, v34 offset:64
	v_and_b32_e32 v22, v36, v22
	v_and_b32_e32 v23, v18, v23
	v_mbcnt_lo_u32_b32 v18, v22, 0
	v_mbcnt_hi_u32_b32 v35, v23, v18
	v_cmp_eq_u32_e32 vcc, 0, v35
	v_cmp_ne_u64_e64 s[0:1], 0, v[22:23]
	s_and_b64 s[6:7], s[0:1], vcc
	; wave barrier
	s_and_saveexec_b64 s[0:1], s[6:7]
	s_cbranch_execz .LBB111_107
; %bb.106:
	v_bcnt_u32_b32 v18, v22, 0
	v_bcnt_u32_b32 v18, v23, v18
	s_waitcnt lgkmcnt(0)
	v_add_u32_e32 v18, v33, v18
	ds_write_b32 v34, v18 offset:64
.LBB111_107:
	s_or_b64 exec, exec, s[0:1]
	s_waitcnt vmcnt(0)
	v_xor_b32_e32 v23, 0x7fffffff, v15
	v_not_b32_e32 v22, v14
	v_lshrrev_b64 v[14:15], s44, v[22:23]
	v_and_b32_e32 v36, s14, v14
	v_mul_lo_u32 v14, v36, s4
	v_and_b32_e32 v18, 1, v36
	v_lshl_add_u32 v37, v30, 2, v14
	v_lshl_add_u64 v[14:15], v[18:19], 0, -1
	v_cmp_ne_u32_e32 vcc, 0, v18
	; wave barrier
	s_nop 1
	v_xor_b32_e32 v15, vcc_hi, v15
	v_xor_b32_e32 v14, vcc_lo, v14
	v_and_b32_e32 v18, exec_hi, v15
	v_and_b32_e32 v38, exec_lo, v14
	v_lshlrev_b32_e32 v15, 30, v36
	v_mov_b32_e32 v14, v19
	v_cmp_gt_i64_e32 vcc, 0, v[14:15]
	v_not_b32_e32 v14, v15
	v_ashrrev_i32_e32 v14, 31, v14
	v_xor_b32_e32 v15, vcc_hi, v14
	v_xor_b32_e32 v14, vcc_lo, v14
	v_and_b32_e32 v18, v18, v15
	v_and_b32_e32 v38, v38, v14
	v_lshlrev_b32_e32 v15, 29, v36
	v_mov_b32_e32 v14, v19
	v_cmp_gt_i64_e32 vcc, 0, v[14:15]
	v_not_b32_e32 v14, v15
	v_ashrrev_i32_e32 v14, 31, v14
	v_xor_b32_e32 v15, vcc_hi, v14
	v_xor_b32_e32 v14, vcc_lo, v14
	v_and_b32_e32 v18, v18, v15
	v_and_b32_e32 v38, v38, v14
	;; [unrolled: 9-line block ×4, first 2 shown]
	v_lshlrev_b32_e32 v15, 26, v36
	v_mov_b32_e32 v14, v19
	v_cmp_gt_i64_e32 vcc, 0, v[14:15]
	v_not_b32_e32 v14, v15
	v_ashrrev_i32_e32 v14, 31, v14
	v_xor_b32_e32 v15, vcc_hi, v14
	v_xor_b32_e32 v14, vcc_lo, v14
	ds_read_b32 v30, v37 offset:64
	v_and_b32_e32 v14, v38, v14
	v_and_b32_e32 v15, v18, v15
	v_mbcnt_lo_u32_b32 v18, v14, 0
	v_mbcnt_hi_u32_b32 v36, v15, v18
	v_cmp_eq_u32_e32 vcc, 0, v36
	v_cmp_ne_u64_e64 s[0:1], 0, v[14:15]
	s_and_b64 s[4:5], s[0:1], vcc
	; wave barrier
	s_and_saveexec_b64 s[0:1], s[4:5]
	s_cbranch_execz .LBB111_109
; %bb.108:
	v_bcnt_u32_b32 v14, v14, 0
	v_bcnt_u32_b32 v14, v15, v14
	s_waitcnt lgkmcnt(0)
	v_add_u32_e32 v14, v30, v14
	ds_write_b32 v37, v14 offset:64
.LBB111_109:
	s_or_b64 exec, exec, s[0:1]
	; wave barrier
	s_waitcnt lgkmcnt(0)
	s_barrier
	ds_read_b64 v[14:15], v0 offset:64
	v_and_b32_e32 v18, 15, v1
	v_cmp_eq_u32_e32 vcc, 0, v18
	v_cmp_lt_u32_e64 s[0:1], 1, v18
	v_cmp_lt_u32_e64 s[6:7], 3, v18
	s_waitcnt lgkmcnt(0)
	v_add_u32_e32 v15, v15, v14
	v_cmp_lt_u32_e64 s[4:5], 7, v18
	v_cmp_lt_u32_e64 s[8:9], 31, v1
	v_mov_b32_dpp v19, v15 row_shr:1 row_mask:0xf bank_mask:0xf
	v_cndmask_b32_e64 v19, v19, 0, vcc
	v_add_u32_e32 v15, v19, v15
	s_nop 1
	v_mov_b32_dpp v19, v15 row_shr:2 row_mask:0xf bank_mask:0xf
	v_cndmask_b32_e64 v19, 0, v19, s[0:1]
	v_add_u32_e32 v15, v15, v19
	s_nop 1
	v_mov_b32_dpp v19, v15 row_shr:4 row_mask:0xf bank_mask:0xf
	v_cndmask_b32_e64 v19, 0, v19, s[6:7]
	;; [unrolled: 4-line block ×3, first 2 shown]
	v_add_u32_e32 v15, v15, v18
	v_bfe_i32 v19, v1, 4, 1
	s_nop 0
	v_mov_b32_dpp v18, v15 row_bcast:15 row_mask:0xf bank_mask:0xf
	v_and_b32_e32 v18, v19, v18
	v_add_u32_e32 v15, v15, v18
	v_and_b32_e32 v19, 63, v6
	s_nop 0
	v_mov_b32_dpp v18, v15 row_bcast:31 row_mask:0xf bank_mask:0xf
	v_cndmask_b32_e64 v18, 0, v18, s[8:9]
	v_add_u32_e32 v15, v15, v18
	v_lshrrev_b32_e32 v18, 6, v6
	v_cmp_eq_u32_e64 s[8:9], 63, v19
	s_and_saveexec_b64 s[12:13], s[8:9]
; %bb.110:
	v_lshlrev_b32_e32 v19, 2, v18
	ds_write_b32 v19, v15
; %bb.111:
	s_or_b64 exec, exec, s[12:13]
	v_cmp_gt_u32_e64 s[8:9], 16, v6
	s_waitcnt lgkmcnt(0)
	s_barrier
	s_and_saveexec_b64 s[12:13], s[8:9]
	s_cbranch_execz .LBB111_113
; %bb.112:
	v_lshlrev_b32_e32 v19, 2, v6
	ds_read_b32 v38, v19
	s_waitcnt lgkmcnt(0)
	s_nop 0
	v_mov_b32_dpp v39, v38 row_shr:1 row_mask:0xf bank_mask:0xf
	v_cndmask_b32_e64 v39, v39, 0, vcc
	v_add_u32_e32 v38, v39, v38
	s_nop 1
	v_mov_b32_dpp v39, v38 row_shr:2 row_mask:0xf bank_mask:0xf
	v_cndmask_b32_e64 v39, 0, v39, s[0:1]
	v_add_u32_e32 v38, v38, v39
	s_nop 1
	v_mov_b32_dpp v39, v38 row_shr:4 row_mask:0xf bank_mask:0xf
	v_cndmask_b32_e64 v39, 0, v39, s[6:7]
	v_add_u32_e32 v38, v38, v39
	s_nop 1
	v_mov_b32_dpp v39, v38 row_shr:8 row_mask:0xf bank_mask:0xf
	v_cndmask_b32_e64 v39, 0, v39, s[4:5]
	v_add_u32_e32 v38, v38, v39
	ds_write_b32 v19, v38
.LBB111_113:
	s_or_b64 exec, exec, s[12:13]
	v_cmp_gt_u32_e64 s[0:1], 64, v6
	v_cmp_lt_u32_e32 vcc, 63, v6
	v_mov_b32_e32 v19, 0
	s_waitcnt lgkmcnt(0)
	s_barrier
	s_and_saveexec_b64 s[4:5], vcc
; %bb.114:
	v_lshl_add_u32 v18, v18, 2, -4
	ds_read_b32 v19, v18
; %bb.115:
	s_or_b64 exec, exec, s[4:5]
	v_add_u32_e32 v18, -1, v1
	v_and_b32_e32 v38, 64, v1
	v_cmp_lt_i32_e64 s[4:5], v18, v38
	s_waitcnt lgkmcnt(0)
	v_add_u32_e32 v15, v19, v15
	v_cndmask_b32_e64 v18, v18, v1, s[4:5]
	v_lshlrev_b32_e32 v18, 2, v18
	ds_bpermute_b32 v15, v18, v15
	v_cmp_eq_u32_e64 s[4:5], 0, v1
	s_waitcnt lgkmcnt(0)
	s_nop 0
	v_cndmask_b32_e64 v1, v15, v19, s[4:5]
	v_cmp_ne_u32_e64 s[4:5], 0, v6
	s_nop 1
	v_cndmask_b32_e64 v18, 0, v1, s[4:5]
	v_add_u32_e32 v19, v18, v14
	ds_write_b64 v0, v[18:19] offset:64
	s_waitcnt lgkmcnt(0)
	s_barrier
	ds_read_b32 v19, v5 offset:64
	ds_read_b32 v38, v24 offset:64
	;; [unrolled: 1-line block ×6, first 2 shown]
	v_mov_b64_e32 v[14:15], 0
                                        ; implicit-def: $vgpr18
	s_and_saveexec_b64 s[6:7], s[0:1]
	s_cbranch_execz .LBB111_119
; %bb.116:
	v_mul_u32_u24_e32 v14, 0x44, v6
	ds_read_b32 v14, v14 offset:64
	v_add_u32_e32 v18, 1, v6
	v_cmp_ne_u32_e64 s[4:5], 64, v18
	v_mov_b32_e32 v15, 0x1800
	s_and_saveexec_b64 s[8:9], s[4:5]
; %bb.117:
	v_mul_u32_u24_e32 v15, 0x44, v18
	ds_read_b32 v15, v15 offset:64
; %bb.118:
	s_or_b64 exec, exec, s[8:9]
	s_waitcnt lgkmcnt(0)
	v_sub_u32_e32 v18, v15, v14
	v_mov_b32_e32 v15, 0
.LBB111_119:
	s_or_b64 exec, exec, s[6:7]
	v_lshlrev_b32_e32 v3, 3, v3
	s_waitcnt lgkmcnt(5)
	v_lshl_add_u32 v19, v19, 3, v3
	s_waitcnt lgkmcnt(0)
	s_barrier
	ds_write_b64 v19, v[8:9] offset:512
	v_lshlrev_b32_e32 v3, 3, v25
	v_lshlrev_b32_e32 v7, 3, v7
	v_lshlrev_b32_e32 v8, 3, v38
	v_add3_u32 v7, v3, v7, v8
	v_lshlrev_b32_e32 v3, 3, v28
	v_lshlrev_b32_e32 v8, 3, v26
	v_lshlrev_b32_e32 v9, 3, v24
	v_add3_u32 v24, v3, v8, v9
	;; [unrolled: 4-line block ×3, first 2 shown]
	v_lshlrev_b32_e32 v3, 3, v35
	v_lshlrev_b32_e32 v8, 3, v33
	;; [unrolled: 1-line block ×3, first 2 shown]
	ds_write_b64 v7, v[10:11] offset:512
	ds_write_b64 v24, v[12:13] offset:512
	;; [unrolled: 1-line block ×3, first 2 shown]
	v_add3_u32 v16, v3, v8, v5
	v_lshlrev_b32_e32 v3, 3, v36
	v_lshlrev_b32_e32 v5, 3, v30
	;; [unrolled: 1-line block ×3, first 2 shown]
	v_add3_u32 v17, v3, v5, v1
	v_mov_b32_e32 v9, 0
	ds_write_b64 v16, v[20:21] offset:512
	ds_write_b64 v17, v[22:23] offset:512
	s_waitcnt lgkmcnt(0)
	s_barrier
	s_and_saveexec_b64 s[4:5], s[0:1]
	s_cbranch_execz .LBB111_129
; %bb.120:
	v_lshl_add_u32 v8, s2, 6, v6
	v_lshl_add_u64 v[10:11], v[8:9], 2, s[34:35]
	v_or_b32_e32 v1, 2.0, v18
	global_store_dword v[10:11], v1, off sc1
	s_mov_b64 s[6:7], 0
	s_brev_b32 s15, -4
	s_mov_b32 s16, s2
	v_mov_b32_e32 v1, 0
                                        ; implicit-def: $sgpr0_sgpr1
	s_branch .LBB111_123
.LBB111_121:                            ;   in Loop: Header=BB111_123 Depth=1
	s_or_b64 exec, exec, s[12:13]
.LBB111_122:                            ;   in Loop: Header=BB111_123 Depth=1
	s_or_b64 exec, exec, s[8:9]
	v_and_b32_e32 v5, 0x3fffffff, v3
	v_add_u32_e32 v1, v5, v1
	v_cmp_gt_i32_e64 s[0:1], -2.0, v3
	s_and_b64 s[8:9], exec, s[0:1]
	s_or_b64 s[6:7], s[8:9], s[6:7]
	s_andn2_b64 exec, exec, s[6:7]
	s_cbranch_execz .LBB111_128
.LBB111_123:                            ; =>This Loop Header: Depth=1
                                        ;     Child Loop BB111_126 Depth 2
	s_or_b64 s[0:1], s[0:1], exec
	s_cmp_eq_u32 s16, 0
	s_cbranch_scc1 .LBB111_127
; %bb.124:                              ;   in Loop: Header=BB111_123 Depth=1
	s_add_i32 s16, s16, -1
	v_lshl_or_b32 v8, s16, 6, v6
	v_lshl_add_u64 v[12:13], v[8:9], 2, s[34:35]
	global_load_dword v3, v[12:13], off sc1
	s_waitcnt vmcnt(0)
	v_cmp_gt_u32_e64 s[0:1], 2.0, v3
	s_and_saveexec_b64 s[8:9], s[0:1]
	s_cbranch_execz .LBB111_122
; %bb.125:                              ;   in Loop: Header=BB111_123 Depth=1
	s_mov_b64 s[12:13], 0
.LBB111_126:                            ;   Parent Loop BB111_123 Depth=1
                                        ; =>  This Inner Loop Header: Depth=2
	global_load_dword v3, v[12:13], off sc1
	s_waitcnt vmcnt(0)
	v_cmp_lt_u32_e64 s[0:1], s15, v3
	s_or_b64 s[12:13], s[0:1], s[12:13]
	s_andn2_b64 exec, exec, s[12:13]
	s_cbranch_execnz .LBB111_126
	s_branch .LBB111_121
.LBB111_127:                            ;   in Loop: Header=BB111_123 Depth=1
                                        ; implicit-def: $sgpr16
	s_and_b64 s[8:9], exec, s[0:1]
	s_or_b64 s[6:7], s[8:9], s[6:7]
	s_andn2_b64 exec, exec, s[6:7]
	s_cbranch_execnz .LBB111_123
.LBB111_128:
	s_or_b64 exec, exec, s[6:7]
	v_add_u32_e32 v3, v1, v18
	v_or_b32_e32 v3, 0x80000000, v3
	global_store_dword v[10:11], v3, off sc1
	global_load_dwordx2 v[8:9], v0, s[28:29]
	v_sub_co_u32_e64 v10, s[0:1], v1, v14
	s_nop 1
	v_subb_co_u32_e64 v11, s[0:1], 0, v15, s[0:1]
	s_waitcnt vmcnt(0)
	v_lshl_add_u64 v[8:9], v[10:11], 0, v[8:9]
	ds_write_b64 v0, v[8:9]
.LBB111_129:
	s_or_b64 exec, exec, s[4:5]
	s_waitcnt lgkmcnt(0)
	s_barrier
	ds_read2st64_b64 v[8:11], v0 offset0:1 offset1:17
	s_add_u32 s0, s40, s10
	s_addc_u32 s1, s41, s11
	s_add_i32 s3, s3, -1
	s_cmp_eq_u32 s2, s3
	s_waitcnt lgkmcnt(0)
	v_lshrrev_b64 v[12:13], s44, v[8:9]
	v_and_b32_e32 v1, s14, v12
	v_lshlrev_b32_e32 v6, 3, v1
	ds_read2st64_b64 v[20:23], v0 offset0:33 offset1:49
	ds_read_b64 v[12:13], v6
	v_lshrrev_b64 v[26:27], s44, v[10:11]
	v_and_b32_e32 v1, s14, v26
	v_lshlrev_b32_e32 v36, 3, v1
	s_waitcnt lgkmcnt(1)
	v_lshrrev_b64 v[26:27], s44, v[20:21]
	v_and_b32_e32 v1, s14, v26
	v_lshrrev_b64 v[26:27], s44, v[22:23]
	v_lshlrev_b32_e32 v37, 3, v1
	v_and_b32_e32 v1, s14, v26
	v_lshlrev_b32_e32 v38, 3, v1
	ds_read_b64 v[26:27], v36
	ds_read_b64 v[28:29], v37
	;; [unrolled: 1-line block ×3, first 2 shown]
	s_waitcnt lgkmcnt(3)
	v_lshl_add_u64 v[12:13], v[12:13], 3, s[38:39]
	v_mov_b32_e32 v1, 0
	v_xor_b32_e32 v9, 0x7fffffff, v9
	v_xor_b32_e32 v8, -1, v8
	v_lshl_add_u64 v[12:13], v[12:13], 0, v[0:1]
	global_store_dwordx2 v[12:13], v[8:9], off
	v_xor_b32_e32 v9, 0x7fffffff, v11
	v_xor_b32_e32 v8, -1, v10
	s_waitcnt lgkmcnt(2)
	v_lshl_add_u64 v[10:11], v[26:27], 3, s[38:39]
	v_or_b32_e32 v12, 0x2000, v0
	v_mov_b32_e32 v13, v1
	v_lshl_add_u64 v[10:11], v[10:11], 0, v[12:13]
	global_store_dwordx2 v[10:11], v[8:9], off
	v_xor_b32_e32 v9, 0x7fffffff, v21
	v_xor_b32_e32 v8, -1, v20
	s_waitcnt lgkmcnt(1)
	v_lshl_add_u64 v[10:11], v[28:29], 3, s[38:39]
	v_or_b32_e32 v20, 0x4000, v0
	v_mov_b32_e32 v21, v1
	v_lshl_add_u64 v[10:11], v[10:11], 0, v[20:21]
	global_store_dwordx2 v[10:11], v[8:9], off
	ds_read2st64_b64 v[8:11], v0 offset0:65 offset1:81
	s_waitcnt lgkmcnt(1)
	v_lshl_add_u64 v[26:27], v[30:31], 3, s[38:39]
	v_or_b32_e32 v28, 0x6000, v0
	v_mov_b32_e32 v29, v1
	v_xor_b32_e32 v23, 0x7fffffff, v23
	v_xor_b32_e32 v22, -1, v22
	v_lshl_add_u64 v[26:27], v[26:27], 0, v[28:29]
	global_store_dwordx2 v[26:27], v[22:23], off
	s_waitcnt lgkmcnt(0)
	v_lshrrev_b64 v[22:23], s44, v[8:9]
	v_and_b32_e32 v3, s14, v22
	v_lshlrev_b32_e32 v39, 3, v3
	v_lshrrev_b64 v[26:27], s44, v[10:11]
	ds_read_b64 v[22:23], v39
	v_and_b32_e32 v3, s14, v26
	v_lshlrev_b32_e32 v40, 3, v3
	ds_read_b64 v[26:27], v40
	v_or_b32_e32 v30, 0x8000, v0
	s_waitcnt lgkmcnt(1)
	v_lshl_add_u64 v[22:23], v[22:23], 3, s[38:39]
	v_mov_b32_e32 v31, v1
	v_xor_b32_e32 v9, 0x7fffffff, v9
	v_xor_b32_e32 v8, -1, v8
	v_lshl_add_u64 v[22:23], v[22:23], 0, v[30:31]
	global_store_dwordx2 v[22:23], v[8:9], off
	v_xor_b32_e32 v9, 0x7fffffff, v11
	v_xor_b32_e32 v8, -1, v10
	s_waitcnt lgkmcnt(0)
	v_lshl_add_u64 v[10:11], v[26:27], 3, s[38:39]
	v_or_b32_e32 v22, 0xa000, v0
	v_mov_b32_e32 v23, v1
	v_mov_b32_e32 v3, v1
	v_lshl_add_u64 v[10:11], v[10:11], 0, v[22:23]
	v_lshl_add_u64 v[2:3], s[0:1], 0, v[2:3]
	v_mov_b32_e32 v5, v1
	global_store_dwordx2 v[10:11], v[8:9], off
	v_lshl_add_u64 v[2:3], v[2:3], 0, v[4:5]
	global_load_dwordx2 v[4:5], v[2:3], off
	global_load_dwordx2 v[8:9], v[2:3], off offset:512
	global_load_dwordx2 v[10:11], v[2:3], off offset:1024
	;; [unrolled: 1-line block ×5, first 2 shown]
	s_barrier
	s_cselect_b64 s[0:1], -1, 0
	s_xor_b64 s[2:3], vcc, -1
	s_and_b64 s[0:1], s[2:3], s[0:1]
	s_waitcnt vmcnt(5)
	ds_write_b64 v19, v[4:5] offset:512
	s_waitcnt vmcnt(4)
	ds_write_b64 v7, v[8:9] offset:512
	;; [unrolled: 2-line block ×6, first 2 shown]
	s_waitcnt lgkmcnt(0)
	s_barrier
	ds_read_b64 v[6:7], v6
	ds_read_b64 v[8:9], v36
	ds_read2st64_b64 v[2:5], v0 offset0:1 offset1:17
	ds_read_b64 v[10:11], v37
	ds_read_b64 v[16:17], v38
	s_waitcnt lgkmcnt(4)
	v_lshl_add_u64 v[6:7], v[6:7], 3, s[42:43]
	v_lshl_add_u64 v[6:7], v[6:7], 0, v[0:1]
	s_waitcnt lgkmcnt(3)
	v_lshl_add_u64 v[24:25], v[8:9], 3, s[42:43]
	s_waitcnt lgkmcnt(2)
	global_store_dwordx2 v[6:7], v[2:3], off
	ds_read2st64_b64 v[6:9], v0 offset0:33 offset1:49
	v_lshl_add_u64 v[2:3], v[24:25], 0, v[12:13]
	global_store_dwordx2 v[2:3], v[4:5], off
	s_waitcnt lgkmcnt(2)
	v_lshl_add_u64 v[2:3], v[10:11], 3, s[42:43]
	v_lshl_add_u64 v[2:3], v[2:3], 0, v[20:21]
	s_waitcnt lgkmcnt(0)
	global_store_dwordx2 v[2:3], v[6:7], off
	ds_read_b64 v[6:7], v39
	v_lshl_add_u64 v[2:3], v[16:17], 3, s[42:43]
	v_lshl_add_u64 v[10:11], v[2:3], 0, v[28:29]
	ds_read2st64_b64 v[2:5], v0 offset0:65 offset1:81
	ds_read_b64 v[12:13], v40
	global_store_dwordx2 v[10:11], v[8:9], off
	s_waitcnt lgkmcnt(2)
	v_lshl_add_u64 v[6:7], v[6:7], 3, s[42:43]
	v_lshl_add_u64 v[6:7], v[6:7], 0, v[30:31]
	s_waitcnt lgkmcnt(1)
	global_store_dwordx2 v[6:7], v[2:3], off
	s_waitcnt lgkmcnt(0)
	v_lshl_add_u64 v[2:3], v[12:13], 3, s[42:43]
	v_lshl_add_u64 v[2:3], v[2:3], 0, v[22:23]
	global_store_dwordx2 v[2:3], v[4:5], off
	s_and_saveexec_b64 s[2:3], s[0:1]
	s_cbranch_execz .LBB111_131
; %bb.130:
	ds_read_b64 v[2:3], v0
	v_mov_b32_e32 v19, v1
	v_lshl_add_u64 v[4:5], v[14:15], 0, v[18:19]
	s_waitcnt lgkmcnt(0)
	v_lshl_add_u64 v[2:3], v[4:5], 0, v[2:3]
	global_store_dwordx2 v0, v[2:3], s[30:31]
.LBB111_131:
	s_endpgm
	.section	.rodata,"a",@progbits
	.p2align	6, 0x0
	.amdhsa_kernel _ZN7rocprim17ROCPRIM_304000_NS6detail25onesweep_iteration_kernelINS1_34wrapped_radix_sort_onesweep_configINS0_14default_configElN2at4cuda3cub6detail10OpaqueTypeILi8EEEEELb1EPlSC_PSA_SD_mNS0_19identity_decomposerEEEvT1_T2_T3_T4_jPT5_SK_PNS1_23onesweep_lookback_stateET6_jjj
		.amdhsa_group_segment_fixed_size 49664
		.amdhsa_private_segment_fixed_size 0
		.amdhsa_kernarg_size 336
		.amdhsa_user_sgpr_count 2
		.amdhsa_user_sgpr_dispatch_ptr 0
		.amdhsa_user_sgpr_queue_ptr 0
		.amdhsa_user_sgpr_kernarg_segment_ptr 1
		.amdhsa_user_sgpr_dispatch_id 0
		.amdhsa_user_sgpr_kernarg_preload_length 0
		.amdhsa_user_sgpr_kernarg_preload_offset 0
		.amdhsa_user_sgpr_private_segment_size 0
		.amdhsa_uses_dynamic_stack 0
		.amdhsa_enable_private_segment 0
		.amdhsa_system_sgpr_workgroup_id_x 1
		.amdhsa_system_sgpr_workgroup_id_y 0
		.amdhsa_system_sgpr_workgroup_id_z 0
		.amdhsa_system_sgpr_workgroup_info 0
		.amdhsa_system_vgpr_workitem_id 2
		.amdhsa_next_free_vgpr 42
		.amdhsa_next_free_sgpr 52
		.amdhsa_accum_offset 44
		.amdhsa_reserve_vcc 1
		.amdhsa_float_round_mode_32 0
		.amdhsa_float_round_mode_16_64 0
		.amdhsa_float_denorm_mode_32 3
		.amdhsa_float_denorm_mode_16_64 3
		.amdhsa_dx10_clamp 1
		.amdhsa_ieee_mode 1
		.amdhsa_fp16_overflow 0
		.amdhsa_tg_split 0
		.amdhsa_exception_fp_ieee_invalid_op 0
		.amdhsa_exception_fp_denorm_src 0
		.amdhsa_exception_fp_ieee_div_zero 0
		.amdhsa_exception_fp_ieee_overflow 0
		.amdhsa_exception_fp_ieee_underflow 0
		.amdhsa_exception_fp_ieee_inexact 0
		.amdhsa_exception_int_div_zero 0
	.end_amdhsa_kernel
	.section	.text._ZN7rocprim17ROCPRIM_304000_NS6detail25onesweep_iteration_kernelINS1_34wrapped_radix_sort_onesweep_configINS0_14default_configElN2at4cuda3cub6detail10OpaqueTypeILi8EEEEELb1EPlSC_PSA_SD_mNS0_19identity_decomposerEEEvT1_T2_T3_T4_jPT5_SK_PNS1_23onesweep_lookback_stateET6_jjj,"axG",@progbits,_ZN7rocprim17ROCPRIM_304000_NS6detail25onesweep_iteration_kernelINS1_34wrapped_radix_sort_onesweep_configINS0_14default_configElN2at4cuda3cub6detail10OpaqueTypeILi8EEEEELb1EPlSC_PSA_SD_mNS0_19identity_decomposerEEEvT1_T2_T3_T4_jPT5_SK_PNS1_23onesweep_lookback_stateET6_jjj,comdat
.Lfunc_end111:
	.size	_ZN7rocprim17ROCPRIM_304000_NS6detail25onesweep_iteration_kernelINS1_34wrapped_radix_sort_onesweep_configINS0_14default_configElN2at4cuda3cub6detail10OpaqueTypeILi8EEEEELb1EPlSC_PSA_SD_mNS0_19identity_decomposerEEEvT1_T2_T3_T4_jPT5_SK_PNS1_23onesweep_lookback_stateET6_jjj, .Lfunc_end111-_ZN7rocprim17ROCPRIM_304000_NS6detail25onesweep_iteration_kernelINS1_34wrapped_radix_sort_onesweep_configINS0_14default_configElN2at4cuda3cub6detail10OpaqueTypeILi8EEEEELb1EPlSC_PSA_SD_mNS0_19identity_decomposerEEEvT1_T2_T3_T4_jPT5_SK_PNS1_23onesweep_lookback_stateET6_jjj
                                        ; -- End function
	.set _ZN7rocprim17ROCPRIM_304000_NS6detail25onesweep_iteration_kernelINS1_34wrapped_radix_sort_onesweep_configINS0_14default_configElN2at4cuda3cub6detail10OpaqueTypeILi8EEEEELb1EPlSC_PSA_SD_mNS0_19identity_decomposerEEEvT1_T2_T3_T4_jPT5_SK_PNS1_23onesweep_lookback_stateET6_jjj.num_vgpr, 42
	.set _ZN7rocprim17ROCPRIM_304000_NS6detail25onesweep_iteration_kernelINS1_34wrapped_radix_sort_onesweep_configINS0_14default_configElN2at4cuda3cub6detail10OpaqueTypeILi8EEEEELb1EPlSC_PSA_SD_mNS0_19identity_decomposerEEEvT1_T2_T3_T4_jPT5_SK_PNS1_23onesweep_lookback_stateET6_jjj.num_agpr, 0
	.set _ZN7rocprim17ROCPRIM_304000_NS6detail25onesweep_iteration_kernelINS1_34wrapped_radix_sort_onesweep_configINS0_14default_configElN2at4cuda3cub6detail10OpaqueTypeILi8EEEEELb1EPlSC_PSA_SD_mNS0_19identity_decomposerEEEvT1_T2_T3_T4_jPT5_SK_PNS1_23onesweep_lookback_stateET6_jjj.numbered_sgpr, 52
	.set _ZN7rocprim17ROCPRIM_304000_NS6detail25onesweep_iteration_kernelINS1_34wrapped_radix_sort_onesweep_configINS0_14default_configElN2at4cuda3cub6detail10OpaqueTypeILi8EEEEELb1EPlSC_PSA_SD_mNS0_19identity_decomposerEEEvT1_T2_T3_T4_jPT5_SK_PNS1_23onesweep_lookback_stateET6_jjj.num_named_barrier, 0
	.set _ZN7rocprim17ROCPRIM_304000_NS6detail25onesweep_iteration_kernelINS1_34wrapped_radix_sort_onesweep_configINS0_14default_configElN2at4cuda3cub6detail10OpaqueTypeILi8EEEEELb1EPlSC_PSA_SD_mNS0_19identity_decomposerEEEvT1_T2_T3_T4_jPT5_SK_PNS1_23onesweep_lookback_stateET6_jjj.private_seg_size, 0
	.set _ZN7rocprim17ROCPRIM_304000_NS6detail25onesweep_iteration_kernelINS1_34wrapped_radix_sort_onesweep_configINS0_14default_configElN2at4cuda3cub6detail10OpaqueTypeILi8EEEEELb1EPlSC_PSA_SD_mNS0_19identity_decomposerEEEvT1_T2_T3_T4_jPT5_SK_PNS1_23onesweep_lookback_stateET6_jjj.uses_vcc, 1
	.set _ZN7rocprim17ROCPRIM_304000_NS6detail25onesweep_iteration_kernelINS1_34wrapped_radix_sort_onesweep_configINS0_14default_configElN2at4cuda3cub6detail10OpaqueTypeILi8EEEEELb1EPlSC_PSA_SD_mNS0_19identity_decomposerEEEvT1_T2_T3_T4_jPT5_SK_PNS1_23onesweep_lookback_stateET6_jjj.uses_flat_scratch, 0
	.set _ZN7rocprim17ROCPRIM_304000_NS6detail25onesweep_iteration_kernelINS1_34wrapped_radix_sort_onesweep_configINS0_14default_configElN2at4cuda3cub6detail10OpaqueTypeILi8EEEEELb1EPlSC_PSA_SD_mNS0_19identity_decomposerEEEvT1_T2_T3_T4_jPT5_SK_PNS1_23onesweep_lookback_stateET6_jjj.has_dyn_sized_stack, 0
	.set _ZN7rocprim17ROCPRIM_304000_NS6detail25onesweep_iteration_kernelINS1_34wrapped_radix_sort_onesweep_configINS0_14default_configElN2at4cuda3cub6detail10OpaqueTypeILi8EEEEELb1EPlSC_PSA_SD_mNS0_19identity_decomposerEEEvT1_T2_T3_T4_jPT5_SK_PNS1_23onesweep_lookback_stateET6_jjj.has_recursion, 0
	.set _ZN7rocprim17ROCPRIM_304000_NS6detail25onesweep_iteration_kernelINS1_34wrapped_radix_sort_onesweep_configINS0_14default_configElN2at4cuda3cub6detail10OpaqueTypeILi8EEEEELb1EPlSC_PSA_SD_mNS0_19identity_decomposerEEEvT1_T2_T3_T4_jPT5_SK_PNS1_23onesweep_lookback_stateET6_jjj.has_indirect_call, 0
	.section	.AMDGPU.csdata,"",@progbits
; Kernel info:
; codeLenInByte = 10108
; TotalNumSgprs: 58
; NumVgprs: 42
; NumAgprs: 0
; TotalNumVgprs: 42
; ScratchSize: 0
; MemoryBound: 1
; FloatMode: 240
; IeeeMode: 1
; LDSByteSize: 49664 bytes/workgroup (compile time only)
; SGPRBlocks: 7
; VGPRBlocks: 5
; NumSGPRsForWavesPerEU: 58
; NumVGPRsForWavesPerEU: 42
; AccumOffset: 44
; Occupancy: 8
; WaveLimiterHint : 1
; COMPUTE_PGM_RSRC2:SCRATCH_EN: 0
; COMPUTE_PGM_RSRC2:USER_SGPR: 2
; COMPUTE_PGM_RSRC2:TRAP_HANDLER: 0
; COMPUTE_PGM_RSRC2:TGID_X_EN: 1
; COMPUTE_PGM_RSRC2:TGID_Y_EN: 0
; COMPUTE_PGM_RSRC2:TGID_Z_EN: 0
; COMPUTE_PGM_RSRC2:TIDIG_COMP_CNT: 2
; COMPUTE_PGM_RSRC3_GFX90A:ACCUM_OFFSET: 10
; COMPUTE_PGM_RSRC3_GFX90A:TG_SPLIT: 0
	.section	.text._ZN7rocprim17ROCPRIM_304000_NS6detail28radix_sort_block_sort_kernelINS1_36wrapped_radix_sort_block_sort_configINS0_13kernel_configILj256ELj4ELj4294967295EEElN2at4cuda3cub6detail10OpaqueTypeILi8EEEEELb0EPKlPlPKSB_PSB_NS0_19identity_decomposerEEEvT1_T2_T3_T4_jT5_jj,"axG",@progbits,_ZN7rocprim17ROCPRIM_304000_NS6detail28radix_sort_block_sort_kernelINS1_36wrapped_radix_sort_block_sort_configINS0_13kernel_configILj256ELj4ELj4294967295EEElN2at4cuda3cub6detail10OpaqueTypeILi8EEEEELb0EPKlPlPKSB_PSB_NS0_19identity_decomposerEEEvT1_T2_T3_T4_jT5_jj,comdat
	.protected	_ZN7rocprim17ROCPRIM_304000_NS6detail28radix_sort_block_sort_kernelINS1_36wrapped_radix_sort_block_sort_configINS0_13kernel_configILj256ELj4ELj4294967295EEElN2at4cuda3cub6detail10OpaqueTypeILi8EEEEELb0EPKlPlPKSB_PSB_NS0_19identity_decomposerEEEvT1_T2_T3_T4_jT5_jj ; -- Begin function _ZN7rocprim17ROCPRIM_304000_NS6detail28radix_sort_block_sort_kernelINS1_36wrapped_radix_sort_block_sort_configINS0_13kernel_configILj256ELj4ELj4294967295EEElN2at4cuda3cub6detail10OpaqueTypeILi8EEEEELb0EPKlPlPKSB_PSB_NS0_19identity_decomposerEEEvT1_T2_T3_T4_jT5_jj
	.globl	_ZN7rocprim17ROCPRIM_304000_NS6detail28radix_sort_block_sort_kernelINS1_36wrapped_radix_sort_block_sort_configINS0_13kernel_configILj256ELj4ELj4294967295EEElN2at4cuda3cub6detail10OpaqueTypeILi8EEEEELb0EPKlPlPKSB_PSB_NS0_19identity_decomposerEEEvT1_T2_T3_T4_jT5_jj
	.p2align	8
	.type	_ZN7rocprim17ROCPRIM_304000_NS6detail28radix_sort_block_sort_kernelINS1_36wrapped_radix_sort_block_sort_configINS0_13kernel_configILj256ELj4ELj4294967295EEElN2at4cuda3cub6detail10OpaqueTypeILi8EEEEELb0EPKlPlPKSB_PSB_NS0_19identity_decomposerEEEvT1_T2_T3_T4_jT5_jj,@function
_ZN7rocprim17ROCPRIM_304000_NS6detail28radix_sort_block_sort_kernelINS1_36wrapped_radix_sort_block_sort_configINS0_13kernel_configILj256ELj4ELj4294967295EEElN2at4cuda3cub6detail10OpaqueTypeILi8EEEEELb0EPKlPlPKSB_PSB_NS0_19identity_decomposerEEEvT1_T2_T3_T4_jT5_jj: ; @_ZN7rocprim17ROCPRIM_304000_NS6detail28radix_sort_block_sort_kernelINS1_36wrapped_radix_sort_block_sort_configINS0_13kernel_configILj256ELj4ELj4294967295EEElN2at4cuda3cub6detail10OpaqueTypeILi8EEEEELb0EPKlPlPKSB_PSB_NS0_19identity_decomposerEEEvT1_T2_T3_T4_jT5_jj
; %bb.0:
	s_load_dword s8, s[0:1], 0x20
	s_load_dwordx8 s[36:43], s[0:1], 0x0
	s_lshl_b32 s4, s2, 10
	s_mov_b32 s5, 0
	v_and_b32_e32 v16, 0x3ff, v0
	s_waitcnt lgkmcnt(0)
	s_lshr_b32 s3, s8, 10
	s_cmp_lg_u32 s2, s3
	s_cselect_b64 s[30:31], -1, 0
	s_lshl_b64 s[28:29], s[4:5], 3
	v_mbcnt_lo_u32_b32 v1, -1, 0
	s_add_u32 s6, s36, s28
	v_mbcnt_hi_u32_b32 v1, -1, v1
	v_lshlrev_b32_e32 v17, 2, v16
	s_addc_u32 s7, s37, s29
	v_and_b32_e32 v18, 0x300, v17
	v_mov_b32_e32 v13, 0
	v_lshlrev_b32_e32 v12, 3, v1
	v_lshl_add_u64 v[2:3], s[6:7], 0, v[12:13]
	v_lshlrev_b32_e32 v10, 3, v18
	v_mov_b32_e32 v11, v13
	s_cmp_eq_u32 s2, s3
	v_lshl_add_u64 v[14:15], v[2:3], 0, v[10:11]
	s_cbranch_scc1 .LBB112_2
; %bb.1:
	s_add_u32 s2, s40, s28
	s_addc_u32 s3, s41, s29
	v_lshl_add_u64 v[20:21], s[2:3], 0, v[12:13]
	global_load_dwordx2 v[2:3], v[14:15], off
	global_load_dwordx2 v[4:5], v[14:15], off offset:512
	global_load_dwordx2 v[6:7], v[14:15], off offset:1024
	;; [unrolled: 1-line block ×3, first 2 shown]
	v_lshl_add_u64 v[20:21], v[20:21], 0, v[10:11]
	global_load_dwordx2 v[42:43], v[20:21], off
	global_load_dwordx2 v[44:45], v[20:21], off offset:512
	global_load_dwordx2 v[46:47], v[20:21], off offset:1024
	s_mov_b64 s[6:7], -1
	s_sub_i32 s33, s8, s4
	s_cbranch_execz .LBB112_3
	s_branch .LBB112_16
.LBB112_2:
	s_mov_b64 s[6:7], 0
                                        ; implicit-def: $vgpr2_vgpr3_vgpr4_vgpr5_vgpr6_vgpr7_vgpr8_vgpr9
                                        ; implicit-def: $vgpr42_vgpr43
                                        ; implicit-def: $vgpr46_vgpr47
	s_sub_i32 s33, s8, s4
.LBB112_3:
	v_add_u32_e32 v11, v1, v18
	s_waitcnt vmcnt(6)
	v_mov_b32_e32 v2, -1
	v_bfrev_b32_e32 v3, -2
	v_cmp_gt_u32_e32 vcc, s33, v11
	s_waitcnt vmcnt(5)
	v_mov_b32_e32 v4, v2
	v_mov_b32_e32 v5, v3
	s_waitcnt vmcnt(4)
	v_mov_b32_e32 v6, v2
	v_mov_b32_e32 v7, v3
	;; [unrolled: 3-line block ×3, first 2 shown]
	s_and_saveexec_b64 s[2:3], vcc
	s_cbranch_execz .LBB112_5
; %bb.4:
	global_load_dwordx2 v[18:19], v[14:15], off
	v_mov_b32_e32 v20, v2
	v_mov_b32_e32 v21, v3
	;; [unrolled: 1-line block ×6, first 2 shown]
	s_waitcnt vmcnt(0)
	v_mov_b64_e32 v[2:3], v[18:19]
	v_mov_b64_e32 v[4:5], v[20:21]
	v_mov_b64_e32 v[6:7], v[22:23]
	v_mov_b64_e32 v[8:9], v[24:25]
.LBB112_5:
	s_or_b64 exec, exec, s[2:3]
	v_add_u32_e32 v13, 64, v11
	v_cmp_gt_u32_e64 s[2:3], s33, v13
	s_and_saveexec_b64 s[4:5], s[2:3]
	s_cbranch_execz .LBB112_7
; %bb.6:
	global_load_dwordx2 v[4:5], v[14:15], off offset:512
.LBB112_7:
	s_or_b64 exec, exec, s[4:5]
	v_add_u32_e32 v13, 0x80, v11
	v_cmp_gt_u32_e64 s[4:5], s33, v13
	s_and_saveexec_b64 s[6:7], s[4:5]
	s_cbranch_execz .LBB112_9
; %bb.8:
	global_load_dwordx2 v[6:7], v[14:15], off offset:1024
.LBB112_9:
	s_or_b64 exec, exec, s[6:7]
	v_add_u32_e32 v11, 0xc0, v11
	v_cmp_gt_u32_e64 s[6:7], s33, v11
	s_and_saveexec_b64 s[8:9], s[6:7]
	s_cbranch_execz .LBB112_11
; %bb.10:
	global_load_dwordx2 v[8:9], v[14:15], off offset:1536
.LBB112_11:
	s_or_b64 exec, exec, s[8:9]
	s_add_u32 s8, s40, s28
	s_addc_u32 s9, s41, s29
	v_mov_b32_e32 v13, 0
	v_lshl_add_u64 v[14:15], s[8:9], 0, v[12:13]
	v_mov_b32_e32 v11, v13
	v_lshl_add_u64 v[14:15], v[14:15], 0, v[10:11]
                                        ; implicit-def: $vgpr42_vgpr43
	s_and_saveexec_b64 s[8:9], vcc
	s_cbranch_execnz .LBB112_55
; %bb.12:
	s_or_b64 exec, exec, s[8:9]
	s_and_saveexec_b64 s[8:9], s[2:3]
	s_cbranch_execnz .LBB112_56
.LBB112_13:
	s_or_b64 exec, exec, s[8:9]
                                        ; implicit-def: $vgpr46_vgpr47
	s_and_saveexec_b64 s[2:3], s[4:5]
	s_cbranch_execz .LBB112_15
.LBB112_14:
	global_load_dwordx2 v[46:47], v[14:15], off offset:1024
.LBB112_15:
	s_or_b64 exec, exec, s[2:3]
.LBB112_16:
	s_and_saveexec_b64 s[2:3], s[6:7]
	s_cbranch_execz .LBB112_18
; %bb.17:
	s_add_u32 s4, s40, s28
	s_addc_u32 s5, s41, s29
	v_mov_b32_e32 v13, 0
	v_lshl_add_u64 v[14:15], s[4:5], 0, v[12:13]
	v_mov_b32_e32 v11, v13
	v_lshl_add_u64 v[12:13], v[14:15], 0, v[10:11]
	global_load_dwordx2 v[48:49], v[12:13], off offset:1536
.LBB112_18:
	s_or_b64 exec, exec, s[2:3]
	s_load_dwordx2 s[34:35], s[0:1], 0x28
	v_bfe_u32 v11, v0, 10, 10
	s_load_dword s0, s[0:1], 0x3c
	v_bfe_u32 v0, v0, 20, 10
	s_mov_b32 s26, 0
	s_mov_b32 s27, s26
	;; [unrolled: 1-line block ×3, first 2 shown]
	s_waitcnt lgkmcnt(0)
	s_lshr_b32 s1, s0, 16
	s_and_b32 s0, s0, 0xffff
	v_mad_u32_u24 v0, v0, s1, v11
	v_mad_u64_u32 v[12:13], s[0:1], v0, s0, v[16:17]
	v_lshrrev_b32_e32 v0, 4, v12
	v_and_b32_e32 v34, 0xffffffc, v0
	v_and_b32_e32 v0, 15, v1
	v_cmp_eq_u32_e64 s[0:1], 0, v0
	v_cmp_lt_u32_e64 s[2:3], 1, v0
	v_cmp_lt_u32_e64 s[4:5], 3, v0
	;; [unrolled: 1-line block ×3, first 2 shown]
	v_and_b32_e32 v0, 16, v1
	v_cmp_eq_u32_e64 s[8:9], 0, v0
	v_and_b32_e32 v0, 0x3c0, v16
	v_min_u32_e32 v0, 0xc0, v0
	v_or_b32_e32 v0, 63, v0
	v_cmp_eq_u32_e64 s[12:13], v16, v0
	v_subrev_co_u32_e64 v0, s[18:19], 1, v1
	v_and_b32_e32 v11, 64, v1
	v_cmp_lt_i32_e32 vcc, v0, v11
	v_lshlrev_b32_e32 v17, 2, v17
	v_and_b32_e32 v11, 3, v1
	v_cndmask_b32_e32 v0, v0, v1, vcc
	v_lshlrev_b32_e32 v35, 2, v0
	v_lshrrev_b32_e32 v0, 4, v16
	v_and_b32_e32 v36, 60, v0
	v_mul_i32_i24_e32 v0, -12, v16
	s_mov_b32 s41, s26
	s_waitcnt vmcnt(6)
	v_xor_b32_e32 v3, 0x80000000, v3
	s_waitcnt vmcnt(0)
	v_xor_b32_e32 v5, 0x80000000, v5
	v_xor_b32_e32 v7, 0x80000000, v7
	s_add_i32 s36, s35, s34
	v_xor_b32_e32 v9, 0x80000000, v9
	v_cmp_lt_u32_e64 s[10:11], 31, v1
	v_cmp_gt_u32_e64 s[14:15], 4, v16
	v_cmp_lt_u32_e64 s[16:17], 63, v16
	v_cmp_eq_u32_e64 s[20:21], 0, v16
	v_cmp_eq_u32_e64 s[22:23], 0, v11
	v_cmp_lt_u32_e64 s[24:25], 1, v11
	v_add_u32_e32 v37, -4, v36
	v_lshl_add_u32 v38, v1, 3, v10
	v_mov_b64_e32 v[10:11], s[26:27]
	v_mov_b64_e32 v[12:13], s[40:41]
	v_mov_b32_e32 v15, 0
	v_add_u32_e32 v39, v17, v0
	s_branch .LBB112_20
.LBB112_19:                             ;   in Loop: Header=BB112_20 Depth=1
	s_andn2_b64 vcc, exec, s[26:27]
	s_cbranch_vccz .LBB112_36
.LBB112_20:                             ; =>This Inner Loop Header: Depth=1
	v_mov_b64_e32 v[32:33], v[2:3]
	s_min_u32 s26, s35, 8
	s_lshl_b32 s37, -1, s26
	v_lshrrev_b64 v[0:1], s34, v[32:33]
	v_bitop3_b32 v2, v0, s37, v0 bitop3:0x30
	v_and_b32_e32 v14, 1, v2
	v_lshl_add_u64 v[0:1], v[14:15], 0, -1
	v_cmp_ne_u32_e32 vcc, 0, v14
	v_mov_b64_e32 v[30:31], v[4:5]
	v_lshlrev_b32_e32 v3, 4, v2
	v_xor_b32_e32 v1, vcc_hi, v1
	v_xor_b32_e32 v0, vcc_lo, v0
	v_and_b32_e32 v4, exec_hi, v1
	v_and_b32_e32 v5, exec_lo, v0
	v_lshlrev_b32_e32 v1, 30, v2
	v_mov_b32_e32 v0, v15
	v_cmp_gt_i64_e32 vcc, 0, v[0:1]
	v_not_b32_e32 v0, v1
	v_ashrrev_i32_e32 v0, 31, v0
	v_xor_b32_e32 v1, vcc_hi, v0
	v_xor_b32_e32 v0, vcc_lo, v0
	v_and_b32_e32 v4, v4, v1
	v_and_b32_e32 v5, v5, v0
	v_lshlrev_b32_e32 v1, 29, v2
	v_mov_b32_e32 v0, v15
	v_cmp_gt_i64_e32 vcc, 0, v[0:1]
	v_not_b32_e32 v0, v1
	v_ashrrev_i32_e32 v0, 31, v0
	v_xor_b32_e32 v1, vcc_hi, v0
	v_xor_b32_e32 v0, vcc_lo, v0
	v_and_b32_e32 v4, v4, v1
	v_and_b32_e32 v5, v5, v0
	;; [unrolled: 9-line block ×7, first 2 shown]
	v_mbcnt_lo_u32_b32 v2, v0, 0
	v_mbcnt_hi_u32_b32 v4, v1, v2
	v_cmp_eq_u32_e32 vcc, 0, v4
	v_cmp_ne_u64_e64 s[26:27], 0, v[0:1]
	v_mov_b64_e32 v[26:27], v[8:9]
	v_mov_b64_e32 v[28:29], v[6:7]
	;; [unrolled: 1-line block ×6, first 2 shown]
	s_and_b64 s[40:41], s[26:27], vcc
	v_add_u32_e32 v5, v34, v3
	ds_write2_b64 v17, v[10:11], v[12:13] offset0:2 offset1:3
	s_waitcnt lgkmcnt(0)
	s_barrier
	; wave barrier
	s_and_saveexec_b64 s[26:27], s[40:41]
; %bb.21:                               ;   in Loop: Header=BB112_20 Depth=1
	v_bcnt_u32_b32 v0, v0, 0
	v_bcnt_u32_b32 v0, v1, v0
	ds_write_b32 v5, v0 offset:16
; %bb.22:                               ;   in Loop: Header=BB112_20 Depth=1
	s_or_b64 exec, exec, s[26:27]
	s_not_b32 s37, s37
	v_lshrrev_b64 v[0:1], s34, v[30:31]
	v_and_b32_e32 v2, s37, v0
	v_lshlrev_b32_e32 v0, 4, v2
	v_and_b32_e32 v14, 1, v2
	v_add_u32_e32 v7, v34, v0
	v_lshl_add_u64 v[0:1], v[14:15], 0, -1
	v_cmp_ne_u32_e32 vcc, 0, v14
	; wave barrier
	s_nop 1
	v_xor_b32_e32 v1, vcc_hi, v1
	v_xor_b32_e32 v0, vcc_lo, v0
	v_and_b32_e32 v3, exec_hi, v1
	v_and_b32_e32 v8, exec_lo, v0
	v_lshlrev_b32_e32 v1, 30, v2
	v_mov_b32_e32 v0, v15
	v_cmp_gt_i64_e32 vcc, 0, v[0:1]
	v_not_b32_e32 v0, v1
	v_ashrrev_i32_e32 v0, 31, v0
	v_xor_b32_e32 v1, vcc_hi, v0
	v_xor_b32_e32 v0, vcc_lo, v0
	v_and_b32_e32 v3, v3, v1
	v_and_b32_e32 v8, v8, v0
	v_lshlrev_b32_e32 v1, 29, v2
	v_mov_b32_e32 v0, v15
	v_cmp_gt_i64_e32 vcc, 0, v[0:1]
	v_not_b32_e32 v0, v1
	v_ashrrev_i32_e32 v0, 31, v0
	v_xor_b32_e32 v1, vcc_hi, v0
	v_xor_b32_e32 v0, vcc_lo, v0
	v_and_b32_e32 v3, v3, v1
	v_and_b32_e32 v8, v8, v0
	;; [unrolled: 9-line block ×6, first 2 shown]
	v_lshlrev_b32_e32 v1, 24, v2
	v_mov_b32_e32 v0, v15
	v_cmp_gt_i64_e32 vcc, 0, v[0:1]
	v_not_b32_e32 v0, v1
	v_ashrrev_i32_e32 v0, 31, v0
	v_xor_b32_e32 v1, vcc_hi, v0
	v_xor_b32_e32 v0, vcc_lo, v0
	ds_read_b32 v6, v7 offset:16
	v_and_b32_e32 v0, v8, v0
	v_and_b32_e32 v1, v3, v1
	v_mbcnt_lo_u32_b32 v2, v0, 0
	v_mbcnt_hi_u32_b32 v8, v1, v2
	v_cmp_eq_u32_e32 vcc, 0, v8
	v_cmp_ne_u64_e64 s[26:27], 0, v[0:1]
	s_and_b64 s[40:41], s[26:27], vcc
	; wave barrier
	s_and_saveexec_b64 s[26:27], s[40:41]
	s_cbranch_execz .LBB112_24
; %bb.23:                               ;   in Loop: Header=BB112_20 Depth=1
	v_bcnt_u32_b32 v0, v0, 0
	v_bcnt_u32_b32 v0, v1, v0
	s_waitcnt lgkmcnt(0)
	v_add_u32_e32 v0, v6, v0
	ds_write_b32 v7, v0 offset:16
.LBB112_24:                             ;   in Loop: Header=BB112_20 Depth=1
	s_or_b64 exec, exec, s[26:27]
	v_lshrrev_b64 v[0:1], s34, v[28:29]
	v_and_b32_e32 v2, s37, v0
	v_lshlrev_b32_e32 v0, 4, v2
	v_and_b32_e32 v14, 1, v2
	v_add_u32_e32 v40, v34, v0
	v_lshl_add_u64 v[0:1], v[14:15], 0, -1
	v_cmp_ne_u32_e32 vcc, 0, v14
	; wave barrier
	s_nop 1
	v_xor_b32_e32 v1, vcc_hi, v1
	v_xor_b32_e32 v0, vcc_lo, v0
	v_and_b32_e32 v3, exec_hi, v1
	v_and_b32_e32 v14, exec_lo, v0
	v_lshlrev_b32_e32 v1, 30, v2
	v_mov_b32_e32 v0, v15
	v_cmp_gt_i64_e32 vcc, 0, v[0:1]
	v_not_b32_e32 v0, v1
	v_ashrrev_i32_e32 v0, 31, v0
	v_xor_b32_e32 v1, vcc_hi, v0
	v_xor_b32_e32 v0, vcc_lo, v0
	v_and_b32_e32 v3, v3, v1
	v_and_b32_e32 v14, v14, v0
	v_lshlrev_b32_e32 v1, 29, v2
	v_mov_b32_e32 v0, v15
	v_cmp_gt_i64_e32 vcc, 0, v[0:1]
	v_not_b32_e32 v0, v1
	v_ashrrev_i32_e32 v0, 31, v0
	v_xor_b32_e32 v1, vcc_hi, v0
	v_xor_b32_e32 v0, vcc_lo, v0
	v_and_b32_e32 v3, v3, v1
	v_and_b32_e32 v14, v14, v0
	;; [unrolled: 9-line block ×6, first 2 shown]
	v_lshlrev_b32_e32 v1, 24, v2
	v_mov_b32_e32 v0, v15
	v_cmp_gt_i64_e32 vcc, 0, v[0:1]
	v_not_b32_e32 v0, v1
	v_ashrrev_i32_e32 v0, 31, v0
	v_xor_b32_e32 v1, vcc_hi, v0
	v_xor_b32_e32 v0, vcc_lo, v0
	ds_read_b32 v9, v40 offset:16
	v_and_b32_e32 v0, v14, v0
	v_and_b32_e32 v1, v3, v1
	v_mbcnt_lo_u32_b32 v2, v0, 0
	v_mbcnt_hi_u32_b32 v41, v1, v2
	v_cmp_eq_u32_e32 vcc, 0, v41
	v_cmp_ne_u64_e64 s[26:27], 0, v[0:1]
	s_and_b64 s[40:41], s[26:27], vcc
	; wave barrier
	s_and_saveexec_b64 s[26:27], s[40:41]
	s_cbranch_execz .LBB112_26
; %bb.25:                               ;   in Loop: Header=BB112_20 Depth=1
	v_bcnt_u32_b32 v0, v0, 0
	v_bcnt_u32_b32 v0, v1, v0
	s_waitcnt lgkmcnt(0)
	v_add_u32_e32 v0, v9, v0
	ds_write_b32 v40, v0 offset:16
.LBB112_26:                             ;   in Loop: Header=BB112_20 Depth=1
	s_or_b64 exec, exec, s[26:27]
	v_lshrrev_b64 v[0:1], s34, v[26:27]
	v_and_b32_e32 v2, s37, v0
	v_lshlrev_b32_e32 v0, 4, v2
	v_and_b32_e32 v14, 1, v2
	v_add_u32_e32 v43, v34, v0
	v_lshl_add_u64 v[0:1], v[14:15], 0, -1
	v_cmp_ne_u32_e32 vcc, 0, v14
	; wave barrier
	s_nop 1
	v_xor_b32_e32 v1, vcc_hi, v1
	v_xor_b32_e32 v0, vcc_lo, v0
	v_and_b32_e32 v3, exec_hi, v1
	v_and_b32_e32 v14, exec_lo, v0
	v_lshlrev_b32_e32 v1, 30, v2
	v_mov_b32_e32 v0, v15
	v_cmp_gt_i64_e32 vcc, 0, v[0:1]
	v_not_b32_e32 v0, v1
	v_ashrrev_i32_e32 v0, 31, v0
	v_xor_b32_e32 v1, vcc_hi, v0
	v_xor_b32_e32 v0, vcc_lo, v0
	v_and_b32_e32 v3, v3, v1
	v_and_b32_e32 v14, v14, v0
	v_lshlrev_b32_e32 v1, 29, v2
	v_mov_b32_e32 v0, v15
	v_cmp_gt_i64_e32 vcc, 0, v[0:1]
	v_not_b32_e32 v0, v1
	v_ashrrev_i32_e32 v0, 31, v0
	v_xor_b32_e32 v1, vcc_hi, v0
	v_xor_b32_e32 v0, vcc_lo, v0
	v_and_b32_e32 v3, v3, v1
	v_and_b32_e32 v14, v14, v0
	;; [unrolled: 9-line block ×6, first 2 shown]
	v_lshlrev_b32_e32 v1, 24, v2
	v_mov_b32_e32 v0, v15
	v_cmp_gt_i64_e32 vcc, 0, v[0:1]
	v_not_b32_e32 v0, v1
	v_ashrrev_i32_e32 v0, 31, v0
	v_xor_b32_e32 v1, vcc_hi, v0
	v_xor_b32_e32 v0, vcc_lo, v0
	ds_read_b32 v42, v43 offset:16
	v_and_b32_e32 v0, v14, v0
	v_and_b32_e32 v1, v3, v1
	v_mbcnt_lo_u32_b32 v2, v0, 0
	v_mbcnt_hi_u32_b32 v14, v1, v2
	v_cmp_eq_u32_e32 vcc, 0, v14
	v_cmp_ne_u64_e64 s[26:27], 0, v[0:1]
	s_and_b64 s[40:41], s[26:27], vcc
	; wave barrier
	s_and_saveexec_b64 s[26:27], s[40:41]
	s_cbranch_execz .LBB112_28
; %bb.27:                               ;   in Loop: Header=BB112_20 Depth=1
	v_bcnt_u32_b32 v0, v0, 0
	v_bcnt_u32_b32 v0, v1, v0
	s_waitcnt lgkmcnt(0)
	v_add_u32_e32 v0, v42, v0
	ds_write_b32 v43, v0 offset:16
.LBB112_28:                             ;   in Loop: Header=BB112_20 Depth=1
	s_or_b64 exec, exec, s[26:27]
	; wave barrier
	s_waitcnt lgkmcnt(0)
	s_barrier
	ds_read2_b64 v[0:3], v17 offset0:2 offset1:3
	s_waitcnt lgkmcnt(0)
	v_add_u32_e32 v44, v1, v0
	v_add3_u32 v3, v44, v2, v3
	s_nop 1
	v_mov_b32_dpp v44, v3 row_shr:1 row_mask:0xf bank_mask:0xf
	v_cndmask_b32_e64 v44, v44, 0, s[0:1]
	v_add_u32_e32 v3, v44, v3
	s_nop 1
	v_mov_b32_dpp v44, v3 row_shr:2 row_mask:0xf bank_mask:0xf
	v_cndmask_b32_e64 v44, 0, v44, s[2:3]
	v_add_u32_e32 v3, v3, v44
	;; [unrolled: 4-line block ×4, first 2 shown]
	s_nop 1
	v_mov_b32_dpp v44, v3 row_bcast:15 row_mask:0xf bank_mask:0xf
	v_cndmask_b32_e64 v44, v44, 0, s[8:9]
	v_add_u32_e32 v3, v3, v44
	s_nop 1
	v_mov_b32_dpp v44, v3 row_bcast:31 row_mask:0xf bank_mask:0xf
	v_cndmask_b32_e64 v44, 0, v44, s[10:11]
	v_add_u32_e32 v3, v3, v44
	s_and_saveexec_b64 s[26:27], s[12:13]
; %bb.29:                               ;   in Loop: Header=BB112_20 Depth=1
	ds_write_b32 v36, v3
; %bb.30:                               ;   in Loop: Header=BB112_20 Depth=1
	s_or_b64 exec, exec, s[26:27]
	s_waitcnt lgkmcnt(0)
	s_barrier
	s_and_saveexec_b64 s[26:27], s[14:15]
	s_cbranch_execz .LBB112_32
; %bb.31:                               ;   in Loop: Header=BB112_20 Depth=1
	ds_read_b32 v44, v39
	s_waitcnt lgkmcnt(0)
	s_nop 0
	v_mov_b32_dpp v45, v44 row_shr:1 row_mask:0xf bank_mask:0xf
	v_cndmask_b32_e64 v45, v45, 0, s[22:23]
	v_add_u32_e32 v44, v45, v44
	s_nop 1
	v_mov_b32_dpp v45, v44 row_shr:2 row_mask:0xf bank_mask:0xf
	v_cndmask_b32_e64 v45, 0, v45, s[24:25]
	v_add_u32_e32 v44, v44, v45
	ds_write_b32 v39, v44
.LBB112_32:                             ;   in Loop: Header=BB112_20 Depth=1
	s_or_b64 exec, exec, s[26:27]
	v_mov_b32_e32 v44, 0
	s_waitcnt lgkmcnt(0)
	s_barrier
	s_and_saveexec_b64 s[26:27], s[16:17]
; %bb.33:                               ;   in Loop: Header=BB112_20 Depth=1
	ds_read_b32 v44, v37
; %bb.34:                               ;   in Loop: Header=BB112_20 Depth=1
	s_or_b64 exec, exec, s[26:27]
	s_waitcnt lgkmcnt(0)
	v_add_u32_e32 v3, v44, v3
	ds_bpermute_b32 v3, v35, v3
	v_lshlrev_b32_e32 v4, 3, v4
	s_add_i32 s34, s34, 8
	s_cmp_ge_u32 s34, s36
	s_mov_b64 s[26:27], -1
	s_waitcnt lgkmcnt(0)
	v_cndmask_b32_e64 v3, v3, v44, s[18:19]
	v_cndmask_b32_e64 v44, v3, 0, s[20:21]
	v_add_u32_e32 v45, v44, v0
	v_add_u32_e32 v0, v45, v1
	;; [unrolled: 1-line block ×3, first 2 shown]
	ds_write2_b64 v17, v[44:45], v[0:1] offset0:2 offset1:3
	s_waitcnt lgkmcnt(0)
	s_barrier
	ds_read_b32 v0, v5 offset:16
	ds_read_b32 v1, v7 offset:16
	ds_read_b32 v2, v40 offset:16
	ds_read_b32 v3, v43 offset:16
	v_lshlrev_b32_e32 v5, 3, v6
	s_waitcnt lgkmcnt(3)
	v_lshl_add_u32 v0, v0, 3, v4
	v_lshlrev_b32_e32 v4, 3, v8
	s_waitcnt lgkmcnt(2)
	v_lshlrev_b32_e32 v1, 3, v1
	v_add3_u32 v1, v4, v5, v1
	v_lshlrev_b32_e32 v4, 3, v41
	v_lshlrev_b32_e32 v5, 3, v9
	s_waitcnt lgkmcnt(1)
	v_lshlrev_b32_e32 v2, 3, v2
	v_add3_u32 v40, v4, v5, v2
	v_lshlrev_b32_e32 v2, 3, v14
	v_lshlrev_b32_e32 v4, 3, v42
	s_waitcnt lgkmcnt(0)
	v_lshlrev_b32_e32 v3, 3, v3
	v_add3_u32 v41, v2, v4, v3
                                        ; implicit-def: $vgpr8_vgpr9
                                        ; implicit-def: $vgpr42_vgpr43
                                        ; implicit-def: $vgpr46_vgpr47
	s_cbranch_scc1 .LBB112_19
; %bb.35:                               ;   in Loop: Header=BB112_20 Depth=1
	s_barrier
	ds_write_b64 v0, v[32:33]
	ds_write_b64 v1, v[30:31]
	;; [unrolled: 1-line block ×4, first 2 shown]
	s_waitcnt lgkmcnt(0)
	s_barrier
	ds_read2st64_b64 v[2:5], v38 offset1:1
	ds_read2st64_b64 v[6:9], v38 offset0:2 offset1:3
	s_waitcnt lgkmcnt(0)
	s_barrier
	ds_write_b64 v0, v[24:25]
	ds_write_b64 v1, v[22:23]
	ds_write_b64 v40, v[20:21]
	ds_write_b64 v41, v[18:19]
	s_waitcnt lgkmcnt(0)
	s_barrier
	ds_read2st64_b64 v[42:45], v38 offset1:1
	ds_read2st64_b64 v[46:49], v38 offset0:2 offset1:3
	s_add_i32 s35, s35, -8
	s_mov_b64 s[26:27], 0
	s_waitcnt lgkmcnt(0)
	s_barrier
	s_branch .LBB112_19
.LBB112_36:
	s_barrier
	ds_write_b64 v0, v[32:33]
	ds_write_b64 v1, v[30:31]
	;; [unrolled: 1-line block ×4, first 2 shown]
	v_lshlrev_b32_e32 v26, 3, v16
	s_waitcnt lgkmcnt(0)
	s_barrier
	ds_read2st64_b64 v[12:15], v26 offset1:4
	ds_read2st64_b64 v[8:11], v26 offset0:8 offset1:12
	s_waitcnt lgkmcnt(0)
	s_barrier
	ds_write_b64 v0, v[24:25]
	ds_write_b64 v1, v[22:23]
	;; [unrolled: 1-line block ×4, first 2 shown]
	s_waitcnt lgkmcnt(0)
	s_barrier
	ds_read2st64_b64 v[4:7], v26 offset1:4
	ds_read2st64_b64 v[0:3], v26 offset0:8 offset1:12
	s_add_u32 s0, s38, s28
	s_addc_u32 s1, s39, s29
	v_mov_b32_e32 v27, 0
	v_xor_b32_e32 v13, 0x80000000, v13
	v_xor_b32_e32 v15, 0x80000000, v15
	;; [unrolled: 1-line block ×4, first 2 shown]
	s_andn2_b64 vcc, exec, s[30:31]
	v_lshl_add_u64 v[18:19], s[0:1], 0, v[26:27]
	s_cbranch_vccnz .LBB112_38
; %bb.37:
	v_add_co_u32_e32 v20, vcc, 0x1000, v18
	s_add_u32 s0, s42, s28
	s_nop 0
	v_addc_co_u32_e32 v21, vcc, 0, v19, vcc
	s_addc_u32 s1, s43, s29
	global_store_dwordx2 v[18:19], v[12:13], off
	global_store_dwordx2 v[18:19], v[14:15], off offset:2048
	global_store_dwordx2 v[20:21], v[8:9], off
	global_store_dwordx2 v[20:21], v[10:11], off offset:2048
	v_lshl_add_u64 v[20:21], s[0:1], 0, v[26:27]
	v_add_co_u32_e32 v20, vcc, 0x1000, v20
	s_waitcnt lgkmcnt(1)
	global_store_dwordx2 v26, v[4:5], s[0:1]
	global_store_dwordx2 v26, v[6:7], s[0:1] offset:2048
	v_addc_co_u32_e32 v21, vcc, 0, v21, vcc
	s_mov_b64 s[6:7], -1
	s_waitcnt lgkmcnt(0)
	global_store_dwordx2 v[20:21], v[0:1], off
	s_cbranch_execz .LBB112_39
	s_branch .LBB112_52
.LBB112_38:
	s_mov_b64 s[6:7], 0
.LBB112_39:
	v_cmp_gt_u32_e64 s[0:1], s33, v16
	s_and_saveexec_b64 s[2:3], s[0:1]
	s_cbranch_execz .LBB112_41
; %bb.40:
	global_store_dwordx2 v[18:19], v[12:13], off
.LBB112_41:
	s_or_b64 exec, exec, s[2:3]
	v_add_u32_e32 v12, 0x100, v16
	v_cmp_gt_u32_e64 s[2:3], s33, v12
	s_and_saveexec_b64 s[4:5], s[2:3]
	s_cbranch_execz .LBB112_43
; %bb.42:
	global_store_dwordx2 v[18:19], v[14:15], off offset:2048
.LBB112_43:
	s_or_b64 exec, exec, s[4:5]
	v_add_u32_e32 v12, 0x200, v16
	v_cmp_gt_u32_e64 s[4:5], s33, v12
	s_and_saveexec_b64 s[6:7], s[4:5]
	s_cbranch_execz .LBB112_45
; %bb.44:
	v_add_co_u32_e32 v12, vcc, 0x1000, v18
	s_nop 1
	v_addc_co_u32_e32 v13, vcc, 0, v19, vcc
	global_store_dwordx2 v[12:13], v[8:9], off
.LBB112_45:
	s_or_b64 exec, exec, s[6:7]
	v_add_u32_e32 v8, 0x300, v16
	v_cmp_gt_u32_e64 s[6:7], s33, v8
	s_and_saveexec_b64 s[8:9], s[6:7]
	s_cbranch_execz .LBB112_47
; %bb.46:
	v_add_co_u32_e32 v8, vcc, 0x1000, v18
	s_nop 1
	v_addc_co_u32_e32 v9, vcc, 0, v19, vcc
	global_store_dwordx2 v[8:9], v[10:11], off offset:2048
.LBB112_47:
	s_or_b64 exec, exec, s[8:9]
	s_add_u32 s8, s42, s28
	s_addc_u32 s9, s43, s29
	v_mov_b32_e32 v27, 0
	v_lshl_add_u64 v[8:9], s[8:9], 0, v[26:27]
	s_and_saveexec_b64 s[8:9], s[0:1]
	s_cbranch_execnz .LBB112_57
; %bb.48:
	s_or_b64 exec, exec, s[8:9]
	s_and_saveexec_b64 s[0:1], s[2:3]
	s_cbranch_execnz .LBB112_58
.LBB112_49:
	s_or_b64 exec, exec, s[0:1]
	s_and_saveexec_b64 s[0:1], s[4:5]
	s_cbranch_execz .LBB112_51
.LBB112_50:
	s_waitcnt lgkmcnt(1)
	v_add_co_u32_e32 v4, vcc, 0x1000, v8
	s_nop 1
	v_addc_co_u32_e32 v5, vcc, 0, v9, vcc
	s_waitcnt lgkmcnt(0)
	global_store_dwordx2 v[4:5], v[0:1], off
.LBB112_51:
	s_or_b64 exec, exec, s[0:1]
.LBB112_52:
	s_and_saveexec_b64 s[0:1], s[6:7]
	s_cbranch_execnz .LBB112_54
; %bb.53:
	s_endpgm
.LBB112_54:
	s_add_u32 s0, s42, s28
	s_addc_u32 s1, s43, s29
	v_mov_b32_e32 v27, 0
	s_waitcnt lgkmcnt(0)
	v_lshl_add_u64 v[0:1], s[0:1], 0, v[26:27]
	v_add_co_u32_e32 v0, vcc, 0x1000, v0
	s_nop 1
	v_addc_co_u32_e32 v1, vcc, 0, v1, vcc
	global_store_dwordx2 v[0:1], v[2:3], off offset:2048
	s_endpgm
.LBB112_55:
	global_load_dwordx2 v[42:43], v[14:15], off
	s_or_b64 exec, exec, s[8:9]
	s_and_saveexec_b64 s[8:9], s[2:3]
	s_cbranch_execz .LBB112_13
.LBB112_56:
	global_load_dwordx2 v[44:45], v[14:15], off offset:512
	s_or_b64 exec, exec, s[8:9]
                                        ; implicit-def: $vgpr46_vgpr47
	s_and_saveexec_b64 s[2:3], s[4:5]
	s_cbranch_execnz .LBB112_14
	s_branch .LBB112_15
.LBB112_57:
	s_waitcnt lgkmcnt(1)
	global_store_dwordx2 v[8:9], v[4:5], off
	s_or_b64 exec, exec, s[8:9]
	s_and_saveexec_b64 s[0:1], s[2:3]
	s_cbranch_execz .LBB112_49
.LBB112_58:
	s_waitcnt lgkmcnt(1)
	global_store_dwordx2 v[8:9], v[6:7], off offset:2048
	s_or_b64 exec, exec, s[0:1]
	s_and_saveexec_b64 s[0:1], s[4:5]
	s_cbranch_execnz .LBB112_50
	s_branch .LBB112_51
	.section	.rodata,"a",@progbits
	.p2align	6, 0x0
	.amdhsa_kernel _ZN7rocprim17ROCPRIM_304000_NS6detail28radix_sort_block_sort_kernelINS1_36wrapped_radix_sort_block_sort_configINS0_13kernel_configILj256ELj4ELj4294967295EEElN2at4cuda3cub6detail10OpaqueTypeILi8EEEEELb0EPKlPlPKSB_PSB_NS0_19identity_decomposerEEEvT1_T2_T3_T4_jT5_jj
		.amdhsa_group_segment_fixed_size 8192
		.amdhsa_private_segment_fixed_size 0
		.amdhsa_kernarg_size 304
		.amdhsa_user_sgpr_count 2
		.amdhsa_user_sgpr_dispatch_ptr 0
		.amdhsa_user_sgpr_queue_ptr 0
		.amdhsa_user_sgpr_kernarg_segment_ptr 1
		.amdhsa_user_sgpr_dispatch_id 0
		.amdhsa_user_sgpr_kernarg_preload_length 0
		.amdhsa_user_sgpr_kernarg_preload_offset 0
		.amdhsa_user_sgpr_private_segment_size 0
		.amdhsa_uses_dynamic_stack 0
		.amdhsa_enable_private_segment 0
		.amdhsa_system_sgpr_workgroup_id_x 1
		.amdhsa_system_sgpr_workgroup_id_y 0
		.amdhsa_system_sgpr_workgroup_id_z 0
		.amdhsa_system_sgpr_workgroup_info 0
		.amdhsa_system_vgpr_workitem_id 2
		.amdhsa_next_free_vgpr 50
		.amdhsa_next_free_sgpr 44
		.amdhsa_accum_offset 52
		.amdhsa_reserve_vcc 1
		.amdhsa_float_round_mode_32 0
		.amdhsa_float_round_mode_16_64 0
		.amdhsa_float_denorm_mode_32 3
		.amdhsa_float_denorm_mode_16_64 3
		.amdhsa_dx10_clamp 1
		.amdhsa_ieee_mode 1
		.amdhsa_fp16_overflow 0
		.amdhsa_tg_split 0
		.amdhsa_exception_fp_ieee_invalid_op 0
		.amdhsa_exception_fp_denorm_src 0
		.amdhsa_exception_fp_ieee_div_zero 0
		.amdhsa_exception_fp_ieee_overflow 0
		.amdhsa_exception_fp_ieee_underflow 0
		.amdhsa_exception_fp_ieee_inexact 0
		.amdhsa_exception_int_div_zero 0
	.end_amdhsa_kernel
	.section	.text._ZN7rocprim17ROCPRIM_304000_NS6detail28radix_sort_block_sort_kernelINS1_36wrapped_radix_sort_block_sort_configINS0_13kernel_configILj256ELj4ELj4294967295EEElN2at4cuda3cub6detail10OpaqueTypeILi8EEEEELb0EPKlPlPKSB_PSB_NS0_19identity_decomposerEEEvT1_T2_T3_T4_jT5_jj,"axG",@progbits,_ZN7rocprim17ROCPRIM_304000_NS6detail28radix_sort_block_sort_kernelINS1_36wrapped_radix_sort_block_sort_configINS0_13kernel_configILj256ELj4ELj4294967295EEElN2at4cuda3cub6detail10OpaqueTypeILi8EEEEELb0EPKlPlPKSB_PSB_NS0_19identity_decomposerEEEvT1_T2_T3_T4_jT5_jj,comdat
.Lfunc_end112:
	.size	_ZN7rocprim17ROCPRIM_304000_NS6detail28radix_sort_block_sort_kernelINS1_36wrapped_radix_sort_block_sort_configINS0_13kernel_configILj256ELj4ELj4294967295EEElN2at4cuda3cub6detail10OpaqueTypeILi8EEEEELb0EPKlPlPKSB_PSB_NS0_19identity_decomposerEEEvT1_T2_T3_T4_jT5_jj, .Lfunc_end112-_ZN7rocprim17ROCPRIM_304000_NS6detail28radix_sort_block_sort_kernelINS1_36wrapped_radix_sort_block_sort_configINS0_13kernel_configILj256ELj4ELj4294967295EEElN2at4cuda3cub6detail10OpaqueTypeILi8EEEEELb0EPKlPlPKSB_PSB_NS0_19identity_decomposerEEEvT1_T2_T3_T4_jT5_jj
                                        ; -- End function
	.set _ZN7rocprim17ROCPRIM_304000_NS6detail28radix_sort_block_sort_kernelINS1_36wrapped_radix_sort_block_sort_configINS0_13kernel_configILj256ELj4ELj4294967295EEElN2at4cuda3cub6detail10OpaqueTypeILi8EEEEELb0EPKlPlPKSB_PSB_NS0_19identity_decomposerEEEvT1_T2_T3_T4_jT5_jj.num_vgpr, 50
	.set _ZN7rocprim17ROCPRIM_304000_NS6detail28radix_sort_block_sort_kernelINS1_36wrapped_radix_sort_block_sort_configINS0_13kernel_configILj256ELj4ELj4294967295EEElN2at4cuda3cub6detail10OpaqueTypeILi8EEEEELb0EPKlPlPKSB_PSB_NS0_19identity_decomposerEEEvT1_T2_T3_T4_jT5_jj.num_agpr, 0
	.set _ZN7rocprim17ROCPRIM_304000_NS6detail28radix_sort_block_sort_kernelINS1_36wrapped_radix_sort_block_sort_configINS0_13kernel_configILj256ELj4ELj4294967295EEElN2at4cuda3cub6detail10OpaqueTypeILi8EEEEELb0EPKlPlPKSB_PSB_NS0_19identity_decomposerEEEvT1_T2_T3_T4_jT5_jj.numbered_sgpr, 44
	.set _ZN7rocprim17ROCPRIM_304000_NS6detail28radix_sort_block_sort_kernelINS1_36wrapped_radix_sort_block_sort_configINS0_13kernel_configILj256ELj4ELj4294967295EEElN2at4cuda3cub6detail10OpaqueTypeILi8EEEEELb0EPKlPlPKSB_PSB_NS0_19identity_decomposerEEEvT1_T2_T3_T4_jT5_jj.num_named_barrier, 0
	.set _ZN7rocprim17ROCPRIM_304000_NS6detail28radix_sort_block_sort_kernelINS1_36wrapped_radix_sort_block_sort_configINS0_13kernel_configILj256ELj4ELj4294967295EEElN2at4cuda3cub6detail10OpaqueTypeILi8EEEEELb0EPKlPlPKSB_PSB_NS0_19identity_decomposerEEEvT1_T2_T3_T4_jT5_jj.private_seg_size, 0
	.set _ZN7rocprim17ROCPRIM_304000_NS6detail28radix_sort_block_sort_kernelINS1_36wrapped_radix_sort_block_sort_configINS0_13kernel_configILj256ELj4ELj4294967295EEElN2at4cuda3cub6detail10OpaqueTypeILi8EEEEELb0EPKlPlPKSB_PSB_NS0_19identity_decomposerEEEvT1_T2_T3_T4_jT5_jj.uses_vcc, 1
	.set _ZN7rocprim17ROCPRIM_304000_NS6detail28radix_sort_block_sort_kernelINS1_36wrapped_radix_sort_block_sort_configINS0_13kernel_configILj256ELj4ELj4294967295EEElN2at4cuda3cub6detail10OpaqueTypeILi8EEEEELb0EPKlPlPKSB_PSB_NS0_19identity_decomposerEEEvT1_T2_T3_T4_jT5_jj.uses_flat_scratch, 0
	.set _ZN7rocprim17ROCPRIM_304000_NS6detail28radix_sort_block_sort_kernelINS1_36wrapped_radix_sort_block_sort_configINS0_13kernel_configILj256ELj4ELj4294967295EEElN2at4cuda3cub6detail10OpaqueTypeILi8EEEEELb0EPKlPlPKSB_PSB_NS0_19identity_decomposerEEEvT1_T2_T3_T4_jT5_jj.has_dyn_sized_stack, 0
	.set _ZN7rocprim17ROCPRIM_304000_NS6detail28radix_sort_block_sort_kernelINS1_36wrapped_radix_sort_block_sort_configINS0_13kernel_configILj256ELj4ELj4294967295EEElN2at4cuda3cub6detail10OpaqueTypeILi8EEEEELb0EPKlPlPKSB_PSB_NS0_19identity_decomposerEEEvT1_T2_T3_T4_jT5_jj.has_recursion, 0
	.set _ZN7rocprim17ROCPRIM_304000_NS6detail28radix_sort_block_sort_kernelINS1_36wrapped_radix_sort_block_sort_configINS0_13kernel_configILj256ELj4ELj4294967295EEElN2at4cuda3cub6detail10OpaqueTypeILi8EEEEELb0EPKlPlPKSB_PSB_NS0_19identity_decomposerEEEvT1_T2_T3_T4_jT5_jj.has_indirect_call, 0
	.section	.AMDGPU.csdata,"",@progbits
; Kernel info:
; codeLenInByte = 3916
; TotalNumSgprs: 50
; NumVgprs: 50
; NumAgprs: 0
; TotalNumVgprs: 50
; ScratchSize: 0
; MemoryBound: 1
; FloatMode: 240
; IeeeMode: 1
; LDSByteSize: 8192 bytes/workgroup (compile time only)
; SGPRBlocks: 6
; VGPRBlocks: 6
; NumSGPRsForWavesPerEU: 50
; NumVGPRsForWavesPerEU: 50
; AccumOffset: 52
; Occupancy: 8
; WaveLimiterHint : 1
; COMPUTE_PGM_RSRC2:SCRATCH_EN: 0
; COMPUTE_PGM_RSRC2:USER_SGPR: 2
; COMPUTE_PGM_RSRC2:TRAP_HANDLER: 0
; COMPUTE_PGM_RSRC2:TGID_X_EN: 1
; COMPUTE_PGM_RSRC2:TGID_Y_EN: 0
; COMPUTE_PGM_RSRC2:TGID_Z_EN: 0
; COMPUTE_PGM_RSRC2:TIDIG_COMP_CNT: 2
; COMPUTE_PGM_RSRC3_GFX90A:ACCUM_OFFSET: 12
; COMPUTE_PGM_RSRC3_GFX90A:TG_SPLIT: 0
	.section	.text._ZN7rocprim17ROCPRIM_304000_NS6detail45device_block_merge_mergepath_partition_kernelINS1_37wrapped_merge_sort_block_merge_configINS0_14default_configElN2at4cuda3cub6detail10OpaqueTypeILi8EEEEEPljNS1_19radix_merge_compareILb0ELb0ElNS0_19identity_decomposerEEEEEvT0_T1_jPSH_T2_SH_,"axG",@progbits,_ZN7rocprim17ROCPRIM_304000_NS6detail45device_block_merge_mergepath_partition_kernelINS1_37wrapped_merge_sort_block_merge_configINS0_14default_configElN2at4cuda3cub6detail10OpaqueTypeILi8EEEEEPljNS1_19radix_merge_compareILb0ELb0ElNS0_19identity_decomposerEEEEEvT0_T1_jPSH_T2_SH_,comdat
	.protected	_ZN7rocprim17ROCPRIM_304000_NS6detail45device_block_merge_mergepath_partition_kernelINS1_37wrapped_merge_sort_block_merge_configINS0_14default_configElN2at4cuda3cub6detail10OpaqueTypeILi8EEEEEPljNS1_19radix_merge_compareILb0ELb0ElNS0_19identity_decomposerEEEEEvT0_T1_jPSH_T2_SH_ ; -- Begin function _ZN7rocprim17ROCPRIM_304000_NS6detail45device_block_merge_mergepath_partition_kernelINS1_37wrapped_merge_sort_block_merge_configINS0_14default_configElN2at4cuda3cub6detail10OpaqueTypeILi8EEEEEPljNS1_19radix_merge_compareILb0ELb0ElNS0_19identity_decomposerEEEEEvT0_T1_jPSH_T2_SH_
	.globl	_ZN7rocprim17ROCPRIM_304000_NS6detail45device_block_merge_mergepath_partition_kernelINS1_37wrapped_merge_sort_block_merge_configINS0_14default_configElN2at4cuda3cub6detail10OpaqueTypeILi8EEEEEPljNS1_19radix_merge_compareILb0ELb0ElNS0_19identity_decomposerEEEEEvT0_T1_jPSH_T2_SH_
	.p2align	8
	.type	_ZN7rocprim17ROCPRIM_304000_NS6detail45device_block_merge_mergepath_partition_kernelINS1_37wrapped_merge_sort_block_merge_configINS0_14default_configElN2at4cuda3cub6detail10OpaqueTypeILi8EEEEEPljNS1_19radix_merge_compareILb0ELb0ElNS0_19identity_decomposerEEEEEvT0_T1_jPSH_T2_SH_,@function
_ZN7rocprim17ROCPRIM_304000_NS6detail45device_block_merge_mergepath_partition_kernelINS1_37wrapped_merge_sort_block_merge_configINS0_14default_configElN2at4cuda3cub6detail10OpaqueTypeILi8EEEEEPljNS1_19radix_merge_compareILb0ELb0ElNS0_19identity_decomposerEEEEEvT0_T1_jPSH_T2_SH_: ; @_ZN7rocprim17ROCPRIM_304000_NS6detail45device_block_merge_mergepath_partition_kernelINS1_37wrapped_merge_sort_block_merge_configINS0_14default_configElN2at4cuda3cub6detail10OpaqueTypeILi8EEEEEPljNS1_19radix_merge_compareILb0ELb0ElNS0_19identity_decomposerEEEEEvT0_T1_jPSH_T2_SH_
; %bb.0:
	s_load_dwordx2 s[4:5], s[0:1], 0x8
	v_lshl_or_b32 v0, s2, 7, v0
	s_waitcnt lgkmcnt(0)
	v_cmp_gt_u32_e32 vcc, s5, v0
	s_and_saveexec_b64 s[2:3], vcc
	s_cbranch_execz .LBB113_6
; %bb.1:
	s_load_dword s2, s[0:1], 0x1c
	s_waitcnt lgkmcnt(0)
	s_lshr_b32 s3, s2, 9
	s_and_b32 s3, s3, 0x7ffffe
	s_add_i32 s5, s3, -1
	s_sub_i32 s3, 0, s3
	v_and_b32_e32 v1, s3, v0
	v_and_b32_e32 v2, s5, v0
	v_lshlrev_b32_e32 v1, 10, v1
	v_lshlrev_b32_e32 v3, 10, v2
	v_min_u32_e32 v2, s4, v1
	v_add_u32_e32 v1, s2, v1
	v_min_u32_e32 v4, s4, v1
	v_add_u32_e32 v1, s2, v4
	v_min_u32_e32 v1, s4, v1
	v_sub_u32_e32 v5, v1, v2
	v_min_u32_e32 v10, v5, v3
	v_sub_u32_e32 v3, v4, v2
	v_sub_u32_e32 v1, v1, v4
	v_sub_u32_e64 v1, v10, v1 clamp
	v_min_u32_e32 v11, v10, v3
	v_cmp_lt_u32_e32 vcc, v1, v11
	s_and_saveexec_b64 s[2:3], vcc
	s_cbranch_execz .LBB113_5
; %bb.2:
	s_load_dwordx2 s[4:5], s[0:1], 0x0
	v_mov_b32_e32 v5, 0
	v_mov_b32_e32 v3, v5
	s_waitcnt lgkmcnt(0)
	v_lshl_add_u64 v[6:7], v[2:3], 3, s[4:5]
	v_lshl_add_u64 v[8:9], v[4:5], 3, s[4:5]
	s_mov_b64 s[4:5], 0
.LBB113_3:                              ; =>This Inner Loop Header: Depth=1
	v_add_u32_e32 v3, v11, v1
	v_lshrrev_b32_e32 v4, 1, v3
	v_mov_b32_e32 v13, v5
	v_xad_u32 v12, v4, -1, v10
	v_lshl_add_u64 v[14:15], v[4:5], 3, v[6:7]
	v_lshl_add_u64 v[12:13], v[12:13], 3, v[8:9]
	global_load_dwordx2 v[16:17], v[14:15], off
	global_load_dwordx2 v[18:19], v[12:13], off
	v_add_u32_e32 v3, 1, v4
	s_waitcnt vmcnt(0)
	v_cmp_gt_i64_e32 vcc, v[16:17], v[18:19]
	s_nop 1
	v_cndmask_b32_e32 v11, v11, v4, vcc
	v_cndmask_b32_e32 v1, v3, v1, vcc
	v_cmp_ge_u32_e32 vcc, v1, v11
	s_or_b64 s[4:5], vcc, s[4:5]
	s_andn2_b64 exec, exec, s[4:5]
	s_cbranch_execnz .LBB113_3
; %bb.4:
	s_or_b64 exec, exec, s[4:5]
.LBB113_5:
	s_or_b64 exec, exec, s[2:3]
	s_load_dwordx2 s[0:1], s[0:1], 0x10
	v_add_u32_e32 v2, v1, v2
	v_mov_b32_e32 v1, 0
	s_waitcnt lgkmcnt(0)
	v_lshl_add_u64 v[0:1], v[0:1], 2, s[0:1]
	global_store_dword v[0:1], v2, off
.LBB113_6:
	s_endpgm
	.section	.rodata,"a",@progbits
	.p2align	6, 0x0
	.amdhsa_kernel _ZN7rocprim17ROCPRIM_304000_NS6detail45device_block_merge_mergepath_partition_kernelINS1_37wrapped_merge_sort_block_merge_configINS0_14default_configElN2at4cuda3cub6detail10OpaqueTypeILi8EEEEEPljNS1_19radix_merge_compareILb0ELb0ElNS0_19identity_decomposerEEEEEvT0_T1_jPSH_T2_SH_
		.amdhsa_group_segment_fixed_size 0
		.amdhsa_private_segment_fixed_size 0
		.amdhsa_kernarg_size 32
		.amdhsa_user_sgpr_count 2
		.amdhsa_user_sgpr_dispatch_ptr 0
		.amdhsa_user_sgpr_queue_ptr 0
		.amdhsa_user_sgpr_kernarg_segment_ptr 1
		.amdhsa_user_sgpr_dispatch_id 0
		.amdhsa_user_sgpr_kernarg_preload_length 0
		.amdhsa_user_sgpr_kernarg_preload_offset 0
		.amdhsa_user_sgpr_private_segment_size 0
		.amdhsa_uses_dynamic_stack 0
		.amdhsa_enable_private_segment 0
		.amdhsa_system_sgpr_workgroup_id_x 1
		.amdhsa_system_sgpr_workgroup_id_y 0
		.amdhsa_system_sgpr_workgroup_id_z 0
		.amdhsa_system_sgpr_workgroup_info 0
		.amdhsa_system_vgpr_workitem_id 0
		.amdhsa_next_free_vgpr 20
		.amdhsa_next_free_sgpr 6
		.amdhsa_accum_offset 20
		.amdhsa_reserve_vcc 1
		.amdhsa_float_round_mode_32 0
		.amdhsa_float_round_mode_16_64 0
		.amdhsa_float_denorm_mode_32 3
		.amdhsa_float_denorm_mode_16_64 3
		.amdhsa_dx10_clamp 1
		.amdhsa_ieee_mode 1
		.amdhsa_fp16_overflow 0
		.amdhsa_tg_split 0
		.amdhsa_exception_fp_ieee_invalid_op 0
		.amdhsa_exception_fp_denorm_src 0
		.amdhsa_exception_fp_ieee_div_zero 0
		.amdhsa_exception_fp_ieee_overflow 0
		.amdhsa_exception_fp_ieee_underflow 0
		.amdhsa_exception_fp_ieee_inexact 0
		.amdhsa_exception_int_div_zero 0
	.end_amdhsa_kernel
	.section	.text._ZN7rocprim17ROCPRIM_304000_NS6detail45device_block_merge_mergepath_partition_kernelINS1_37wrapped_merge_sort_block_merge_configINS0_14default_configElN2at4cuda3cub6detail10OpaqueTypeILi8EEEEEPljNS1_19radix_merge_compareILb0ELb0ElNS0_19identity_decomposerEEEEEvT0_T1_jPSH_T2_SH_,"axG",@progbits,_ZN7rocprim17ROCPRIM_304000_NS6detail45device_block_merge_mergepath_partition_kernelINS1_37wrapped_merge_sort_block_merge_configINS0_14default_configElN2at4cuda3cub6detail10OpaqueTypeILi8EEEEEPljNS1_19radix_merge_compareILb0ELb0ElNS0_19identity_decomposerEEEEEvT0_T1_jPSH_T2_SH_,comdat
.Lfunc_end113:
	.size	_ZN7rocprim17ROCPRIM_304000_NS6detail45device_block_merge_mergepath_partition_kernelINS1_37wrapped_merge_sort_block_merge_configINS0_14default_configElN2at4cuda3cub6detail10OpaqueTypeILi8EEEEEPljNS1_19radix_merge_compareILb0ELb0ElNS0_19identity_decomposerEEEEEvT0_T1_jPSH_T2_SH_, .Lfunc_end113-_ZN7rocprim17ROCPRIM_304000_NS6detail45device_block_merge_mergepath_partition_kernelINS1_37wrapped_merge_sort_block_merge_configINS0_14default_configElN2at4cuda3cub6detail10OpaqueTypeILi8EEEEEPljNS1_19radix_merge_compareILb0ELb0ElNS0_19identity_decomposerEEEEEvT0_T1_jPSH_T2_SH_
                                        ; -- End function
	.set _ZN7rocprim17ROCPRIM_304000_NS6detail45device_block_merge_mergepath_partition_kernelINS1_37wrapped_merge_sort_block_merge_configINS0_14default_configElN2at4cuda3cub6detail10OpaqueTypeILi8EEEEEPljNS1_19radix_merge_compareILb0ELb0ElNS0_19identity_decomposerEEEEEvT0_T1_jPSH_T2_SH_.num_vgpr, 20
	.set _ZN7rocprim17ROCPRIM_304000_NS6detail45device_block_merge_mergepath_partition_kernelINS1_37wrapped_merge_sort_block_merge_configINS0_14default_configElN2at4cuda3cub6detail10OpaqueTypeILi8EEEEEPljNS1_19radix_merge_compareILb0ELb0ElNS0_19identity_decomposerEEEEEvT0_T1_jPSH_T2_SH_.num_agpr, 0
	.set _ZN7rocprim17ROCPRIM_304000_NS6detail45device_block_merge_mergepath_partition_kernelINS1_37wrapped_merge_sort_block_merge_configINS0_14default_configElN2at4cuda3cub6detail10OpaqueTypeILi8EEEEEPljNS1_19radix_merge_compareILb0ELb0ElNS0_19identity_decomposerEEEEEvT0_T1_jPSH_T2_SH_.numbered_sgpr, 6
	.set _ZN7rocprim17ROCPRIM_304000_NS6detail45device_block_merge_mergepath_partition_kernelINS1_37wrapped_merge_sort_block_merge_configINS0_14default_configElN2at4cuda3cub6detail10OpaqueTypeILi8EEEEEPljNS1_19radix_merge_compareILb0ELb0ElNS0_19identity_decomposerEEEEEvT0_T1_jPSH_T2_SH_.num_named_barrier, 0
	.set _ZN7rocprim17ROCPRIM_304000_NS6detail45device_block_merge_mergepath_partition_kernelINS1_37wrapped_merge_sort_block_merge_configINS0_14default_configElN2at4cuda3cub6detail10OpaqueTypeILi8EEEEEPljNS1_19radix_merge_compareILb0ELb0ElNS0_19identity_decomposerEEEEEvT0_T1_jPSH_T2_SH_.private_seg_size, 0
	.set _ZN7rocprim17ROCPRIM_304000_NS6detail45device_block_merge_mergepath_partition_kernelINS1_37wrapped_merge_sort_block_merge_configINS0_14default_configElN2at4cuda3cub6detail10OpaqueTypeILi8EEEEEPljNS1_19radix_merge_compareILb0ELb0ElNS0_19identity_decomposerEEEEEvT0_T1_jPSH_T2_SH_.uses_vcc, 1
	.set _ZN7rocprim17ROCPRIM_304000_NS6detail45device_block_merge_mergepath_partition_kernelINS1_37wrapped_merge_sort_block_merge_configINS0_14default_configElN2at4cuda3cub6detail10OpaqueTypeILi8EEEEEPljNS1_19radix_merge_compareILb0ELb0ElNS0_19identity_decomposerEEEEEvT0_T1_jPSH_T2_SH_.uses_flat_scratch, 0
	.set _ZN7rocprim17ROCPRIM_304000_NS6detail45device_block_merge_mergepath_partition_kernelINS1_37wrapped_merge_sort_block_merge_configINS0_14default_configElN2at4cuda3cub6detail10OpaqueTypeILi8EEEEEPljNS1_19radix_merge_compareILb0ELb0ElNS0_19identity_decomposerEEEEEvT0_T1_jPSH_T2_SH_.has_dyn_sized_stack, 0
	.set _ZN7rocprim17ROCPRIM_304000_NS6detail45device_block_merge_mergepath_partition_kernelINS1_37wrapped_merge_sort_block_merge_configINS0_14default_configElN2at4cuda3cub6detail10OpaqueTypeILi8EEEEEPljNS1_19radix_merge_compareILb0ELb0ElNS0_19identity_decomposerEEEEEvT0_T1_jPSH_T2_SH_.has_recursion, 0
	.set _ZN7rocprim17ROCPRIM_304000_NS6detail45device_block_merge_mergepath_partition_kernelINS1_37wrapped_merge_sort_block_merge_configINS0_14default_configElN2at4cuda3cub6detail10OpaqueTypeILi8EEEEEPljNS1_19radix_merge_compareILb0ELb0ElNS0_19identity_decomposerEEEEEvT0_T1_jPSH_T2_SH_.has_indirect_call, 0
	.section	.AMDGPU.csdata,"",@progbits
; Kernel info:
; codeLenInByte = 320
; TotalNumSgprs: 12
; NumVgprs: 20
; NumAgprs: 0
; TotalNumVgprs: 20
; ScratchSize: 0
; MemoryBound: 0
; FloatMode: 240
; IeeeMode: 1
; LDSByteSize: 0 bytes/workgroup (compile time only)
; SGPRBlocks: 1
; VGPRBlocks: 2
; NumSGPRsForWavesPerEU: 12
; NumVGPRsForWavesPerEU: 20
; AccumOffset: 20
; Occupancy: 8
; WaveLimiterHint : 0
; COMPUTE_PGM_RSRC2:SCRATCH_EN: 0
; COMPUTE_PGM_RSRC2:USER_SGPR: 2
; COMPUTE_PGM_RSRC2:TRAP_HANDLER: 0
; COMPUTE_PGM_RSRC2:TGID_X_EN: 1
; COMPUTE_PGM_RSRC2:TGID_Y_EN: 0
; COMPUTE_PGM_RSRC2:TGID_Z_EN: 0
; COMPUTE_PGM_RSRC2:TIDIG_COMP_CNT: 0
; COMPUTE_PGM_RSRC3_GFX90A:ACCUM_OFFSET: 4
; COMPUTE_PGM_RSRC3_GFX90A:TG_SPLIT: 0
	.section	.text._ZN7rocprim17ROCPRIM_304000_NS6detail35device_block_merge_mergepath_kernelINS1_37wrapped_merge_sort_block_merge_configINS0_14default_configElN2at4cuda3cub6detail10OpaqueTypeILi8EEEEEPlSC_PSA_SD_jNS1_19radix_merge_compareILb0ELb0ElNS0_19identity_decomposerEEEEEvT0_T1_T2_T3_T4_SL_jT5_PKSL_NS1_7vsmem_tE,"axG",@progbits,_ZN7rocprim17ROCPRIM_304000_NS6detail35device_block_merge_mergepath_kernelINS1_37wrapped_merge_sort_block_merge_configINS0_14default_configElN2at4cuda3cub6detail10OpaqueTypeILi8EEEEEPlSC_PSA_SD_jNS1_19radix_merge_compareILb0ELb0ElNS0_19identity_decomposerEEEEEvT0_T1_T2_T3_T4_SL_jT5_PKSL_NS1_7vsmem_tE,comdat
	.protected	_ZN7rocprim17ROCPRIM_304000_NS6detail35device_block_merge_mergepath_kernelINS1_37wrapped_merge_sort_block_merge_configINS0_14default_configElN2at4cuda3cub6detail10OpaqueTypeILi8EEEEEPlSC_PSA_SD_jNS1_19radix_merge_compareILb0ELb0ElNS0_19identity_decomposerEEEEEvT0_T1_T2_T3_T4_SL_jT5_PKSL_NS1_7vsmem_tE ; -- Begin function _ZN7rocprim17ROCPRIM_304000_NS6detail35device_block_merge_mergepath_kernelINS1_37wrapped_merge_sort_block_merge_configINS0_14default_configElN2at4cuda3cub6detail10OpaqueTypeILi8EEEEEPlSC_PSA_SD_jNS1_19radix_merge_compareILb0ELb0ElNS0_19identity_decomposerEEEEEvT0_T1_T2_T3_T4_SL_jT5_PKSL_NS1_7vsmem_tE
	.globl	_ZN7rocprim17ROCPRIM_304000_NS6detail35device_block_merge_mergepath_kernelINS1_37wrapped_merge_sort_block_merge_configINS0_14default_configElN2at4cuda3cub6detail10OpaqueTypeILi8EEEEEPlSC_PSA_SD_jNS1_19radix_merge_compareILb0ELb0ElNS0_19identity_decomposerEEEEEvT0_T1_T2_T3_T4_SL_jT5_PKSL_NS1_7vsmem_tE
	.p2align	8
	.type	_ZN7rocprim17ROCPRIM_304000_NS6detail35device_block_merge_mergepath_kernelINS1_37wrapped_merge_sort_block_merge_configINS0_14default_configElN2at4cuda3cub6detail10OpaqueTypeILi8EEEEEPlSC_PSA_SD_jNS1_19radix_merge_compareILb0ELb0ElNS0_19identity_decomposerEEEEEvT0_T1_T2_T3_T4_SL_jT5_PKSL_NS1_7vsmem_tE,@function
_ZN7rocprim17ROCPRIM_304000_NS6detail35device_block_merge_mergepath_kernelINS1_37wrapped_merge_sort_block_merge_configINS0_14default_configElN2at4cuda3cub6detail10OpaqueTypeILi8EEEEEPlSC_PSA_SD_jNS1_19radix_merge_compareILb0ELb0ElNS0_19identity_decomposerEEEEEvT0_T1_T2_T3_T4_SL_jT5_PKSL_NS1_7vsmem_tE: ; @_ZN7rocprim17ROCPRIM_304000_NS6detail35device_block_merge_mergepath_kernelINS1_37wrapped_merge_sort_block_merge_configINS0_14default_configElN2at4cuda3cub6detail10OpaqueTypeILi8EEEEEPlSC_PSA_SD_jNS1_19radix_merge_compareILb0ELb0ElNS0_19identity_decomposerEEEEEvT0_T1_T2_T3_T4_SL_jT5_PKSL_NS1_7vsmem_tE
; %bb.0:
	s_load_dwordx2 s[34:35], s[0:1], 0x40
	s_load_dwordx4 s[16:19], s[0:1], 0x20
	s_add_u32 s30, s0, 64
	s_addc_u32 s31, s1, 0
	s_waitcnt lgkmcnt(0)
	s_mul_i32 s4, s35, s4
	s_add_i32 s3, s4, s3
	s_mul_i32 s3, s3, s34
	s_add_i32 s6, s3, s2
	s_cmp_ge_u32 s6, s18
	s_cbranch_scc1 .LBB114_103
; %bb.1:
	s_load_dwordx8 s[8:15], s[0:1], 0x0
	s_load_dwordx2 s[4:5], s[0:1], 0x30
	s_lshr_b32 s35, s16, 10
	s_cmp_lg_u32 s6, s35
	s_mov_b32 s7, 0
	s_cselect_b64 s[20:21], -1, 0
	s_lshl_b64 s[0:1], s[6:7], 2
	s_waitcnt lgkmcnt(0)
	s_add_u32 s0, s4, s0
	s_addc_u32 s1, s5, s1
	s_load_dwordx2 s[22:23], s[0:1], 0x0
	s_lshr_b32 s0, s17, 9
	s_and_b32 s0, s0, 0x7ffffe
	s_sub_i32 s0, 0, s0
	s_and_b32 s1, s6, s0
	s_lshl_b32 s3, s1, 10
	s_lshl_b32 s18, s6, 10
	;; [unrolled: 1-line block ×3, first 2 shown]
	s_sub_i32 s4, s18, s3
	s_add_i32 s1, s1, s17
	s_add_i32 s4, s1, s4
	s_waitcnt lgkmcnt(0)
	s_sub_i32 s5, s4, s22
	s_sub_i32 s4, s4, s23
	;; [unrolled: 1-line block ×3, first 2 shown]
	s_min_u32 s24, s16, s5
	s_addk_i32 s4, 0x400
	s_or_b32 s0, s6, s0
	s_min_u32 s3, s16, s1
	s_add_i32 s1, s1, s17
	s_cmp_eq_u32 s0, -1
	s_cselect_b32 s0, s1, s4
	s_cselect_b32 s1, s3, s23
	s_min_u32 s0, s0, s16
	s_mov_b32 s23, s7
	s_sub_i32 s19, s1, s22
	s_sub_i32 s33, s0, s24
	s_lshl_b64 s[26:27], s[22:23], 3
	s_add_u32 s0, s8, s26
	s_mov_b32 s25, s7
	s_addc_u32 s1, s9, s27
	s_lshl_b64 s[28:29], s[24:25], 3
	s_add_u32 s4, s8, s28
	s_addc_u32 s5, s9, s29
	s_cmp_lt_u32 s2, s34
	v_mov_b32_e32 v19, 0
	s_cselect_b32 s2, 12, 18
	global_load_dword v1, v19, s[30:31] offset:14
	s_add_u32 s2, s30, s2
	s_addc_u32 s3, s31, 0
	global_load_ushort v2, v19, s[2:3]
	v_cmp_gt_u32_e32 vcc, s19, v0
	s_cmp_eq_u32 s6, s35
	v_lshlrev_b32_e32 v18, 3, v0
	s_waitcnt vmcnt(1)
	v_lshrrev_b32_e32 v3, 16, v1
	v_and_b32_e32 v1, 0xffff, v1
	v_mul_lo_u32 v1, v1, v3
	s_waitcnt vmcnt(0)
	v_mul_lo_u32 v1, v1, v2
	v_add_u32_e32 v20, v1, v0
	s_cbranch_scc1 .LBB114_3
; %bb.2:
	v_subrev_u32_e32 v4, s19, v0
	v_lshlrev_b32_e32 v4, 3, v4
	v_mov_b32_e32 v5, v19
	v_lshl_add_u64 v[2:3], s[0:1], 0, v[18:19]
	v_lshl_add_u64 v[4:5], s[4:5], 0, v[4:5]
	v_cndmask_b32_e32 v3, v5, v3, vcc
	v_cndmask_b32_e32 v2, v4, v2, vcc
	v_mov_b32_e32 v21, v19
	v_subrev_co_u32_e32 v6, vcc, s19, v20
	v_mov_b32_e32 v7, v19
	v_lshl_add_u64 v[4:5], v[20:21], 3, s[0:1]
	v_lshl_add_u64 v[6:7], v[6:7], 3, s[4:5]
	v_add_u32_e32 v8, v20, v1
	v_cndmask_b32_e32 v5, v7, v5, vcc
	v_cndmask_b32_e32 v4, v6, v4, vcc
	v_mov_b32_e32 v9, v19
	v_subrev_co_u32_e32 v10, vcc, s19, v8
	v_mov_b32_e32 v11, v19
	v_lshl_add_u64 v[6:7], v[8:9], 3, s[0:1]
	v_lshl_add_u64 v[10:11], v[10:11], 3, s[4:5]
	v_cndmask_b32_e32 v6, v10, v6, vcc
	v_add_u32_e32 v10, v8, v1
	v_cndmask_b32_e32 v7, v11, v7, vcc
	v_mov_b32_e32 v11, v19
	v_subrev_co_u32_e32 v12, vcc, s19, v10
	v_mov_b32_e32 v13, v19
	v_lshl_add_u64 v[8:9], v[10:11], 3, s[0:1]
	v_lshl_add_u64 v[12:13], v[12:13], 3, s[4:5]
	v_cndmask_b32_e32 v8, v12, v8, vcc
	v_add_u32_e32 v12, v10, v1
	;; [unrolled: 8-line block ×4, first 2 shown]
	v_cndmask_b32_e32 v13, v17, v13, vcc
	v_mov_b32_e32 v17, v19
	v_subrev_co_u32_e32 v22, vcc, s19, v16
	v_mov_b32_e32 v23, v19
	v_lshl_add_u64 v[14:15], v[16:17], 3, s[0:1]
	v_lshl_add_u64 v[22:23], v[22:23], 3, s[4:5]
	v_add_u32_e32 v16, v16, v1
	v_cndmask_b32_e32 v15, v23, v15, vcc
	v_cndmask_b32_e32 v14, v22, v14, vcc
	v_lshl_add_u64 v[22:23], v[16:17], 3, s[0:1]
	v_subrev_co_u32_e32 v16, vcc, s19, v16
	v_lshl_add_u64 v[16:17], v[16:17], 3, s[4:5]
	s_nop 0
	v_cndmask_b32_e32 v17, v17, v23, vcc
	v_cndmask_b32_e32 v16, v16, v22, vcc
	global_load_dwordx2 v[2:3], v[2:3], off
	s_add_i32 s17, s33, s19
	global_load_dwordx2 v[4:5], v[4:5], off
	s_nop 0
	global_load_dwordx2 v[6:7], v[6:7], off
	s_nop 0
	;; [unrolled: 2-line block ×6, first 2 shown]
	global_load_dwordx2 v[16:17], v[16:17], off
	s_cbranch_execz .LBB114_4
	s_branch .LBB114_21
.LBB114_3:
                                        ; implicit-def: $vgpr2_vgpr3_vgpr4_vgpr5_vgpr6_vgpr7_vgpr8_vgpr9_vgpr10_vgpr11_vgpr12_vgpr13_vgpr14_vgpr15_vgpr16_vgpr17
                                        ; implicit-def: $sgpr17
.LBB114_4:
	s_add_i32 s17, s33, s19
	s_waitcnt vmcnt(7)
	v_mov_b32_e32 v2, 0
	v_cmp_gt_u32_e32 vcc, s17, v0
	v_mov_b32_e32 v3, v2
	s_waitcnt vmcnt(6)
	v_mov_b32_e32 v4, v2
	v_mov_b32_e32 v5, v2
	s_waitcnt vmcnt(5)
	v_mov_b32_e32 v6, v2
	;; [unrolled: 3-line block ×7, first 2 shown]
	v_mov_b32_e32 v17, v2
	s_and_saveexec_b64 s[2:3], vcc
	s_cbranch_execz .LBB114_6
; %bb.5:
	v_subrev_u32_e32 v3, s19, v0
	v_mov_b32_e32 v19, v2
	v_lshlrev_b32_e32 v6, 3, v3
	v_mov_b32_e32 v7, v2
	v_lshl_add_u64 v[4:5], s[0:1], 0, v[18:19]
	v_lshl_add_u64 v[6:7], s[4:5], 0, v[6:7]
	v_cmp_gt_u32_e32 vcc, s19, v0
	v_mov_b32_e32 v24, v2
	v_mov_b32_e32 v25, v2
	v_cndmask_b32_e32 v5, v7, v5, vcc
	v_cndmask_b32_e32 v4, v6, v4, vcc
	global_load_dwordx2 v[22:23], v[4:5], off
	v_mov_b32_e32 v26, v2
	v_mov_b32_e32 v27, v2
	;; [unrolled: 1-line block ×12, first 2 shown]
	s_waitcnt vmcnt(0)
	v_mov_b64_e32 v[2:3], v[22:23]
	v_mov_b64_e32 v[4:5], v[24:25]
	v_mov_b64_e32 v[6:7], v[26:27]
	v_mov_b64_e32 v[8:9], v[28:29]
	v_mov_b64_e32 v[10:11], v[30:31]
	v_mov_b64_e32 v[12:13], v[32:33]
	v_mov_b64_e32 v[14:15], v[34:35]
	v_mov_b64_e32 v[16:17], v[36:37]
.LBB114_6:
	s_or_b64 exec, exec, s[2:3]
	v_cmp_gt_u32_e32 vcc, s17, v20
	s_and_saveexec_b64 s[2:3], vcc
	s_cbranch_execz .LBB114_8
; %bb.7:
	v_mov_b32_e32 v21, 0
	v_subrev_co_u32_e32 v22, vcc, s19, v20
	v_mov_b32_e32 v23, v21
	v_lshl_add_u64 v[4:5], v[20:21], 3, s[0:1]
	v_lshl_add_u64 v[22:23], v[22:23], 3, s[4:5]
	v_cndmask_b32_e32 v5, v23, v5, vcc
	v_cndmask_b32_e32 v4, v22, v4, vcc
	global_load_dwordx2 v[4:5], v[4:5], off
.LBB114_8:
	s_or_b64 exec, exec, s[2:3]
	v_add_u32_e32 v20, v20, v1
	v_cmp_gt_u32_e32 vcc, s17, v20
	s_and_saveexec_b64 s[2:3], vcc
	s_cbranch_execz .LBB114_10
; %bb.9:
	v_mov_b32_e32 v21, 0
	v_subrev_co_u32_e32 v22, vcc, s19, v20
	v_mov_b32_e32 v23, v21
	v_lshl_add_u64 v[6:7], v[20:21], 3, s[0:1]
	v_lshl_add_u64 v[22:23], v[22:23], 3, s[4:5]
	v_cndmask_b32_e32 v7, v23, v7, vcc
	v_cndmask_b32_e32 v6, v22, v6, vcc
	global_load_dwordx2 v[6:7], v[6:7], off
.LBB114_10:
	s_or_b64 exec, exec, s[2:3]
	v_add_u32_e32 v20, v20, v1
	;; [unrolled: 15-line block ×6, first 2 shown]
	v_cmp_gt_u32_e32 vcc, s17, v20
	s_and_saveexec_b64 s[2:3], vcc
	s_cbranch_execz .LBB114_20
; %bb.19:
	v_mov_b32_e32 v21, 0
	v_lshl_add_u64 v[16:17], v[20:21], 3, s[0:1]
	v_subrev_co_u32_e32 v20, vcc, s19, v20
	v_lshl_add_u64 v[20:21], v[20:21], 3, s[4:5]
	s_nop 0
	v_cndmask_b32_e32 v17, v21, v17, vcc
	v_cndmask_b32_e32 v16, v20, v16, vcc
	global_load_dwordx2 v[16:17], v[16:17], off
.LBB114_20:
	s_or_b64 exec, exec, s[2:3]
.LBB114_21:
	v_min_u32_e32 v1, s17, v18
	v_sub_u32_e64 v19, v1, s33 clamp
	v_min_u32_e32 v20, s19, v1
	v_cmp_lt_u32_e32 vcc, v19, v20
	s_waitcnt vmcnt(0)
	ds_write2st64_b64 v18, v[2:3], v[4:5] offset1:2
	ds_write2st64_b64 v18, v[6:7], v[8:9] offset0:4 offset1:6
	ds_write2st64_b64 v18, v[10:11], v[12:13] offset0:8 offset1:10
	;; [unrolled: 1-line block ×3, first 2 shown]
	s_waitcnt lgkmcnt(0)
	s_barrier
	s_and_saveexec_b64 s[0:1], vcc
	s_cbranch_execz .LBB114_25
; %bb.22:
	v_lshlrev_b32_e32 v21, 3, v1
	v_lshl_add_u32 v21, s19, 3, v21
	s_mov_b64 s[2:3], 0
.LBB114_23:                             ; =>This Inner Loop Header: Depth=1
	v_add_u32_e32 v22, v20, v19
	v_lshrrev_b32_e32 v26, 1, v22
	v_not_b32_e32 v22, v26
	v_lshlrev_b32_e32 v23, 3, v26
	v_lshl_add_u32 v24, v22, 3, v21
	ds_read_b64 v[22:23], v23
	ds_read_b64 v[24:25], v24
	v_add_u32_e32 v27, 1, v26
	s_waitcnt lgkmcnt(0)
	v_cmp_gt_i64_e32 vcc, v[22:23], v[24:25]
	s_nop 1
	v_cndmask_b32_e32 v20, v20, v26, vcc
	v_cndmask_b32_e32 v19, v27, v19, vcc
	v_cmp_ge_u32_e32 vcc, v19, v20
	s_or_b64 s[2:3], vcc, s[2:3]
	s_andn2_b64 exec, exec, s[2:3]
	s_cbranch_execnz .LBB114_23
; %bb.24:
	s_or_b64 exec, exec, s[2:3]
.LBB114_25:
	s_or_b64 exec, exec, s[0:1]
	v_sub_u32_e32 v1, v1, v19
	v_add_u32_e32 v20, s19, v1
	v_cmp_ge_u32_e32 vcc, s19, v19
	v_cmp_ge_u32_e64 s[0:1], s17, v20
	s_or_b64 s[0:1], vcc, s[0:1]
	v_mov_b32_e32 v27, 0
	v_mov_b32_e32 v30, 0
	;; [unrolled: 1-line block ×8, first 2 shown]
	s_and_saveexec_b64 s[30:31], s[0:1]
	s_cbranch_execz .LBB114_31
; %bb.26:
	v_cmp_gt_u32_e32 vcc, s19, v19
                                        ; implicit-def: $vgpr2_vgpr3
	s_and_saveexec_b64 s[0:1], vcc
; %bb.27:
	v_lshlrev_b32_e32 v1, 3, v19
	ds_read_b64 v[2:3], v1
; %bb.28:
	s_or_b64 exec, exec, s[0:1]
	v_cmp_le_u32_e64 s[0:1], s17, v20
	v_cmp_gt_u32_e64 s[2:3], s17, v20
                                        ; implicit-def: $vgpr4_vgpr5
	s_and_saveexec_b64 s[4:5], s[2:3]
; %bb.29:
	v_lshlrev_b32_e32 v1, 3, v20
	ds_read_b64 v[4:5], v1
; %bb.30:
	s_or_b64 exec, exec, s[4:5]
	s_waitcnt lgkmcnt(0)
	v_cmp_le_i64_e64 s[2:3], v[2:3], v[4:5]
	s_and_b64 s[2:3], vcc, s[2:3]
	s_or_b64 vcc, s[0:1], s[2:3]
	v_mov_b32_e32 v27, s17
	v_mov_b32_e32 v34, s19
	v_cndmask_b32_e32 v1, v20, v19, vcc
	v_cndmask_b32_e32 v6, v27, v34, vcc
	v_add_u32_e32 v10, 1, v1
	v_add_u32_e32 v6, -1, v6
	v_min_u32_e32 v6, v10, v6
	v_lshlrev_b32_e32 v6, 3, v6
	ds_read_b64 v[6:7], v6
	v_cndmask_b32_e32 v15, v19, v10, vcc
	v_cndmask_b32_e32 v14, v10, v20, vcc
	v_cmp_gt_u32_e64 s[2:3], s19, v15
	v_cmp_le_u32_e64 s[0:1], s17, v14
	s_waitcnt lgkmcnt(0)
	v_cndmask_b32_e32 v9, v7, v5, vcc
	v_cndmask_b32_e32 v8, v6, v4, vcc
	;; [unrolled: 1-line block ×4, first 2 shown]
	v_cmp_le_i64_e64 s[4:5], v[6:7], v[8:9]
	s_and_b64 s[2:3], s[2:3], s[4:5]
	s_or_b64 s[0:1], s[0:1], s[2:3]
	v_cndmask_b32_e64 v24, v14, v15, s[0:1]
	v_cndmask_b32_e64 v10, v27, v34, s[0:1]
	v_add_u32_e32 v16, 1, v24
	v_add_u32_e32 v10, -1, v10
	v_min_u32_e32 v10, v16, v10
	v_lshlrev_b32_e32 v10, 3, v10
	ds_read_b64 v[10:11], v10
	v_cndmask_b32_e64 v20, v15, v16, s[0:1]
	v_cndmask_b32_e64 v19, v16, v14, s[0:1]
	v_cmp_gt_u32_e64 s[4:5], s19, v20
	v_cmp_le_u32_e64 s[2:3], s17, v19
	s_waitcnt lgkmcnt(0)
	v_cndmask_b32_e64 v13, v11, v9, s[0:1]
	v_cndmask_b32_e64 v12, v10, v8, s[0:1]
	;; [unrolled: 1-line block ×4, first 2 shown]
	v_cmp_le_i64_e64 s[6:7], v[10:11], v[12:13]
	s_and_b64 s[4:5], s[4:5], s[6:7]
	s_or_b64 s[2:3], s[2:3], s[4:5]
	v_cndmask_b32_e64 v25, v19, v20, s[2:3]
	v_cndmask_b32_e64 v14, v27, v34, s[2:3]
	v_add_u32_e32 v21, 1, v25
	v_add_u32_e32 v14, -1, v14
	v_min_u32_e32 v14, v21, v14
	v_lshlrev_b32_e32 v14, 3, v14
	ds_read_b64 v[14:15], v14
	v_cndmask_b32_e64 v28, v20, v21, s[2:3]
	v_cndmask_b32_e64 v19, v21, v19, s[2:3]
	v_cmp_gt_u32_e64 s[6:7], s19, v28
	v_cmp_le_u32_e64 s[4:5], s17, v19
	s_waitcnt lgkmcnt(0)
	v_cndmask_b32_e64 v17, v15, v13, s[2:3]
	v_cndmask_b32_e64 v16, v14, v12, s[2:3]
	;; [unrolled: 1-line block ×4, first 2 shown]
	v_cmp_le_i64_e64 s[8:9], v[14:15], v[16:17]
	s_and_b64 s[6:7], s[6:7], s[8:9]
	s_or_b64 s[4:5], s[4:5], s[6:7]
	v_cndmask_b32_e64 v26, v19, v28, s[4:5]
	v_cndmask_b32_e64 v20, v27, v34, s[4:5]
	v_add_u32_e32 v29, 1, v26
	v_add_u32_e32 v20, -1, v20
	v_min_u32_e32 v20, v29, v20
	v_lshlrev_b32_e32 v20, 3, v20
	ds_read_b64 v[20:21], v20
	v_cndmask_b32_e64 v19, v29, v19, s[4:5]
	v_cndmask_b32_e64 v29, v28, v29, s[4:5]
	v_cmp_gt_u32_e64 s[6:7], s19, v29
	v_cndmask_b32_e32 v3, v5, v3, vcc
	s_waitcnt lgkmcnt(0)
	v_cndmask_b32_e64 v23, v21, v17, s[4:5]
	v_cndmask_b32_e64 v22, v20, v16, s[4:5]
	;; [unrolled: 1-line block ×4, first 2 shown]
	v_cmp_le_i64_e64 s[8:9], v[20:21], v[22:23]
	v_cndmask_b32_e32 v2, v4, v2, vcc
	v_cmp_le_u32_e32 vcc, s17, v19
	s_and_b64 s[6:7], s[6:7], s[8:9]
	s_or_b64 vcc, vcc, s[6:7]
	v_cndmask_b32_e32 v28, v19, v29, vcc
	v_cndmask_b32_e32 v4, v27, v34, vcc
	v_add_u32_e32 v35, 1, v28
	v_add_u32_e32 v4, -1, v4
	v_min_u32_e32 v4, v35, v4
	v_lshlrev_b32_e32 v4, 3, v4
	ds_read_b64 v[30:31], v4
	v_cndmask_b32_e64 v5, v9, v7, s[0:1]
	v_cndmask_b32_e64 v4, v8, v6, s[0:1]
	;; [unrolled: 1-line block ×4, first 2 shown]
	s_waitcnt lgkmcnt(0)
	v_cndmask_b32_e32 v13, v31, v23, vcc
	v_cndmask_b32_e32 v12, v30, v22, vcc
	;; [unrolled: 1-line block ×6, first 2 shown]
	v_cmp_gt_u32_e64 s[2:3], s19, v35
	v_cmp_le_i64_e64 s[6:7], v[32:33], v[12:13]
	v_cmp_le_u32_e64 s[0:1], s17, v19
	s_and_b64 s[2:3], s[2:3], s[6:7]
	s_or_b64 s[0:1], s[0:1], s[2:3]
	v_cndmask_b32_e64 v29, v19, v35, s[0:1]
	v_cndmask_b32_e64 v8, v27, v34, s[0:1]
	v_add_u32_e32 v36, 1, v29
	v_add_u32_e32 v8, -1, v8
	v_min_u32_e32 v8, v36, v8
	v_lshlrev_b32_e32 v8, 3, v8
	ds_read_b64 v[30:31], v8
	v_cndmask_b32_e64 v9, v17, v15, s[4:5]
	v_cndmask_b32_e64 v8, v16, v14, s[4:5]
	v_cndmask_b32_e32 v11, v23, v21, vcc
	v_cndmask_b32_e32 v10, v22, v20, vcc
	s_waitcnt lgkmcnt(0)
	v_cndmask_b32_e64 v17, v31, v13, s[0:1]
	v_cndmask_b32_e64 v16, v30, v12, s[0:1]
	;; [unrolled: 1-line block ×6, first 2 shown]
	v_cmp_gt_u32_e64 s[2:3], s19, v31
	v_cmp_le_i64_e64 s[4:5], v[20:21], v[16:17]
	v_cmp_le_u32_e32 vcc, s17, v19
	s_and_b64 s[2:3], s[2:3], s[4:5]
	s_or_b64 vcc, vcc, s[2:3]
	v_cndmask_b32_e32 v30, v19, v31, vcc
	v_cndmask_b32_e32 v14, v27, v34, vcc
	v_add_u32_e32 v27, 1, v30
	v_add_u32_e32 v14, -1, v14
	v_min_u32_e32 v14, v27, v14
	v_lshlrev_b32_e32 v14, 3, v14
	ds_read_b64 v[22:23], v14
	v_cndmask_b32_e32 v15, v17, v21, vcc
	v_cndmask_b32_e32 v14, v16, v20, vcc
	v_cndmask_b32_e64 v13, v13, v33, s[0:1]
	v_cndmask_b32_e64 v12, v12, v32, s[0:1]
	s_waitcnt lgkmcnt(0)
	v_cndmask_b32_e32 v17, v23, v17, vcc
	v_cndmask_b32_e32 v16, v22, v16, vcc
	;; [unrolled: 1-line block ×6, first 2 shown]
	v_cmp_gt_u32_e64 s[0:1], s19, v22
	v_cmp_le_i64_e64 s[2:3], v[20:21], v[16:17]
	v_cmp_le_u32_e32 vcc, s17, v19
	s_and_b64 s[0:1], s[0:1], s[2:3]
	s_or_b64 vcc, vcc, s[0:1]
	v_cndmask_b32_e32 v27, v19, v22, vcc
	v_cndmask_b32_e32 v17, v17, v21, vcc
	;; [unrolled: 1-line block ×3, first 2 shown]
.LBB114_31:
	s_or_b64 exec, exec, s[30:31]
	s_add_u32 s8, s12, s26
	s_addc_u32 s9, s13, s27
	s_add_u32 s6, s12, s28
	v_cndmask_b32_e64 v19, 0, 1, s[20:21]
	v_mov_b32_e32 v21, 0
	s_addc_u32 s7, s13, s29
	v_cmp_gt_u32_e64 s[4:5], s19, v0
	v_cmp_ne_u32_e64 s[0:1], 1, v19
	s_andn2_b64 vcc, exec, s[20:21]
	v_cmp_le_u32_e64 s[2:3], s19, v0
	s_barrier
	s_cbranch_vccnz .LBB114_33
; %bb.32:
	v_subrev_u32_e32 v19, s19, v0
	v_lshlrev_b32_e32 v20, 3, v19
	v_mov_b32_e32 v19, v21
	v_lshl_add_u64 v[32:33], s[8:9], 0, v[18:19]
	v_or_b32_e32 v19, 0x80, v0
	v_lshl_add_u64 v[22:23], s[6:7], 0, v[20:21]
	v_subrev_u32_e32 v20, s19, v19
	v_cndmask_b32_e64 v23, v23, v33, s[4:5]
	v_cndmask_b32_e64 v22, v22, v32, s[4:5]
	v_min_u32_e32 v20, v19, v20
	v_mov_b32_e32 v31, s7
	v_mov_b32_e32 v46, s9
	v_cmp_gt_u32_e32 vcc, s19, v19
	v_mov_b32_e32 v47, s6
	v_mov_b32_e32 v48, s8
	global_load_dwordx2 v[32:33], v[22:23], off
	v_cndmask_b32_e32 v23, v31, v46, vcc
	v_cndmask_b32_e32 v22, v47, v48, vcc
	v_lshlrev_b32_e32 v20, 3, v20
	v_or_b32_e32 v19, 0x100, v0
	v_lshl_add_u64 v[22:23], v[22:23], 0, v[20:21]
	v_subrev_u32_e32 v20, s19, v19
	v_min_u32_e32 v20, v19, v20
	v_cmp_gt_u32_e32 vcc, s19, v19
	global_load_dwordx2 v[34:35], v[22:23], off
	v_lshlrev_b32_e32 v20, 3, v20
	v_cndmask_b32_e32 v23, v31, v46, vcc
	v_cndmask_b32_e32 v22, v47, v48, vcc
	v_or_b32_e32 v19, 0x180, v0
	v_lshl_add_u64 v[22:23], v[22:23], 0, v[20:21]
	v_subrev_u32_e32 v20, s19, v19
	v_min_u32_e32 v20, v19, v20
	v_cmp_gt_u32_e32 vcc, s19, v19
	global_load_dwordx2 v[36:37], v[22:23], off
	v_lshlrev_b32_e32 v20, 3, v20
	v_cndmask_b32_e32 v23, v31, v46, vcc
	v_cndmask_b32_e32 v22, v47, v48, vcc
	;; [unrolled: 9-line block ×5, first 2 shown]
	v_lshl_add_u64 v[20:21], v[22:23], 0, v[20:21]
	global_load_dwordx2 v[44:45], v[20:21], off
	v_or_b32_e32 v19, 0x380, v0
	v_subrev_u32_e32 v20, s19, v19
	v_cmp_gt_u32_e32 vcc, s19, v19
	v_min_u32_e32 v22, v19, v20
	s_nop 0
	v_cndmask_b32_e32 v21, v31, v46, vcc
	v_cndmask_b32_e32 v20, v47, v48, vcc
	s_mov_b64 s[4:5], -1
	s_waitcnt vmcnt(5)
	ds_write2st64_b64 v18, v[32:33], v[34:35] offset1:2
	s_waitcnt vmcnt(3)
	ds_write2st64_b64 v18, v[36:37], v[38:39] offset0:4 offset1:6
	s_waitcnt vmcnt(1)
	ds_write2st64_b64 v18, v[40:41], v[42:43] offset0:8 offset1:10
	s_waitcnt vmcnt(0)
	ds_write_b64 v18, v[44:45] offset:6144
	s_cbranch_execz .LBB114_34
	s_branch .LBB114_65
.LBB114_33:
	s_mov_b64 s[4:5], 0
                                        ; implicit-def: $vgpr19
                                        ; implicit-def: $vgpr20_vgpr21
                                        ; implicit-def: $vgpr22
.LBB114_34:
	s_mov_b64 s[4:5], 0
                                        ; implicit-def: $vgpr20_vgpr21
	s_and_saveexec_b64 s[26:27], s[2:3]
	s_xor_b64 s[2:3], exec, s[26:27]
	s_cbranch_execnz .LBB114_104
; %bb.35:
	s_andn2_saveexec_b64 s[2:3], s[2:3]
	s_cbranch_execnz .LBB114_107
.LBB114_36:
	s_or_b64 exec, exec, s[2:3]
	s_and_saveexec_b64 s[2:3], s[4:5]
	s_cbranch_execz .LBB114_38
.LBB114_37:
	global_load_dwordx2 v[20:21], v[20:21], off
	s_waitcnt vmcnt(0)
	ds_write_b64 v18, v[20:21]
.LBB114_38:
	s_or_b64 exec, exec, s[2:3]
	v_or_b32_e32 v19, 0x80, v0
	v_cmp_le_u32_e32 vcc, s19, v19
	s_mov_b64 s[2:3], -1
	v_mov_b64_e32 v[20:21], s[22:23]
	s_and_saveexec_b64 s[4:5], vcc
; %bb.39:
	v_subrev_u32_e32 v19, s19, v19
	v_cmp_gt_u32_e32 vcc, s33, v19
	v_mov_b64_e32 v[20:21], s[24:25]
	s_orn2_b64 s[2:3], vcc, exec
; %bb.40:
	s_or_b64 exec, exec, s[4:5]
	s_and_saveexec_b64 s[4:5], s[2:3]
	s_cbranch_execz .LBB114_42
; %bb.41:
	v_lshl_add_u64 v[20:21], v[20:21], 3, s[12:13]
	v_lshlrev_b32_e32 v22, 3, v19
	v_mov_b32_e32 v23, 0
	v_lshl_add_u64 v[20:21], v[20:21], 0, v[22:23]
	global_load_dwordx2 v[20:21], v[20:21], off
	s_waitcnt vmcnt(0)
	ds_write_b64 v18, v[20:21] offset:1024
.LBB114_42:
	s_or_b64 exec, exec, s[4:5]
	v_or_b32_e32 v19, 0x100, v0
	v_cmp_le_u32_e32 vcc, s19, v19
	s_mov_b64 s[2:3], -1
	v_mov_b64_e32 v[20:21], s[22:23]
	s_and_saveexec_b64 s[4:5], vcc
; %bb.43:
	v_subrev_u32_e32 v19, s19, v19
	v_cmp_gt_u32_e32 vcc, s33, v19
	v_mov_b64_e32 v[20:21], s[24:25]
	s_orn2_b64 s[2:3], vcc, exec
; %bb.44:
	s_or_b64 exec, exec, s[4:5]
	s_and_saveexec_b64 s[4:5], s[2:3]
	s_cbranch_execz .LBB114_46
; %bb.45:
	v_lshl_add_u64 v[20:21], v[20:21], 3, s[12:13]
	v_lshlrev_b32_e32 v22, 3, v19
	v_mov_b32_e32 v23, 0
	v_lshl_add_u64 v[20:21], v[20:21], 0, v[22:23]
	global_load_dwordx2 v[20:21], v[20:21], off
	s_waitcnt vmcnt(0)
	ds_write_b64 v18, v[20:21] offset:2048
.LBB114_46:
	;; [unrolled: 24-line block ×6, first 2 shown]
	s_or_b64 exec, exec, s[4:5]
	v_or_b32_e32 v19, 0x380, v0
	v_cmp_le_u32_e32 vcc, s19, v19
	s_mov_b64 s[4:5], -1
	v_mov_b64_e32 v[20:21], s[8:9]
	v_mov_b32_e32 v22, v19
	s_and_saveexec_b64 s[2:3], vcc
; %bb.63:
	v_subrev_u32_e32 v22, s19, v19
	v_cmp_gt_u32_e32 vcc, s33, v22
	v_mov_b64_e32 v[20:21], s[6:7]
	s_orn2_b64 s[4:5], vcc, exec
; %bb.64:
	s_or_b64 exec, exec, s[2:3]
.LBB114_65:
	s_and_saveexec_b64 s[2:3], s[4:5]
	s_cbranch_execz .LBB114_67
; %bb.66:
	v_mov_b32_e32 v23, 0
	v_lshl_add_u64 v[20:21], v[22:23], 3, v[20:21]
	global_load_dwordx2 v[20:21], v[20:21], off
	v_lshlrev_b32_e32 v19, 3, v19
	s_waitcnt vmcnt(0)
	ds_write_b64 v19, v[20:21]
.LBB114_67:
	s_or_b64 exec, exec, s[2:3]
	s_and_b64 vcc, exec, s[0:1]
	v_add_u32_e32 v20, s18, v18
	s_waitcnt lgkmcnt(0)
	s_barrier
	s_cbranch_vccnz .LBB114_69
; %bb.68:
	v_lshlrev_b32_e32 v19, 3, v1
	v_lshlrev_b32_e32 v22, 3, v24
	;; [unrolled: 1-line block ×4, first 2 shown]
	ds_read_b64 v[34:35], v19
	ds_read_b64 v[36:37], v22
	;; [unrolled: 1-line block ×4, first 2 shown]
	v_lshlrev_b32_e32 v19, 3, v28
	v_lshlrev_b32_e32 v22, 3, v29
	v_lshlrev_b32_e32 v23, 3, v30
	ds_read_b64 v[42:43], v19
	ds_read_b64 v[44:45], v22
	;; [unrolled: 1-line block ×3, first 2 shown]
	v_mov_b32_e32 v21, 0
	v_lshl_add_u64 v[32:33], v[20:21], 3, s[14:15]
	s_mov_b64 s[0:1], -1
	s_waitcnt lgkmcnt(5)
	global_store_dwordx4 v[32:33], v[34:37], off
	s_waitcnt lgkmcnt(3)
	global_store_dwordx4 v[32:33], v[38:41], off offset:16
	s_waitcnt lgkmcnt(1)
	global_store_dwordx4 v[32:33], v[42:45], off offset:32
	s_waitcnt lgkmcnt(0)
	global_store_dwordx2 v[32:33], v[22:23], off offset:48
	s_cbranch_execz .LBB114_70
	s_branch .LBB114_87
.LBB114_69:
	s_mov_b64 s[0:1], 0
.LBB114_70:
	v_cmp_gt_u32_e32 vcc, s17, v18
	s_and_saveexec_b64 s[2:3], vcc
	s_cbranch_execz .LBB114_72
; %bb.71:
	v_lshlrev_b32_e32 v1, 3, v1
	ds_read_b64 v[22:23], v1
	v_mov_b32_e32 v21, 0
	v_lshl_add_u64 v[32:33], v[20:21], 3, s[14:15]
	s_waitcnt lgkmcnt(0)
	global_store_dwordx2 v[32:33], v[22:23], off
.LBB114_72:
	s_or_b64 exec, exec, s[2:3]
	v_or_b32_e32 v1, 1, v18
	v_cmp_gt_u32_e32 vcc, s17, v1
	s_and_saveexec_b64 s[2:3], vcc
	s_cbranch_execz .LBB114_74
; %bb.73:
	v_lshlrev_b32_e32 v1, 3, v24
	ds_read_b64 v[22:23], v1
	v_mov_b32_e32 v21, 0
	v_lshl_add_u64 v[32:33], v[20:21], 3, s[14:15]
	s_waitcnt lgkmcnt(0)
	global_store_dwordx2 v[32:33], v[22:23], off offset:8
.LBB114_74:
	s_or_b64 exec, exec, s[2:3]
	v_or_b32_e32 v1, 2, v18
	v_cmp_gt_u32_e32 vcc, s17, v1
	s_and_saveexec_b64 s[2:3], vcc
	s_cbranch_execz .LBB114_76
; %bb.75:
	v_lshlrev_b32_e32 v1, 3, v25
	ds_read_b64 v[22:23], v1
	v_mov_b32_e32 v21, 0
	v_lshl_add_u64 v[24:25], v[20:21], 3, s[14:15]
	s_waitcnt lgkmcnt(0)
	global_store_dwordx2 v[24:25], v[22:23], off offset:16
.LBB114_76:
	;; [unrolled: 13-line block ×6, first 2 shown]
	s_or_b64 exec, exec, s[2:3]
	v_or_b32_e32 v1, 7, v18
	v_cmp_gt_u32_e32 vcc, s17, v1
	s_and_saveexec_b64 s[2:3], vcc
; %bb.85:
	v_mov_b32_e32 v21, 0
	s_or_b64 s[0:1], s[0:1], exec
; %bb.86:
	s_or_b64 exec, exec, s[2:3]
.LBB114_87:
	s_and_saveexec_b64 s[2:3], s[0:1]
	s_cbranch_execz .LBB114_89
; %bb.88:
	v_lshlrev_b32_e32 v1, 3, v27
	ds_read_b64 v[22:23], v1
	v_lshl_add_u64 v[20:21], v[20:21], 3, s[14:15]
	s_waitcnt lgkmcnt(0)
	global_store_dwordx2 v[20:21], v[22:23], off offset:56
.LBB114_89:
	s_or_b64 exec, exec, s[2:3]
	v_lshrrev_b32_e32 v1, 2, v0
	v_lshlrev_b32_e32 v19, 3, v18
	v_lshl_add_u32 v19, v1, 3, v19
	v_and_b32_e32 v1, 24, v1
	v_or_b32_e32 v23, 0x80, v0
	v_add_u32_e32 v24, v1, v18
	v_lshrrev_b32_e32 v1, 2, v23
	v_and_b32_e32 v1, 56, v1
	v_or_b32_e32 v22, 0x100, v0
	s_barrier
	s_barrier
	ds_write2_b64 v19, v[2:3], v[4:5] offset1:1
	ds_write2_b64 v19, v[6:7], v[8:9] offset0:2 offset1:3
	ds_write2_b64 v19, v[10:11], v[12:13] offset0:4 offset1:5
	;; [unrolled: 1-line block ×3, first 2 shown]
	v_add_u32_e32 v4, v1, v18
	v_lshrrev_b32_e32 v1, 2, v22
	v_and_b32_e32 v1, 0x58, v1
	v_or_b32_e32 v21, 0x180, v0
	v_add_u32_e32 v5, v1, v18
	v_lshrrev_b32_e32 v1, 2, v21
	v_and_b32_e32 v1, 0x78, v1
	v_or_b32_e32 v20, 0x200, v0
	;; [unrolled: 4-line block ×4, first 2 shown]
	v_add_u32_e32 v25, v1, v18
	v_lshrrev_b32_e32 v1, 2, v16
	s_mov_b32 s19, 0
	v_and_b32_e32 v1, 0xd8, v1
	s_lshl_b64 s[0:1], s[18:19], 3
	v_add_u32_e32 v26, v1, v18
	v_or_b32_e32 v1, 0x380, v0
	s_add_u32 s0, s10, s0
	v_lshrrev_b32_e32 v2, 2, v1
	s_addc_u32 s1, s11, s1
	v_and_b32_e32 v2, 0xf8, v2
	v_mov_b32_e32 v19, 0
	v_add_u32_e32 v27, v2, v18
	v_lshl_add_u64 v[2:3], s[0:1], 0, v[18:19]
	s_and_b64 vcc, exec, s[20:21]
	s_waitcnt lgkmcnt(0)
	s_cbranch_vccz .LBB114_91
; %bb.90:
	s_barrier
	ds_read_b64 v[8:9], v24
	ds_read_b64 v[10:11], v4 offset:1024
	ds_read_b64 v[12:13], v5 offset:2048
	;; [unrolled: 1-line block ×7, first 2 shown]
	s_waitcnt lgkmcnt(7)
	global_store_dwordx2 v[2:3], v[8:9], off
	s_waitcnt lgkmcnt(6)
	global_store_dwordx2 v[2:3], v[10:11], off offset:1024
	s_waitcnt lgkmcnt(5)
	global_store_dwordx2 v[2:3], v[12:13], off offset:2048
	;; [unrolled: 2-line block ×3, first 2 shown]
	v_add_co_u32_e32 v8, vcc, 0x1000, v2
	s_nop 1
	v_addc_co_u32_e32 v9, vcc, 0, v3, vcc
	s_waitcnt lgkmcnt(3)
	global_store_dwordx2 v[8:9], v[28:29], off
	s_waitcnt lgkmcnt(2)
	global_store_dwordx2 v[8:9], v[30:31], off offset:1024
	s_waitcnt lgkmcnt(1)
	global_store_dwordx2 v[8:9], v[32:33], off offset:2048
	s_mov_b64 s[0:1], -1
	s_cbranch_execz .LBB114_92
	s_branch .LBB114_101
.LBB114_91:
	s_mov_b64 s[0:1], 0
                                        ; implicit-def: $vgpr18_vgpr19
.LBB114_92:
	s_barrier
	s_waitcnt lgkmcnt(0)
	ds_read_b64 v[14:15], v4 offset:1024
	ds_read_b64 v[12:13], v5 offset:2048
	ds_read_b64 v[10:11], v6 offset:3072
	ds_read_b64 v[8:9], v7 offset:4096
	ds_read_b64 v[6:7], v25 offset:5120
	ds_read_b64 v[4:5], v26 offset:6144
	ds_read_b64 v[18:19], v27 offset:7168
	s_sub_i32 s2, s16, s18
	v_cmp_gt_u32_e32 vcc, s2, v0
	s_and_saveexec_b64 s[0:1], vcc
	s_cbranch_execnz .LBB114_108
; %bb.93:
	s_or_b64 exec, exec, s[0:1]
	v_cmp_gt_u32_e32 vcc, s2, v23
	s_and_saveexec_b64 s[0:1], vcc
	s_cbranch_execnz .LBB114_109
.LBB114_94:
	s_or_b64 exec, exec, s[0:1]
	v_cmp_gt_u32_e32 vcc, s2, v22
	s_and_saveexec_b64 s[0:1], vcc
	s_cbranch_execnz .LBB114_110
.LBB114_95:
	s_or_b64 exec, exec, s[0:1]
	v_cmp_gt_u32_e32 vcc, s2, v21
	s_and_saveexec_b64 s[0:1], vcc
	s_cbranch_execnz .LBB114_111
.LBB114_96:
	s_or_b64 exec, exec, s[0:1]
	v_cmp_gt_u32_e32 vcc, s2, v20
	s_and_saveexec_b64 s[0:1], vcc
	s_cbranch_execnz .LBB114_112
.LBB114_97:
	s_or_b64 exec, exec, s[0:1]
	v_cmp_gt_u32_e32 vcc, s2, v17
	s_and_saveexec_b64 s[0:1], vcc
	s_cbranch_execnz .LBB114_113
.LBB114_98:
	s_or_b64 exec, exec, s[0:1]
	v_cmp_gt_u32_e32 vcc, s2, v16
	s_and_saveexec_b64 s[0:1], vcc
	s_cbranch_execz .LBB114_100
.LBB114_99:
	s_waitcnt lgkmcnt(2)
	v_add_co_u32_e32 v6, vcc, 0x1000, v2
	s_nop 1
	v_addc_co_u32_e32 v7, vcc, 0, v3, vcc
	s_waitcnt lgkmcnt(1)
	global_store_dwordx2 v[6:7], v[4:5], off offset:2048
.LBB114_100:
	s_or_b64 exec, exec, s[0:1]
	v_cmp_gt_u32_e64 s[0:1], s2, v1
.LBB114_101:
	s_and_saveexec_b64 s[2:3], s[0:1]
	s_cbranch_execz .LBB114_103
; %bb.102:
	v_add_co_u32_e32 v0, vcc, 0x1000, v2
	s_nop 1
	v_addc_co_u32_e32 v1, vcc, 0, v3, vcc
	s_waitcnt lgkmcnt(0)
	global_store_dwordx2 v[0:1], v[18:19], off offset:3072
.LBB114_103:
	s_endpgm
.LBB114_104:
	v_subrev_u32_e32 v19, s19, v0
	v_cmp_gt_u32_e32 vcc, s33, v19
                                        ; implicit-def: $vgpr20_vgpr21
	s_and_saveexec_b64 s[26:27], vcc
	s_xor_b64 s[26:27], exec, s[26:27]
; %bb.105:
	v_lshlrev_b32_e32 v20, 3, v19
	v_mov_b32_e32 v21, 0
	s_mov_b64 s[4:5], exec
	v_lshl_add_u64 v[20:21], s[6:7], 0, v[20:21]
; %bb.106:
	s_or_b64 exec, exec, s[26:27]
	s_and_b64 s[4:5], s[4:5], exec
	s_andn2_saveexec_b64 s[2:3], s[2:3]
	s_cbranch_execz .LBB114_36
.LBB114_107:
	v_mov_b32_e32 v19, 0
	v_lshl_add_u64 v[20:21], s[8:9], 0, v[18:19]
	s_or_b64 s[4:5], s[4:5], exec
	s_or_b64 exec, exec, s[2:3]
	s_and_saveexec_b64 s[2:3], s[4:5]
	s_cbranch_execnz .LBB114_37
	s_branch .LBB114_38
.LBB114_108:
	ds_read_b64 v[24:25], v24
	s_waitcnt lgkmcnt(0)
	global_store_dwordx2 v[2:3], v[24:25], off
	s_or_b64 exec, exec, s[0:1]
	v_cmp_gt_u32_e32 vcc, s2, v23
	s_and_saveexec_b64 s[0:1], vcc
	s_cbranch_execz .LBB114_94
.LBB114_109:
	s_waitcnt lgkmcnt(6)
	global_store_dwordx2 v[2:3], v[14:15], off offset:1024
	s_or_b64 exec, exec, s[0:1]
	v_cmp_gt_u32_e32 vcc, s2, v22
	s_and_saveexec_b64 s[0:1], vcc
	s_cbranch_execz .LBB114_95
.LBB114_110:
	s_waitcnt lgkmcnt(5)
	global_store_dwordx2 v[2:3], v[12:13], off offset:2048
	s_or_b64 exec, exec, s[0:1]
	v_cmp_gt_u32_e32 vcc, s2, v21
	s_and_saveexec_b64 s[0:1], vcc
	s_cbranch_execz .LBB114_96
.LBB114_111:
	s_waitcnt lgkmcnt(4)
	global_store_dwordx2 v[2:3], v[10:11], off offset:3072
	s_or_b64 exec, exec, s[0:1]
	v_cmp_gt_u32_e32 vcc, s2, v20
	s_and_saveexec_b64 s[0:1], vcc
	s_cbranch_execz .LBB114_97
.LBB114_112:
	s_waitcnt lgkmcnt(4)
	v_add_co_u32_e32 v10, vcc, 0x1000, v2
	s_nop 1
	v_addc_co_u32_e32 v11, vcc, 0, v3, vcc
	s_waitcnt lgkmcnt(3)
	global_store_dwordx2 v[10:11], v[8:9], off
	s_or_b64 exec, exec, s[0:1]
	v_cmp_gt_u32_e32 vcc, s2, v17
	s_and_saveexec_b64 s[0:1], vcc
	s_cbranch_execz .LBB114_98
.LBB114_113:
	s_waitcnt lgkmcnt(3)
	v_add_co_u32_e32 v8, vcc, 0x1000, v2
	s_nop 1
	v_addc_co_u32_e32 v9, vcc, 0, v3, vcc
	s_waitcnt lgkmcnt(2)
	global_store_dwordx2 v[8:9], v[6:7], off offset:1024
	s_or_b64 exec, exec, s[0:1]
	v_cmp_gt_u32_e32 vcc, s2, v16
	s_and_saveexec_b64 s[0:1], vcc
	s_cbranch_execnz .LBB114_99
	s_branch .LBB114_100
	.section	.rodata,"a",@progbits
	.p2align	6, 0x0
	.amdhsa_kernel _ZN7rocprim17ROCPRIM_304000_NS6detail35device_block_merge_mergepath_kernelINS1_37wrapped_merge_sort_block_merge_configINS0_14default_configElN2at4cuda3cub6detail10OpaqueTypeILi8EEEEEPlSC_PSA_SD_jNS1_19radix_merge_compareILb0ELb0ElNS0_19identity_decomposerEEEEEvT0_T1_T2_T3_T4_SL_jT5_PKSL_NS1_7vsmem_tE
		.amdhsa_group_segment_fixed_size 8448
		.amdhsa_private_segment_fixed_size 0
		.amdhsa_kernarg_size 320
		.amdhsa_user_sgpr_count 2
		.amdhsa_user_sgpr_dispatch_ptr 0
		.amdhsa_user_sgpr_queue_ptr 0
		.amdhsa_user_sgpr_kernarg_segment_ptr 1
		.amdhsa_user_sgpr_dispatch_id 0
		.amdhsa_user_sgpr_kernarg_preload_length 0
		.amdhsa_user_sgpr_kernarg_preload_offset 0
		.amdhsa_user_sgpr_private_segment_size 0
		.amdhsa_uses_dynamic_stack 0
		.amdhsa_enable_private_segment 0
		.amdhsa_system_sgpr_workgroup_id_x 1
		.amdhsa_system_sgpr_workgroup_id_y 1
		.amdhsa_system_sgpr_workgroup_id_z 1
		.amdhsa_system_sgpr_workgroup_info 0
		.amdhsa_system_vgpr_workitem_id 0
		.amdhsa_next_free_vgpr 49
		.amdhsa_next_free_sgpr 36
		.amdhsa_accum_offset 52
		.amdhsa_reserve_vcc 1
		.amdhsa_float_round_mode_32 0
		.amdhsa_float_round_mode_16_64 0
		.amdhsa_float_denorm_mode_32 3
		.amdhsa_float_denorm_mode_16_64 3
		.amdhsa_dx10_clamp 1
		.amdhsa_ieee_mode 1
		.amdhsa_fp16_overflow 0
		.amdhsa_tg_split 0
		.amdhsa_exception_fp_ieee_invalid_op 0
		.amdhsa_exception_fp_denorm_src 0
		.amdhsa_exception_fp_ieee_div_zero 0
		.amdhsa_exception_fp_ieee_overflow 0
		.amdhsa_exception_fp_ieee_underflow 0
		.amdhsa_exception_fp_ieee_inexact 0
		.amdhsa_exception_int_div_zero 0
	.end_amdhsa_kernel
	.section	.text._ZN7rocprim17ROCPRIM_304000_NS6detail35device_block_merge_mergepath_kernelINS1_37wrapped_merge_sort_block_merge_configINS0_14default_configElN2at4cuda3cub6detail10OpaqueTypeILi8EEEEEPlSC_PSA_SD_jNS1_19radix_merge_compareILb0ELb0ElNS0_19identity_decomposerEEEEEvT0_T1_T2_T3_T4_SL_jT5_PKSL_NS1_7vsmem_tE,"axG",@progbits,_ZN7rocprim17ROCPRIM_304000_NS6detail35device_block_merge_mergepath_kernelINS1_37wrapped_merge_sort_block_merge_configINS0_14default_configElN2at4cuda3cub6detail10OpaqueTypeILi8EEEEEPlSC_PSA_SD_jNS1_19radix_merge_compareILb0ELb0ElNS0_19identity_decomposerEEEEEvT0_T1_T2_T3_T4_SL_jT5_PKSL_NS1_7vsmem_tE,comdat
.Lfunc_end114:
	.size	_ZN7rocprim17ROCPRIM_304000_NS6detail35device_block_merge_mergepath_kernelINS1_37wrapped_merge_sort_block_merge_configINS0_14default_configElN2at4cuda3cub6detail10OpaqueTypeILi8EEEEEPlSC_PSA_SD_jNS1_19radix_merge_compareILb0ELb0ElNS0_19identity_decomposerEEEEEvT0_T1_T2_T3_T4_SL_jT5_PKSL_NS1_7vsmem_tE, .Lfunc_end114-_ZN7rocprim17ROCPRIM_304000_NS6detail35device_block_merge_mergepath_kernelINS1_37wrapped_merge_sort_block_merge_configINS0_14default_configElN2at4cuda3cub6detail10OpaqueTypeILi8EEEEEPlSC_PSA_SD_jNS1_19radix_merge_compareILb0ELb0ElNS0_19identity_decomposerEEEEEvT0_T1_T2_T3_T4_SL_jT5_PKSL_NS1_7vsmem_tE
                                        ; -- End function
	.set _ZN7rocprim17ROCPRIM_304000_NS6detail35device_block_merge_mergepath_kernelINS1_37wrapped_merge_sort_block_merge_configINS0_14default_configElN2at4cuda3cub6detail10OpaqueTypeILi8EEEEEPlSC_PSA_SD_jNS1_19radix_merge_compareILb0ELb0ElNS0_19identity_decomposerEEEEEvT0_T1_T2_T3_T4_SL_jT5_PKSL_NS1_7vsmem_tE.num_vgpr, 49
	.set _ZN7rocprim17ROCPRIM_304000_NS6detail35device_block_merge_mergepath_kernelINS1_37wrapped_merge_sort_block_merge_configINS0_14default_configElN2at4cuda3cub6detail10OpaqueTypeILi8EEEEEPlSC_PSA_SD_jNS1_19radix_merge_compareILb0ELb0ElNS0_19identity_decomposerEEEEEvT0_T1_T2_T3_T4_SL_jT5_PKSL_NS1_7vsmem_tE.num_agpr, 0
	.set _ZN7rocprim17ROCPRIM_304000_NS6detail35device_block_merge_mergepath_kernelINS1_37wrapped_merge_sort_block_merge_configINS0_14default_configElN2at4cuda3cub6detail10OpaqueTypeILi8EEEEEPlSC_PSA_SD_jNS1_19radix_merge_compareILb0ELb0ElNS0_19identity_decomposerEEEEEvT0_T1_T2_T3_T4_SL_jT5_PKSL_NS1_7vsmem_tE.numbered_sgpr, 36
	.set _ZN7rocprim17ROCPRIM_304000_NS6detail35device_block_merge_mergepath_kernelINS1_37wrapped_merge_sort_block_merge_configINS0_14default_configElN2at4cuda3cub6detail10OpaqueTypeILi8EEEEEPlSC_PSA_SD_jNS1_19radix_merge_compareILb0ELb0ElNS0_19identity_decomposerEEEEEvT0_T1_T2_T3_T4_SL_jT5_PKSL_NS1_7vsmem_tE.num_named_barrier, 0
	.set _ZN7rocprim17ROCPRIM_304000_NS6detail35device_block_merge_mergepath_kernelINS1_37wrapped_merge_sort_block_merge_configINS0_14default_configElN2at4cuda3cub6detail10OpaqueTypeILi8EEEEEPlSC_PSA_SD_jNS1_19radix_merge_compareILb0ELb0ElNS0_19identity_decomposerEEEEEvT0_T1_T2_T3_T4_SL_jT5_PKSL_NS1_7vsmem_tE.private_seg_size, 0
	.set _ZN7rocprim17ROCPRIM_304000_NS6detail35device_block_merge_mergepath_kernelINS1_37wrapped_merge_sort_block_merge_configINS0_14default_configElN2at4cuda3cub6detail10OpaqueTypeILi8EEEEEPlSC_PSA_SD_jNS1_19radix_merge_compareILb0ELb0ElNS0_19identity_decomposerEEEEEvT0_T1_T2_T3_T4_SL_jT5_PKSL_NS1_7vsmem_tE.uses_vcc, 1
	.set _ZN7rocprim17ROCPRIM_304000_NS6detail35device_block_merge_mergepath_kernelINS1_37wrapped_merge_sort_block_merge_configINS0_14default_configElN2at4cuda3cub6detail10OpaqueTypeILi8EEEEEPlSC_PSA_SD_jNS1_19radix_merge_compareILb0ELb0ElNS0_19identity_decomposerEEEEEvT0_T1_T2_T3_T4_SL_jT5_PKSL_NS1_7vsmem_tE.uses_flat_scratch, 0
	.set _ZN7rocprim17ROCPRIM_304000_NS6detail35device_block_merge_mergepath_kernelINS1_37wrapped_merge_sort_block_merge_configINS0_14default_configElN2at4cuda3cub6detail10OpaqueTypeILi8EEEEEPlSC_PSA_SD_jNS1_19radix_merge_compareILb0ELb0ElNS0_19identity_decomposerEEEEEvT0_T1_T2_T3_T4_SL_jT5_PKSL_NS1_7vsmem_tE.has_dyn_sized_stack, 0
	.set _ZN7rocprim17ROCPRIM_304000_NS6detail35device_block_merge_mergepath_kernelINS1_37wrapped_merge_sort_block_merge_configINS0_14default_configElN2at4cuda3cub6detail10OpaqueTypeILi8EEEEEPlSC_PSA_SD_jNS1_19radix_merge_compareILb0ELb0ElNS0_19identity_decomposerEEEEEvT0_T1_T2_T3_T4_SL_jT5_PKSL_NS1_7vsmem_tE.has_recursion, 0
	.set _ZN7rocprim17ROCPRIM_304000_NS6detail35device_block_merge_mergepath_kernelINS1_37wrapped_merge_sort_block_merge_configINS0_14default_configElN2at4cuda3cub6detail10OpaqueTypeILi8EEEEEPlSC_PSA_SD_jNS1_19radix_merge_compareILb0ELb0ElNS0_19identity_decomposerEEEEEvT0_T1_T2_T3_T4_SL_jT5_PKSL_NS1_7vsmem_tE.has_indirect_call, 0
	.section	.AMDGPU.csdata,"",@progbits
; Kernel info:
; codeLenInByte = 5564
; TotalNumSgprs: 42
; NumVgprs: 49
; NumAgprs: 0
; TotalNumVgprs: 49
; ScratchSize: 0
; MemoryBound: 1
; FloatMode: 240
; IeeeMode: 1
; LDSByteSize: 8448 bytes/workgroup (compile time only)
; SGPRBlocks: 5
; VGPRBlocks: 6
; NumSGPRsForWavesPerEU: 42
; NumVGPRsForWavesPerEU: 49
; AccumOffset: 52
; Occupancy: 8
; WaveLimiterHint : 1
; COMPUTE_PGM_RSRC2:SCRATCH_EN: 0
; COMPUTE_PGM_RSRC2:USER_SGPR: 2
; COMPUTE_PGM_RSRC2:TRAP_HANDLER: 0
; COMPUTE_PGM_RSRC2:TGID_X_EN: 1
; COMPUTE_PGM_RSRC2:TGID_Y_EN: 1
; COMPUTE_PGM_RSRC2:TGID_Z_EN: 1
; COMPUTE_PGM_RSRC2:TIDIG_COMP_CNT: 0
; COMPUTE_PGM_RSRC3_GFX90A:ACCUM_OFFSET: 12
; COMPUTE_PGM_RSRC3_GFX90A:TG_SPLIT: 0
	.section	.text._ZN7rocprim17ROCPRIM_304000_NS6detail33device_block_merge_oddeven_kernelINS1_37wrapped_merge_sort_block_merge_configINS0_14default_configElN2at4cuda3cub6detail10OpaqueTypeILi8EEEEEPlSC_PSA_SD_jNS1_19radix_merge_compareILb0ELb0ElNS0_19identity_decomposerEEEEEvT0_T1_T2_T3_T4_SL_T5_,"axG",@progbits,_ZN7rocprim17ROCPRIM_304000_NS6detail33device_block_merge_oddeven_kernelINS1_37wrapped_merge_sort_block_merge_configINS0_14default_configElN2at4cuda3cub6detail10OpaqueTypeILi8EEEEEPlSC_PSA_SD_jNS1_19radix_merge_compareILb0ELb0ElNS0_19identity_decomposerEEEEEvT0_T1_T2_T3_T4_SL_T5_,comdat
	.protected	_ZN7rocprim17ROCPRIM_304000_NS6detail33device_block_merge_oddeven_kernelINS1_37wrapped_merge_sort_block_merge_configINS0_14default_configElN2at4cuda3cub6detail10OpaqueTypeILi8EEEEEPlSC_PSA_SD_jNS1_19radix_merge_compareILb0ELb0ElNS0_19identity_decomposerEEEEEvT0_T1_T2_T3_T4_SL_T5_ ; -- Begin function _ZN7rocprim17ROCPRIM_304000_NS6detail33device_block_merge_oddeven_kernelINS1_37wrapped_merge_sort_block_merge_configINS0_14default_configElN2at4cuda3cub6detail10OpaqueTypeILi8EEEEEPlSC_PSA_SD_jNS1_19radix_merge_compareILb0ELb0ElNS0_19identity_decomposerEEEEEvT0_T1_T2_T3_T4_SL_T5_
	.globl	_ZN7rocprim17ROCPRIM_304000_NS6detail33device_block_merge_oddeven_kernelINS1_37wrapped_merge_sort_block_merge_configINS0_14default_configElN2at4cuda3cub6detail10OpaqueTypeILi8EEEEEPlSC_PSA_SD_jNS1_19radix_merge_compareILb0ELb0ElNS0_19identity_decomposerEEEEEvT0_T1_T2_T3_T4_SL_T5_
	.p2align	8
	.type	_ZN7rocprim17ROCPRIM_304000_NS6detail33device_block_merge_oddeven_kernelINS1_37wrapped_merge_sort_block_merge_configINS0_14default_configElN2at4cuda3cub6detail10OpaqueTypeILi8EEEEEPlSC_PSA_SD_jNS1_19radix_merge_compareILb0ELb0ElNS0_19identity_decomposerEEEEEvT0_T1_T2_T3_T4_SL_T5_,@function
_ZN7rocprim17ROCPRIM_304000_NS6detail33device_block_merge_oddeven_kernelINS1_37wrapped_merge_sort_block_merge_configINS0_14default_configElN2at4cuda3cub6detail10OpaqueTypeILi8EEEEEPlSC_PSA_SD_jNS1_19radix_merge_compareILb0ELb0ElNS0_19identity_decomposerEEEEEvT0_T1_T2_T3_T4_SL_T5_: ; @_ZN7rocprim17ROCPRIM_304000_NS6detail33device_block_merge_oddeven_kernelINS1_37wrapped_merge_sort_block_merge_configINS0_14default_configElN2at4cuda3cub6detail10OpaqueTypeILi8EEEEEPlSC_PSA_SD_jNS1_19radix_merge_compareILb0ELb0ElNS0_19identity_decomposerEEEEEvT0_T1_T2_T3_T4_SL_T5_
; %bb.0:
	s_load_dwordx2 s[16:17], s[0:1], 0x20
	s_waitcnt lgkmcnt(0)
	s_lshr_b32 s3, s16, 8
	s_cmp_eq_u32 s2, s3
	s_cselect_b64 s[6:7], -1, 0
	s_cmp_lg_u32 s2, s3
	s_cselect_b64 s[8:9], -1, 0
	s_lshl_b32 s18, s2, 8
	s_sub_i32 s3, s16, s18
	v_cmp_gt_u32_e64 s[4:5], s3, v0
	s_or_b64 s[8:9], s[8:9], s[4:5]
	s_and_saveexec_b64 s[10:11], s[8:9]
	s_cbranch_execz .LBB115_24
; %bb.1:
	s_load_dwordx8 s[8:15], s[0:1], 0x0
	s_mov_b32 s19, 0
	s_lshl_b64 s[0:1], s[18:19], 3
	v_lshlrev_b32_e32 v1, 3, v0
	v_add_u32_e32 v0, s18, v0
	s_waitcnt lgkmcnt(0)
	s_add_u32 s20, s8, s0
	s_addc_u32 s21, s9, s1
	s_add_u32 s0, s12, s0
	s_addc_u32 s1, s13, s1
	global_load_dwordx2 v[2:3], v1, s[0:1]
	global_load_dwordx2 v[4:5], v1, s[20:21]
	s_lshr_b32 s0, s17, 8
	s_sub_i32 s1, 0, s0
	s_and_b32 s1, s2, s1
	s_and_b32 s0, s1, s0
	s_lshl_b32 s19, s1, 8
	s_sub_i32 s12, 0, s17
	s_cmp_eq_u32 s0, 0
	s_cselect_b64 s[0:1], -1, 0
	s_and_b64 s[2:3], s[0:1], exec
	s_cselect_b32 s12, s17, s12
	s_add_i32 s12, s12, s19
	s_mov_b64 s[2:3], -1
	s_cmp_gt_u32 s16, s12
	s_cbranch_scc1 .LBB115_9
; %bb.2:
	s_and_b64 vcc, exec, s[6:7]
	s_cbranch_vccz .LBB115_6
; %bb.3:
	v_cmp_gt_u32_e32 vcc, s16, v0
	s_and_saveexec_b64 s[2:3], vcc
	s_cbranch_execz .LBB115_5
; %bb.4:
	v_mov_b32_e32 v1, 0
	v_lshlrev_b64 v[6:7], 3, v[0:1]
	v_lshl_add_u64 v[8:9], s[14:15], 0, v[6:7]
	v_lshl_add_u64 v[6:7], s[10:11], 0, v[6:7]
	s_waitcnt vmcnt(0)
	global_store_dwordx2 v[6:7], v[4:5], off
	global_store_dwordx2 v[8:9], v[2:3], off
.LBB115_5:
	s_or_b64 exec, exec, s[2:3]
	s_mov_b64 s[2:3], 0
.LBB115_6:
	s_andn2_b64 vcc, exec, s[2:3]
	s_cbranch_vccnz .LBB115_8
; %bb.7:
	v_mov_b32_e32 v1, 0
	v_lshlrev_b64 v[6:7], 3, v[0:1]
	v_lshl_add_u64 v[8:9], s[10:11], 0, v[6:7]
	v_lshl_add_u64 v[6:7], s[14:15], 0, v[6:7]
	s_waitcnt vmcnt(0)
	global_store_dwordx2 v[8:9], v[4:5], off
	global_store_dwordx2 v[6:7], v[2:3], off
.LBB115_8:
	s_mov_b64 s[2:3], 0
.LBB115_9:
	s_andn2_b64 vcc, exec, s[2:3]
	s_cbranch_vccnz .LBB115_24
; %bb.10:
	s_min_u32 s13, s12, s16
	s_add_i32 s2, s13, s17
	s_min_u32 s16, s2, s16
	s_min_u32 s2, s19, s13
	s_add_i32 s19, s19, s13
	v_subrev_u32_e32 v0, s19, v0
	v_add_u32_e32 v6, s2, v0
	s_andn2_b64 vcc, exec, s[6:7]
	s_mov_b64 s[2:3], -1
	s_cbranch_vccnz .LBB115_18
; %bb.11:
	s_and_saveexec_b64 s[2:3], s[4:5]
	s_cbranch_execz .LBB115_17
; %bb.12:
	s_cmp_ge_u32 s12, s16
	v_mov_b32_e32 v7, s13
	s_cbranch_scc1 .LBB115_16
; %bb.13:
	s_mov_b64 s[4:5], 0
	v_mov_b32_e32 v8, s16
	v_mov_b32_e32 v7, s13
	;; [unrolled: 1-line block ×3, first 2 shown]
.LBB115_14:                             ; =>This Inner Loop Header: Depth=1
	v_add_u32_e32 v0, v7, v8
	v_lshrrev_b32_e32 v0, 1, v0
	v_lshl_add_u64 v[10:11], v[0:1], 3, s[8:9]
	global_load_dwordx2 v[10:11], v[10:11], off
	v_add_u32_e32 v9, 1, v0
	s_waitcnt vmcnt(0)
	v_cmp_gt_i64_e32 vcc, v[4:5], v[10:11]
	s_nop 1
	v_cndmask_b32_e64 v12, 0, 1, vcc
	v_cmp_le_i64_e32 vcc, v[10:11], v[4:5]
	s_nop 1
	v_cndmask_b32_e64 v10, 0, 1, vcc
	v_cndmask_b32_e64 v10, v10, v12, s[0:1]
	v_and_b32_e32 v10, 1, v10
	v_cmp_eq_u32_e32 vcc, 1, v10
	s_nop 1
	v_cndmask_b32_e32 v8, v0, v8, vcc
	v_cndmask_b32_e32 v7, v7, v9, vcc
	v_cmp_ge_u32_e32 vcc, v7, v8
	s_or_b64 s[4:5], vcc, s[4:5]
	s_andn2_b64 exec, exec, s[4:5]
	s_cbranch_execnz .LBB115_14
; %bb.15:
	s_or_b64 exec, exec, s[4:5]
.LBB115_16:
	v_add_u32_e32 v0, v7, v6
	v_mov_b32_e32 v1, 0
	v_lshlrev_b64 v[0:1], 3, v[0:1]
	v_lshl_add_u64 v[8:9], s[10:11], 0, v[0:1]
	v_lshl_add_u64 v[0:1], s[14:15], 0, v[0:1]
	s_waitcnt vmcnt(0)
	global_store_dwordx2 v[8:9], v[4:5], off
	global_store_dwordx2 v[0:1], v[2:3], off
.LBB115_17:
	s_or_b64 exec, exec, s[2:3]
	s_mov_b64 s[2:3], 0
.LBB115_18:
	s_andn2_b64 vcc, exec, s[2:3]
	s_cbranch_vccnz .LBB115_24
; %bb.19:
	s_cmp_ge_u32 s12, s16
	v_mov_b32_e32 v7, s13
	s_cbranch_scc1 .LBB115_23
; %bb.20:
	s_mov_b64 s[2:3], 0
	v_mov_b32_e32 v8, s16
	v_mov_b32_e32 v7, s13
	;; [unrolled: 1-line block ×3, first 2 shown]
.LBB115_21:                             ; =>This Inner Loop Header: Depth=1
	v_add_u32_e32 v0, v7, v8
	v_lshrrev_b32_e32 v0, 1, v0
	v_lshl_add_u64 v[10:11], v[0:1], 3, s[8:9]
	global_load_dwordx2 v[10:11], v[10:11], off
	v_add_u32_e32 v9, 1, v0
	s_waitcnt vmcnt(0)
	v_cmp_gt_i64_e32 vcc, v[4:5], v[10:11]
	s_nop 1
	v_cndmask_b32_e64 v12, 0, 1, vcc
	v_cmp_le_i64_e32 vcc, v[10:11], v[4:5]
	s_nop 1
	v_cndmask_b32_e64 v10, 0, 1, vcc
	v_cndmask_b32_e64 v10, v10, v12, s[0:1]
	v_and_b32_e32 v10, 1, v10
	v_cmp_eq_u32_e32 vcc, 1, v10
	s_nop 1
	v_cndmask_b32_e32 v8, v0, v8, vcc
	v_cndmask_b32_e32 v7, v7, v9, vcc
	v_cmp_ge_u32_e32 vcc, v7, v8
	s_or_b64 s[2:3], vcc, s[2:3]
	s_andn2_b64 exec, exec, s[2:3]
	s_cbranch_execnz .LBB115_21
; %bb.22:
	s_or_b64 exec, exec, s[2:3]
.LBB115_23:
	v_add_u32_e32 v0, v7, v6
	v_mov_b32_e32 v1, 0
	v_lshlrev_b64 v[0:1], 3, v[0:1]
	v_lshl_add_u64 v[6:7], s[10:11], 0, v[0:1]
	v_lshl_add_u64 v[0:1], s[14:15], 0, v[0:1]
	s_waitcnt vmcnt(0)
	global_store_dwordx2 v[6:7], v[4:5], off
	global_store_dwordx2 v[0:1], v[2:3], off
.LBB115_24:
	s_endpgm
	.section	.rodata,"a",@progbits
	.p2align	6, 0x0
	.amdhsa_kernel _ZN7rocprim17ROCPRIM_304000_NS6detail33device_block_merge_oddeven_kernelINS1_37wrapped_merge_sort_block_merge_configINS0_14default_configElN2at4cuda3cub6detail10OpaqueTypeILi8EEEEEPlSC_PSA_SD_jNS1_19radix_merge_compareILb0ELb0ElNS0_19identity_decomposerEEEEEvT0_T1_T2_T3_T4_SL_T5_
		.amdhsa_group_segment_fixed_size 0
		.amdhsa_private_segment_fixed_size 0
		.amdhsa_kernarg_size 44
		.amdhsa_user_sgpr_count 2
		.amdhsa_user_sgpr_dispatch_ptr 0
		.amdhsa_user_sgpr_queue_ptr 0
		.amdhsa_user_sgpr_kernarg_segment_ptr 1
		.amdhsa_user_sgpr_dispatch_id 0
		.amdhsa_user_sgpr_kernarg_preload_length 0
		.amdhsa_user_sgpr_kernarg_preload_offset 0
		.amdhsa_user_sgpr_private_segment_size 0
		.amdhsa_uses_dynamic_stack 0
		.amdhsa_enable_private_segment 0
		.amdhsa_system_sgpr_workgroup_id_x 1
		.amdhsa_system_sgpr_workgroup_id_y 0
		.amdhsa_system_sgpr_workgroup_id_z 0
		.amdhsa_system_sgpr_workgroup_info 0
		.amdhsa_system_vgpr_workitem_id 0
		.amdhsa_next_free_vgpr 13
		.amdhsa_next_free_sgpr 22
		.amdhsa_accum_offset 16
		.amdhsa_reserve_vcc 1
		.amdhsa_float_round_mode_32 0
		.amdhsa_float_round_mode_16_64 0
		.amdhsa_float_denorm_mode_32 3
		.amdhsa_float_denorm_mode_16_64 3
		.amdhsa_dx10_clamp 1
		.amdhsa_ieee_mode 1
		.amdhsa_fp16_overflow 0
		.amdhsa_tg_split 0
		.amdhsa_exception_fp_ieee_invalid_op 0
		.amdhsa_exception_fp_denorm_src 0
		.amdhsa_exception_fp_ieee_div_zero 0
		.amdhsa_exception_fp_ieee_overflow 0
		.amdhsa_exception_fp_ieee_underflow 0
		.amdhsa_exception_fp_ieee_inexact 0
		.amdhsa_exception_int_div_zero 0
	.end_amdhsa_kernel
	.section	.text._ZN7rocprim17ROCPRIM_304000_NS6detail33device_block_merge_oddeven_kernelINS1_37wrapped_merge_sort_block_merge_configINS0_14default_configElN2at4cuda3cub6detail10OpaqueTypeILi8EEEEEPlSC_PSA_SD_jNS1_19radix_merge_compareILb0ELb0ElNS0_19identity_decomposerEEEEEvT0_T1_T2_T3_T4_SL_T5_,"axG",@progbits,_ZN7rocprim17ROCPRIM_304000_NS6detail33device_block_merge_oddeven_kernelINS1_37wrapped_merge_sort_block_merge_configINS0_14default_configElN2at4cuda3cub6detail10OpaqueTypeILi8EEEEEPlSC_PSA_SD_jNS1_19radix_merge_compareILb0ELb0ElNS0_19identity_decomposerEEEEEvT0_T1_T2_T3_T4_SL_T5_,comdat
.Lfunc_end115:
	.size	_ZN7rocprim17ROCPRIM_304000_NS6detail33device_block_merge_oddeven_kernelINS1_37wrapped_merge_sort_block_merge_configINS0_14default_configElN2at4cuda3cub6detail10OpaqueTypeILi8EEEEEPlSC_PSA_SD_jNS1_19radix_merge_compareILb0ELb0ElNS0_19identity_decomposerEEEEEvT0_T1_T2_T3_T4_SL_T5_, .Lfunc_end115-_ZN7rocprim17ROCPRIM_304000_NS6detail33device_block_merge_oddeven_kernelINS1_37wrapped_merge_sort_block_merge_configINS0_14default_configElN2at4cuda3cub6detail10OpaqueTypeILi8EEEEEPlSC_PSA_SD_jNS1_19radix_merge_compareILb0ELb0ElNS0_19identity_decomposerEEEEEvT0_T1_T2_T3_T4_SL_T5_
                                        ; -- End function
	.set _ZN7rocprim17ROCPRIM_304000_NS6detail33device_block_merge_oddeven_kernelINS1_37wrapped_merge_sort_block_merge_configINS0_14default_configElN2at4cuda3cub6detail10OpaqueTypeILi8EEEEEPlSC_PSA_SD_jNS1_19radix_merge_compareILb0ELb0ElNS0_19identity_decomposerEEEEEvT0_T1_T2_T3_T4_SL_T5_.num_vgpr, 13
	.set _ZN7rocprim17ROCPRIM_304000_NS6detail33device_block_merge_oddeven_kernelINS1_37wrapped_merge_sort_block_merge_configINS0_14default_configElN2at4cuda3cub6detail10OpaqueTypeILi8EEEEEPlSC_PSA_SD_jNS1_19radix_merge_compareILb0ELb0ElNS0_19identity_decomposerEEEEEvT0_T1_T2_T3_T4_SL_T5_.num_agpr, 0
	.set _ZN7rocprim17ROCPRIM_304000_NS6detail33device_block_merge_oddeven_kernelINS1_37wrapped_merge_sort_block_merge_configINS0_14default_configElN2at4cuda3cub6detail10OpaqueTypeILi8EEEEEPlSC_PSA_SD_jNS1_19radix_merge_compareILb0ELb0ElNS0_19identity_decomposerEEEEEvT0_T1_T2_T3_T4_SL_T5_.numbered_sgpr, 22
	.set _ZN7rocprim17ROCPRIM_304000_NS6detail33device_block_merge_oddeven_kernelINS1_37wrapped_merge_sort_block_merge_configINS0_14default_configElN2at4cuda3cub6detail10OpaqueTypeILi8EEEEEPlSC_PSA_SD_jNS1_19radix_merge_compareILb0ELb0ElNS0_19identity_decomposerEEEEEvT0_T1_T2_T3_T4_SL_T5_.num_named_barrier, 0
	.set _ZN7rocprim17ROCPRIM_304000_NS6detail33device_block_merge_oddeven_kernelINS1_37wrapped_merge_sort_block_merge_configINS0_14default_configElN2at4cuda3cub6detail10OpaqueTypeILi8EEEEEPlSC_PSA_SD_jNS1_19radix_merge_compareILb0ELb0ElNS0_19identity_decomposerEEEEEvT0_T1_T2_T3_T4_SL_T5_.private_seg_size, 0
	.set _ZN7rocprim17ROCPRIM_304000_NS6detail33device_block_merge_oddeven_kernelINS1_37wrapped_merge_sort_block_merge_configINS0_14default_configElN2at4cuda3cub6detail10OpaqueTypeILi8EEEEEPlSC_PSA_SD_jNS1_19radix_merge_compareILb0ELb0ElNS0_19identity_decomposerEEEEEvT0_T1_T2_T3_T4_SL_T5_.uses_vcc, 1
	.set _ZN7rocprim17ROCPRIM_304000_NS6detail33device_block_merge_oddeven_kernelINS1_37wrapped_merge_sort_block_merge_configINS0_14default_configElN2at4cuda3cub6detail10OpaqueTypeILi8EEEEEPlSC_PSA_SD_jNS1_19radix_merge_compareILb0ELb0ElNS0_19identity_decomposerEEEEEvT0_T1_T2_T3_T4_SL_T5_.uses_flat_scratch, 0
	.set _ZN7rocprim17ROCPRIM_304000_NS6detail33device_block_merge_oddeven_kernelINS1_37wrapped_merge_sort_block_merge_configINS0_14default_configElN2at4cuda3cub6detail10OpaqueTypeILi8EEEEEPlSC_PSA_SD_jNS1_19radix_merge_compareILb0ELb0ElNS0_19identity_decomposerEEEEEvT0_T1_T2_T3_T4_SL_T5_.has_dyn_sized_stack, 0
	.set _ZN7rocprim17ROCPRIM_304000_NS6detail33device_block_merge_oddeven_kernelINS1_37wrapped_merge_sort_block_merge_configINS0_14default_configElN2at4cuda3cub6detail10OpaqueTypeILi8EEEEEPlSC_PSA_SD_jNS1_19radix_merge_compareILb0ELb0ElNS0_19identity_decomposerEEEEEvT0_T1_T2_T3_T4_SL_T5_.has_recursion, 0
	.set _ZN7rocprim17ROCPRIM_304000_NS6detail33device_block_merge_oddeven_kernelINS1_37wrapped_merge_sort_block_merge_configINS0_14default_configElN2at4cuda3cub6detail10OpaqueTypeILi8EEEEEPlSC_PSA_SD_jNS1_19radix_merge_compareILb0ELb0ElNS0_19identity_decomposerEEEEEvT0_T1_T2_T3_T4_SL_T5_.has_indirect_call, 0
	.section	.AMDGPU.csdata,"",@progbits
; Kernel info:
; codeLenInByte = 772
; TotalNumSgprs: 28
; NumVgprs: 13
; NumAgprs: 0
; TotalNumVgprs: 13
; ScratchSize: 0
; MemoryBound: 0
; FloatMode: 240
; IeeeMode: 1
; LDSByteSize: 0 bytes/workgroup (compile time only)
; SGPRBlocks: 3
; VGPRBlocks: 1
; NumSGPRsForWavesPerEU: 28
; NumVGPRsForWavesPerEU: 13
; AccumOffset: 16
; Occupancy: 8
; WaveLimiterHint : 0
; COMPUTE_PGM_RSRC2:SCRATCH_EN: 0
; COMPUTE_PGM_RSRC2:USER_SGPR: 2
; COMPUTE_PGM_RSRC2:TRAP_HANDLER: 0
; COMPUTE_PGM_RSRC2:TGID_X_EN: 1
; COMPUTE_PGM_RSRC2:TGID_Y_EN: 0
; COMPUTE_PGM_RSRC2:TGID_Z_EN: 0
; COMPUTE_PGM_RSRC2:TIDIG_COMP_CNT: 0
; COMPUTE_PGM_RSRC3_GFX90A:ACCUM_OFFSET: 3
; COMPUTE_PGM_RSRC3_GFX90A:TG_SPLIT: 0
	.section	.text._ZN7rocprim17ROCPRIM_304000_NS6detail45device_block_merge_mergepath_partition_kernelINS1_37wrapped_merge_sort_block_merge_configINS0_14default_configElN2at4cuda3cub6detail10OpaqueTypeILi8EEEEEPljNS1_19radix_merge_compareILb0ELb1ElNS0_19identity_decomposerEEEEEvT0_T1_jPSH_T2_SH_,"axG",@progbits,_ZN7rocprim17ROCPRIM_304000_NS6detail45device_block_merge_mergepath_partition_kernelINS1_37wrapped_merge_sort_block_merge_configINS0_14default_configElN2at4cuda3cub6detail10OpaqueTypeILi8EEEEEPljNS1_19radix_merge_compareILb0ELb1ElNS0_19identity_decomposerEEEEEvT0_T1_jPSH_T2_SH_,comdat
	.protected	_ZN7rocprim17ROCPRIM_304000_NS6detail45device_block_merge_mergepath_partition_kernelINS1_37wrapped_merge_sort_block_merge_configINS0_14default_configElN2at4cuda3cub6detail10OpaqueTypeILi8EEEEEPljNS1_19radix_merge_compareILb0ELb1ElNS0_19identity_decomposerEEEEEvT0_T1_jPSH_T2_SH_ ; -- Begin function _ZN7rocprim17ROCPRIM_304000_NS6detail45device_block_merge_mergepath_partition_kernelINS1_37wrapped_merge_sort_block_merge_configINS0_14default_configElN2at4cuda3cub6detail10OpaqueTypeILi8EEEEEPljNS1_19radix_merge_compareILb0ELb1ElNS0_19identity_decomposerEEEEEvT0_T1_jPSH_T2_SH_
	.globl	_ZN7rocprim17ROCPRIM_304000_NS6detail45device_block_merge_mergepath_partition_kernelINS1_37wrapped_merge_sort_block_merge_configINS0_14default_configElN2at4cuda3cub6detail10OpaqueTypeILi8EEEEEPljNS1_19radix_merge_compareILb0ELb1ElNS0_19identity_decomposerEEEEEvT0_T1_jPSH_T2_SH_
	.p2align	8
	.type	_ZN7rocprim17ROCPRIM_304000_NS6detail45device_block_merge_mergepath_partition_kernelINS1_37wrapped_merge_sort_block_merge_configINS0_14default_configElN2at4cuda3cub6detail10OpaqueTypeILi8EEEEEPljNS1_19radix_merge_compareILb0ELb1ElNS0_19identity_decomposerEEEEEvT0_T1_jPSH_T2_SH_,@function
_ZN7rocprim17ROCPRIM_304000_NS6detail45device_block_merge_mergepath_partition_kernelINS1_37wrapped_merge_sort_block_merge_configINS0_14default_configElN2at4cuda3cub6detail10OpaqueTypeILi8EEEEEPljNS1_19radix_merge_compareILb0ELb1ElNS0_19identity_decomposerEEEEEvT0_T1_jPSH_T2_SH_: ; @_ZN7rocprim17ROCPRIM_304000_NS6detail45device_block_merge_mergepath_partition_kernelINS1_37wrapped_merge_sort_block_merge_configINS0_14default_configElN2at4cuda3cub6detail10OpaqueTypeILi8EEEEEPljNS1_19radix_merge_compareILb0ELb1ElNS0_19identity_decomposerEEEEEvT0_T1_jPSH_T2_SH_
; %bb.0:
	s_load_dwordx2 s[8:9], s[0:1], 0x8
	v_lshl_or_b32 v0, s2, 7, v0
	s_waitcnt lgkmcnt(0)
	v_cmp_gt_u32_e32 vcc, s9, v0
	s_and_saveexec_b64 s[2:3], vcc
	s_cbranch_execz .LBB116_6
; %bb.1:
	s_load_dword s2, s[0:1], 0x20
	s_load_dwordx4 s[4:7], s[0:1], 0x10
	s_waitcnt lgkmcnt(0)
	s_lshr_b32 s3, s2, 9
	s_and_b32 s3, s3, 0x7ffffe
	s_add_i32 s9, s3, -1
	s_sub_i32 s3, 0, s3
	v_and_b32_e32 v1, s3, v0
	v_lshlrev_b32_e32 v1, 10, v1
	v_min_u32_e32 v2, s8, v1
	v_add_u32_e32 v1, s2, v1
	v_min_u32_e32 v4, s8, v1
	v_add_u32_e32 v1, s2, v4
	v_and_b32_e32 v3, s9, v0
	v_min_u32_e32 v1, s8, v1
	v_sub_u32_e32 v5, v1, v2
	v_lshlrev_b32_e32 v3, 10, v3
	v_min_u32_e32 v10, v5, v3
	v_sub_u32_e32 v3, v4, v2
	v_sub_u32_e32 v1, v1, v4
	v_sub_u32_e64 v1, v10, v1 clamp
	v_min_u32_e32 v11, v10, v3
	v_cmp_lt_u32_e32 vcc, v1, v11
	s_and_saveexec_b64 s[2:3], vcc
	s_cbranch_execz .LBB116_5
; %bb.2:
	s_load_dwordx2 s[0:1], s[0:1], 0x0
	v_mov_b32_e32 v5, 0
	v_mov_b32_e32 v3, v5
	s_waitcnt lgkmcnt(0)
	v_lshl_add_u64 v[6:7], v[2:3], 3, s[0:1]
	v_lshl_add_u64 v[8:9], v[4:5], 3, s[0:1]
	s_mov_b64 s[0:1], 0
.LBB116_3:                              ; =>This Inner Loop Header: Depth=1
	v_add_u32_e32 v3, v11, v1
	v_lshrrev_b32_e32 v4, 1, v3
	v_mov_b32_e32 v13, v5
	v_xad_u32 v12, v4, -1, v10
	v_lshl_add_u64 v[14:15], v[4:5], 3, v[6:7]
	v_lshl_add_u64 v[12:13], v[12:13], 3, v[8:9]
	global_load_dwordx2 v[14:15], v[14:15], off
	v_add_u32_e32 v3, 1, v4
	global_load_dwordx2 v[12:13], v[12:13], off
	s_waitcnt vmcnt(1)
	v_and_b32_e32 v15, s7, v15
	v_and_b32_e32 v14, s6, v14
	s_waitcnt vmcnt(0)
	v_and_b32_e32 v13, s7, v13
	v_and_b32_e32 v12, s6, v12
	v_cmp_gt_i64_e32 vcc, v[14:15], v[12:13]
	s_nop 1
	v_cndmask_b32_e32 v11, v11, v4, vcc
	v_cndmask_b32_e32 v1, v3, v1, vcc
	v_cmp_ge_u32_e32 vcc, v1, v11
	s_or_b64 s[0:1], vcc, s[0:1]
	s_andn2_b64 exec, exec, s[0:1]
	s_cbranch_execnz .LBB116_3
; %bb.4:
	s_or_b64 exec, exec, s[0:1]
.LBB116_5:
	s_or_b64 exec, exec, s[2:3]
	v_mov_b32_e32 v4, s4
	v_mov_b32_e32 v5, s5
	v_add_u32_e32 v2, v1, v2
	v_mov_b32_e32 v1, 0
	v_lshl_add_u64 v[0:1], v[0:1], 2, v[4:5]
	global_store_dword v[0:1], v2, off
.LBB116_6:
	s_endpgm
	.section	.rodata,"a",@progbits
	.p2align	6, 0x0
	.amdhsa_kernel _ZN7rocprim17ROCPRIM_304000_NS6detail45device_block_merge_mergepath_partition_kernelINS1_37wrapped_merge_sort_block_merge_configINS0_14default_configElN2at4cuda3cub6detail10OpaqueTypeILi8EEEEEPljNS1_19radix_merge_compareILb0ELb1ElNS0_19identity_decomposerEEEEEvT0_T1_jPSH_T2_SH_
		.amdhsa_group_segment_fixed_size 0
		.amdhsa_private_segment_fixed_size 0
		.amdhsa_kernarg_size 36
		.amdhsa_user_sgpr_count 2
		.amdhsa_user_sgpr_dispatch_ptr 0
		.amdhsa_user_sgpr_queue_ptr 0
		.amdhsa_user_sgpr_kernarg_segment_ptr 1
		.amdhsa_user_sgpr_dispatch_id 0
		.amdhsa_user_sgpr_kernarg_preload_length 0
		.amdhsa_user_sgpr_kernarg_preload_offset 0
		.amdhsa_user_sgpr_private_segment_size 0
		.amdhsa_uses_dynamic_stack 0
		.amdhsa_enable_private_segment 0
		.amdhsa_system_sgpr_workgroup_id_x 1
		.amdhsa_system_sgpr_workgroup_id_y 0
		.amdhsa_system_sgpr_workgroup_id_z 0
		.amdhsa_system_sgpr_workgroup_info 0
		.amdhsa_system_vgpr_workitem_id 0
		.amdhsa_next_free_vgpr 16
		.amdhsa_next_free_sgpr 10
		.amdhsa_accum_offset 16
		.amdhsa_reserve_vcc 1
		.amdhsa_float_round_mode_32 0
		.amdhsa_float_round_mode_16_64 0
		.amdhsa_float_denorm_mode_32 3
		.amdhsa_float_denorm_mode_16_64 3
		.amdhsa_dx10_clamp 1
		.amdhsa_ieee_mode 1
		.amdhsa_fp16_overflow 0
		.amdhsa_tg_split 0
		.amdhsa_exception_fp_ieee_invalid_op 0
		.amdhsa_exception_fp_denorm_src 0
		.amdhsa_exception_fp_ieee_div_zero 0
		.amdhsa_exception_fp_ieee_overflow 0
		.amdhsa_exception_fp_ieee_underflow 0
		.amdhsa_exception_fp_ieee_inexact 0
		.amdhsa_exception_int_div_zero 0
	.end_amdhsa_kernel
	.section	.text._ZN7rocprim17ROCPRIM_304000_NS6detail45device_block_merge_mergepath_partition_kernelINS1_37wrapped_merge_sort_block_merge_configINS0_14default_configElN2at4cuda3cub6detail10OpaqueTypeILi8EEEEEPljNS1_19radix_merge_compareILb0ELb1ElNS0_19identity_decomposerEEEEEvT0_T1_jPSH_T2_SH_,"axG",@progbits,_ZN7rocprim17ROCPRIM_304000_NS6detail45device_block_merge_mergepath_partition_kernelINS1_37wrapped_merge_sort_block_merge_configINS0_14default_configElN2at4cuda3cub6detail10OpaqueTypeILi8EEEEEPljNS1_19radix_merge_compareILb0ELb1ElNS0_19identity_decomposerEEEEEvT0_T1_jPSH_T2_SH_,comdat
.Lfunc_end116:
	.size	_ZN7rocprim17ROCPRIM_304000_NS6detail45device_block_merge_mergepath_partition_kernelINS1_37wrapped_merge_sort_block_merge_configINS0_14default_configElN2at4cuda3cub6detail10OpaqueTypeILi8EEEEEPljNS1_19radix_merge_compareILb0ELb1ElNS0_19identity_decomposerEEEEEvT0_T1_jPSH_T2_SH_, .Lfunc_end116-_ZN7rocprim17ROCPRIM_304000_NS6detail45device_block_merge_mergepath_partition_kernelINS1_37wrapped_merge_sort_block_merge_configINS0_14default_configElN2at4cuda3cub6detail10OpaqueTypeILi8EEEEEPljNS1_19radix_merge_compareILb0ELb1ElNS0_19identity_decomposerEEEEEvT0_T1_jPSH_T2_SH_
                                        ; -- End function
	.set _ZN7rocprim17ROCPRIM_304000_NS6detail45device_block_merge_mergepath_partition_kernelINS1_37wrapped_merge_sort_block_merge_configINS0_14default_configElN2at4cuda3cub6detail10OpaqueTypeILi8EEEEEPljNS1_19radix_merge_compareILb0ELb1ElNS0_19identity_decomposerEEEEEvT0_T1_jPSH_T2_SH_.num_vgpr, 16
	.set _ZN7rocprim17ROCPRIM_304000_NS6detail45device_block_merge_mergepath_partition_kernelINS1_37wrapped_merge_sort_block_merge_configINS0_14default_configElN2at4cuda3cub6detail10OpaqueTypeILi8EEEEEPljNS1_19radix_merge_compareILb0ELb1ElNS0_19identity_decomposerEEEEEvT0_T1_jPSH_T2_SH_.num_agpr, 0
	.set _ZN7rocprim17ROCPRIM_304000_NS6detail45device_block_merge_mergepath_partition_kernelINS1_37wrapped_merge_sort_block_merge_configINS0_14default_configElN2at4cuda3cub6detail10OpaqueTypeILi8EEEEEPljNS1_19radix_merge_compareILb0ELb1ElNS0_19identity_decomposerEEEEEvT0_T1_jPSH_T2_SH_.numbered_sgpr, 10
	.set _ZN7rocprim17ROCPRIM_304000_NS6detail45device_block_merge_mergepath_partition_kernelINS1_37wrapped_merge_sort_block_merge_configINS0_14default_configElN2at4cuda3cub6detail10OpaqueTypeILi8EEEEEPljNS1_19radix_merge_compareILb0ELb1ElNS0_19identity_decomposerEEEEEvT0_T1_jPSH_T2_SH_.num_named_barrier, 0
	.set _ZN7rocprim17ROCPRIM_304000_NS6detail45device_block_merge_mergepath_partition_kernelINS1_37wrapped_merge_sort_block_merge_configINS0_14default_configElN2at4cuda3cub6detail10OpaqueTypeILi8EEEEEPljNS1_19radix_merge_compareILb0ELb1ElNS0_19identity_decomposerEEEEEvT0_T1_jPSH_T2_SH_.private_seg_size, 0
	.set _ZN7rocprim17ROCPRIM_304000_NS6detail45device_block_merge_mergepath_partition_kernelINS1_37wrapped_merge_sort_block_merge_configINS0_14default_configElN2at4cuda3cub6detail10OpaqueTypeILi8EEEEEPljNS1_19radix_merge_compareILb0ELb1ElNS0_19identity_decomposerEEEEEvT0_T1_jPSH_T2_SH_.uses_vcc, 1
	.set _ZN7rocprim17ROCPRIM_304000_NS6detail45device_block_merge_mergepath_partition_kernelINS1_37wrapped_merge_sort_block_merge_configINS0_14default_configElN2at4cuda3cub6detail10OpaqueTypeILi8EEEEEPljNS1_19radix_merge_compareILb0ELb1ElNS0_19identity_decomposerEEEEEvT0_T1_jPSH_T2_SH_.uses_flat_scratch, 0
	.set _ZN7rocprim17ROCPRIM_304000_NS6detail45device_block_merge_mergepath_partition_kernelINS1_37wrapped_merge_sort_block_merge_configINS0_14default_configElN2at4cuda3cub6detail10OpaqueTypeILi8EEEEEPljNS1_19radix_merge_compareILb0ELb1ElNS0_19identity_decomposerEEEEEvT0_T1_jPSH_T2_SH_.has_dyn_sized_stack, 0
	.set _ZN7rocprim17ROCPRIM_304000_NS6detail45device_block_merge_mergepath_partition_kernelINS1_37wrapped_merge_sort_block_merge_configINS0_14default_configElN2at4cuda3cub6detail10OpaqueTypeILi8EEEEEPljNS1_19radix_merge_compareILb0ELb1ElNS0_19identity_decomposerEEEEEvT0_T1_jPSH_T2_SH_.has_recursion, 0
	.set _ZN7rocprim17ROCPRIM_304000_NS6detail45device_block_merge_mergepath_partition_kernelINS1_37wrapped_merge_sort_block_merge_configINS0_14default_configElN2at4cuda3cub6detail10OpaqueTypeILi8EEEEEPljNS1_19radix_merge_compareILb0ELb1ElNS0_19identity_decomposerEEEEEvT0_T1_jPSH_T2_SH_.has_indirect_call, 0
	.section	.AMDGPU.csdata,"",@progbits
; Kernel info:
; codeLenInByte = 344
; TotalNumSgprs: 16
; NumVgprs: 16
; NumAgprs: 0
; TotalNumVgprs: 16
; ScratchSize: 0
; MemoryBound: 0
; FloatMode: 240
; IeeeMode: 1
; LDSByteSize: 0 bytes/workgroup (compile time only)
; SGPRBlocks: 1
; VGPRBlocks: 1
; NumSGPRsForWavesPerEU: 16
; NumVGPRsForWavesPerEU: 16
; AccumOffset: 16
; Occupancy: 8
; WaveLimiterHint : 0
; COMPUTE_PGM_RSRC2:SCRATCH_EN: 0
; COMPUTE_PGM_RSRC2:USER_SGPR: 2
; COMPUTE_PGM_RSRC2:TRAP_HANDLER: 0
; COMPUTE_PGM_RSRC2:TGID_X_EN: 1
; COMPUTE_PGM_RSRC2:TGID_Y_EN: 0
; COMPUTE_PGM_RSRC2:TGID_Z_EN: 0
; COMPUTE_PGM_RSRC2:TIDIG_COMP_CNT: 0
; COMPUTE_PGM_RSRC3_GFX90A:ACCUM_OFFSET: 3
; COMPUTE_PGM_RSRC3_GFX90A:TG_SPLIT: 0
	.section	.text._ZN7rocprim17ROCPRIM_304000_NS6detail35device_block_merge_mergepath_kernelINS1_37wrapped_merge_sort_block_merge_configINS0_14default_configElN2at4cuda3cub6detail10OpaqueTypeILi8EEEEEPlSC_PSA_SD_jNS1_19radix_merge_compareILb0ELb1ElNS0_19identity_decomposerEEEEEvT0_T1_T2_T3_T4_SL_jT5_PKSL_NS1_7vsmem_tE,"axG",@progbits,_ZN7rocprim17ROCPRIM_304000_NS6detail35device_block_merge_mergepath_kernelINS1_37wrapped_merge_sort_block_merge_configINS0_14default_configElN2at4cuda3cub6detail10OpaqueTypeILi8EEEEEPlSC_PSA_SD_jNS1_19radix_merge_compareILb0ELb1ElNS0_19identity_decomposerEEEEEvT0_T1_T2_T3_T4_SL_jT5_PKSL_NS1_7vsmem_tE,comdat
	.protected	_ZN7rocprim17ROCPRIM_304000_NS6detail35device_block_merge_mergepath_kernelINS1_37wrapped_merge_sort_block_merge_configINS0_14default_configElN2at4cuda3cub6detail10OpaqueTypeILi8EEEEEPlSC_PSA_SD_jNS1_19radix_merge_compareILb0ELb1ElNS0_19identity_decomposerEEEEEvT0_T1_T2_T3_T4_SL_jT5_PKSL_NS1_7vsmem_tE ; -- Begin function _ZN7rocprim17ROCPRIM_304000_NS6detail35device_block_merge_mergepath_kernelINS1_37wrapped_merge_sort_block_merge_configINS0_14default_configElN2at4cuda3cub6detail10OpaqueTypeILi8EEEEEPlSC_PSA_SD_jNS1_19radix_merge_compareILb0ELb1ElNS0_19identity_decomposerEEEEEvT0_T1_T2_T3_T4_SL_jT5_PKSL_NS1_7vsmem_tE
	.globl	_ZN7rocprim17ROCPRIM_304000_NS6detail35device_block_merge_mergepath_kernelINS1_37wrapped_merge_sort_block_merge_configINS0_14default_configElN2at4cuda3cub6detail10OpaqueTypeILi8EEEEEPlSC_PSA_SD_jNS1_19radix_merge_compareILb0ELb1ElNS0_19identity_decomposerEEEEEvT0_T1_T2_T3_T4_SL_jT5_PKSL_NS1_7vsmem_tE
	.p2align	8
	.type	_ZN7rocprim17ROCPRIM_304000_NS6detail35device_block_merge_mergepath_kernelINS1_37wrapped_merge_sort_block_merge_configINS0_14default_configElN2at4cuda3cub6detail10OpaqueTypeILi8EEEEEPlSC_PSA_SD_jNS1_19radix_merge_compareILb0ELb1ElNS0_19identity_decomposerEEEEEvT0_T1_T2_T3_T4_SL_jT5_PKSL_NS1_7vsmem_tE,@function
_ZN7rocprim17ROCPRIM_304000_NS6detail35device_block_merge_mergepath_kernelINS1_37wrapped_merge_sort_block_merge_configINS0_14default_configElN2at4cuda3cub6detail10OpaqueTypeILi8EEEEEPlSC_PSA_SD_jNS1_19radix_merge_compareILb0ELb1ElNS0_19identity_decomposerEEEEEvT0_T1_T2_T3_T4_SL_jT5_PKSL_NS1_7vsmem_tE: ; @_ZN7rocprim17ROCPRIM_304000_NS6detail35device_block_merge_mergepath_kernelINS1_37wrapped_merge_sort_block_merge_configINS0_14default_configElN2at4cuda3cub6detail10OpaqueTypeILi8EEEEEPlSC_PSA_SD_jNS1_19radix_merge_compareILb0ELb1ElNS0_19identity_decomposerEEEEEvT0_T1_T2_T3_T4_SL_jT5_PKSL_NS1_7vsmem_tE
; %bb.0:
	s_load_dwordx2 s[36:37], s[0:1], 0x48
	s_load_dwordx4 s[16:19], s[0:1], 0x20
	s_add_u32 s34, s0, 0x48
	s_addc_u32 s35, s1, 0
	s_waitcnt lgkmcnt(0)
	s_mul_i32 s4, s37, s4
	s_add_i32 s3, s4, s3
	s_mul_i32 s3, s3, s36
	s_add_i32 s6, s3, s2
	s_cmp_ge_u32 s6, s18
	s_cbranch_scc1 .LBB117_103
; %bb.1:
	s_load_dwordx8 s[8:15], s[0:1], 0x0
	s_load_dwordx4 s[20:23], s[0:1], 0x30
	s_lshr_b32 s37, s16, 10
	s_cmp_lg_u32 s6, s37
	s_mov_b32 s7, 0
	s_cselect_b64 s[24:25], -1, 0
	s_lshl_b64 s[0:1], s[6:7], 2
	s_waitcnt lgkmcnt(0)
	s_add_u32 s0, s22, s0
	s_addc_u32 s1, s23, s1
	s_load_dwordx2 s[22:23], s[0:1], 0x0
	s_lshr_b32 s0, s17, 9
	s_and_b32 s0, s0, 0x7ffffe
	s_sub_i32 s0, 0, s0
	s_and_b32 s1, s6, s0
	s_lshl_b32 s3, s1, 10
	s_lshl_b32 s18, s6, 10
	s_lshl_b32 s1, s1, 11
	s_sub_i32 s4, s18, s3
	s_add_i32 s1, s1, s17
	s_add_i32 s4, s1, s4
	s_waitcnt lgkmcnt(0)
	s_sub_i32 s5, s4, s22
	s_sub_i32 s4, s4, s23
	;; [unrolled: 1-line block ×3, first 2 shown]
	s_min_u32 s26, s16, s5
	s_addk_i32 s4, 0x400
	s_or_b32 s0, s6, s0
	s_min_u32 s3, s16, s1
	s_add_i32 s1, s1, s17
	s_cmp_eq_u32 s0, -1
	s_cselect_b32 s0, s1, s4
	s_cselect_b32 s1, s3, s23
	s_min_u32 s0, s0, s16
	s_mov_b32 s23, s7
	s_sub_i32 s19, s1, s22
	s_sub_i32 s33, s0, s26
	s_lshl_b64 s[28:29], s[22:23], 3
	s_add_u32 s0, s8, s28
	s_mov_b32 s27, s7
	s_addc_u32 s1, s9, s29
	s_lshl_b64 s[30:31], s[26:27], 3
	s_add_u32 s4, s8, s30
	s_addc_u32 s5, s9, s31
	s_cmp_lt_u32 s2, s36
	v_mov_b32_e32 v19, 0
	s_cselect_b32 s2, 12, 18
	global_load_dword v1, v19, s[34:35] offset:14
	s_add_u32 s2, s34, s2
	s_addc_u32 s3, s35, 0
	global_load_ushort v2, v19, s[2:3]
	v_cmp_gt_u32_e32 vcc, s19, v0
	s_cmp_eq_u32 s6, s37
	v_lshlrev_b32_e32 v18, 3, v0
	s_waitcnt vmcnt(1)
	v_lshrrev_b32_e32 v3, 16, v1
	v_and_b32_e32 v1, 0xffff, v1
	v_mul_lo_u32 v1, v1, v3
	s_waitcnt vmcnt(0)
	v_mul_lo_u32 v1, v1, v2
	v_add_u32_e32 v20, v1, v0
	s_cbranch_scc1 .LBB117_3
; %bb.2:
	v_subrev_u32_e32 v4, s19, v0
	v_lshlrev_b32_e32 v4, 3, v4
	v_mov_b32_e32 v5, v19
	v_lshl_add_u64 v[2:3], s[0:1], 0, v[18:19]
	v_lshl_add_u64 v[4:5], s[4:5], 0, v[4:5]
	v_cndmask_b32_e32 v3, v5, v3, vcc
	v_cndmask_b32_e32 v2, v4, v2, vcc
	v_mov_b32_e32 v21, v19
	v_subrev_co_u32_e32 v6, vcc, s19, v20
	v_mov_b32_e32 v7, v19
	v_lshl_add_u64 v[4:5], v[20:21], 3, s[0:1]
	v_lshl_add_u64 v[6:7], v[6:7], 3, s[4:5]
	v_add_u32_e32 v8, v20, v1
	v_cndmask_b32_e32 v5, v7, v5, vcc
	v_cndmask_b32_e32 v4, v6, v4, vcc
	v_mov_b32_e32 v9, v19
	v_subrev_co_u32_e32 v10, vcc, s19, v8
	v_mov_b32_e32 v11, v19
	v_lshl_add_u64 v[6:7], v[8:9], 3, s[0:1]
	v_lshl_add_u64 v[10:11], v[10:11], 3, s[4:5]
	v_cndmask_b32_e32 v6, v10, v6, vcc
	v_add_u32_e32 v10, v8, v1
	v_cndmask_b32_e32 v7, v11, v7, vcc
	v_mov_b32_e32 v11, v19
	v_subrev_co_u32_e32 v12, vcc, s19, v10
	v_mov_b32_e32 v13, v19
	v_lshl_add_u64 v[8:9], v[10:11], 3, s[0:1]
	v_lshl_add_u64 v[12:13], v[12:13], 3, s[4:5]
	v_cndmask_b32_e32 v8, v12, v8, vcc
	v_add_u32_e32 v12, v10, v1
	v_cndmask_b32_e32 v9, v13, v9, vcc
	v_mov_b32_e32 v13, v19
	v_subrev_co_u32_e32 v14, vcc, s19, v12
	v_mov_b32_e32 v15, v19
	v_lshl_add_u64 v[10:11], v[12:13], 3, s[0:1]
	v_lshl_add_u64 v[14:15], v[14:15], 3, s[4:5]
	v_cndmask_b32_e32 v10, v14, v10, vcc
	v_add_u32_e32 v14, v12, v1
	v_cndmask_b32_e32 v11, v15, v11, vcc
	v_mov_b32_e32 v15, v19
	v_subrev_co_u32_e32 v16, vcc, s19, v14
	v_mov_b32_e32 v17, v19
	v_lshl_add_u64 v[12:13], v[14:15], 3, s[0:1]
	v_lshl_add_u64 v[16:17], v[16:17], 3, s[4:5]
	v_cndmask_b32_e32 v12, v16, v12, vcc
	v_add_u32_e32 v16, v14, v1
	v_cndmask_b32_e32 v13, v17, v13, vcc
	v_mov_b32_e32 v17, v19
	v_subrev_co_u32_e32 v22, vcc, s19, v16
	v_mov_b32_e32 v23, v19
	v_lshl_add_u64 v[14:15], v[16:17], 3, s[0:1]
	v_lshl_add_u64 v[22:23], v[22:23], 3, s[4:5]
	v_add_u32_e32 v16, v16, v1
	v_cndmask_b32_e32 v15, v23, v15, vcc
	v_cndmask_b32_e32 v14, v22, v14, vcc
	v_lshl_add_u64 v[22:23], v[16:17], 3, s[0:1]
	v_subrev_co_u32_e32 v16, vcc, s19, v16
	v_lshl_add_u64 v[16:17], v[16:17], 3, s[4:5]
	s_nop 0
	v_cndmask_b32_e32 v17, v17, v23, vcc
	v_cndmask_b32_e32 v16, v16, v22, vcc
	global_load_dwordx2 v[2:3], v[2:3], off
	s_add_i32 s17, s33, s19
	global_load_dwordx2 v[4:5], v[4:5], off
	s_nop 0
	global_load_dwordx2 v[6:7], v[6:7], off
	s_nop 0
	;; [unrolled: 2-line block ×6, first 2 shown]
	global_load_dwordx2 v[16:17], v[16:17], off
	s_cbranch_execz .LBB117_4
	s_branch .LBB117_21
.LBB117_3:
                                        ; implicit-def: $vgpr2_vgpr3_vgpr4_vgpr5_vgpr6_vgpr7_vgpr8_vgpr9_vgpr10_vgpr11_vgpr12_vgpr13_vgpr14_vgpr15_vgpr16_vgpr17
                                        ; implicit-def: $sgpr17
.LBB117_4:
	s_add_i32 s17, s33, s19
	s_waitcnt vmcnt(7)
	v_mov_b32_e32 v2, 0
	v_cmp_gt_u32_e32 vcc, s17, v0
	v_mov_b32_e32 v3, v2
	s_waitcnt vmcnt(6)
	v_mov_b32_e32 v4, v2
	v_mov_b32_e32 v5, v2
	s_waitcnt vmcnt(5)
	v_mov_b32_e32 v6, v2
	v_mov_b32_e32 v7, v2
	s_waitcnt vmcnt(4)
	v_mov_b32_e32 v8, v2
	v_mov_b32_e32 v9, v2
	s_waitcnt vmcnt(3)
	v_mov_b32_e32 v10, v2
	v_mov_b32_e32 v11, v2
	s_waitcnt vmcnt(2)
	v_mov_b32_e32 v12, v2
	v_mov_b32_e32 v13, v2
	s_waitcnt vmcnt(1)
	v_mov_b32_e32 v14, v2
	v_mov_b32_e32 v15, v2
	s_waitcnt vmcnt(0)
	v_mov_b32_e32 v16, v2
	v_mov_b32_e32 v17, v2
	s_and_saveexec_b64 s[2:3], vcc
	s_cbranch_execz .LBB117_6
; %bb.5:
	v_subrev_u32_e32 v3, s19, v0
	v_mov_b32_e32 v19, v2
	v_lshlrev_b32_e32 v6, 3, v3
	v_mov_b32_e32 v7, v2
	v_lshl_add_u64 v[4:5], s[0:1], 0, v[18:19]
	v_lshl_add_u64 v[6:7], s[4:5], 0, v[6:7]
	v_cmp_gt_u32_e32 vcc, s19, v0
	v_mov_b32_e32 v24, v2
	v_mov_b32_e32 v25, v2
	v_cndmask_b32_e32 v5, v7, v5, vcc
	v_cndmask_b32_e32 v4, v6, v4, vcc
	global_load_dwordx2 v[22:23], v[4:5], off
	v_mov_b32_e32 v26, v2
	v_mov_b32_e32 v27, v2
	;; [unrolled: 1-line block ×12, first 2 shown]
	s_waitcnt vmcnt(0)
	v_mov_b64_e32 v[2:3], v[22:23]
	v_mov_b64_e32 v[4:5], v[24:25]
	v_mov_b64_e32 v[6:7], v[26:27]
	v_mov_b64_e32 v[8:9], v[28:29]
	v_mov_b64_e32 v[10:11], v[30:31]
	v_mov_b64_e32 v[12:13], v[32:33]
	v_mov_b64_e32 v[14:15], v[34:35]
	v_mov_b64_e32 v[16:17], v[36:37]
.LBB117_6:
	s_or_b64 exec, exec, s[2:3]
	v_cmp_gt_u32_e32 vcc, s17, v20
	s_and_saveexec_b64 s[2:3], vcc
	s_cbranch_execz .LBB117_8
; %bb.7:
	v_mov_b32_e32 v21, 0
	v_subrev_co_u32_e32 v22, vcc, s19, v20
	v_mov_b32_e32 v23, v21
	v_lshl_add_u64 v[4:5], v[20:21], 3, s[0:1]
	v_lshl_add_u64 v[22:23], v[22:23], 3, s[4:5]
	v_cndmask_b32_e32 v5, v23, v5, vcc
	v_cndmask_b32_e32 v4, v22, v4, vcc
	global_load_dwordx2 v[4:5], v[4:5], off
.LBB117_8:
	s_or_b64 exec, exec, s[2:3]
	v_add_u32_e32 v20, v20, v1
	v_cmp_gt_u32_e32 vcc, s17, v20
	s_and_saveexec_b64 s[2:3], vcc
	s_cbranch_execz .LBB117_10
; %bb.9:
	v_mov_b32_e32 v21, 0
	v_subrev_co_u32_e32 v22, vcc, s19, v20
	v_mov_b32_e32 v23, v21
	v_lshl_add_u64 v[6:7], v[20:21], 3, s[0:1]
	v_lshl_add_u64 v[22:23], v[22:23], 3, s[4:5]
	v_cndmask_b32_e32 v7, v23, v7, vcc
	v_cndmask_b32_e32 v6, v22, v6, vcc
	global_load_dwordx2 v[6:7], v[6:7], off
.LBB117_10:
	s_or_b64 exec, exec, s[2:3]
	v_add_u32_e32 v20, v20, v1
	;; [unrolled: 15-line block ×6, first 2 shown]
	v_cmp_gt_u32_e32 vcc, s17, v20
	s_and_saveexec_b64 s[2:3], vcc
	s_cbranch_execz .LBB117_20
; %bb.19:
	v_mov_b32_e32 v21, 0
	v_lshl_add_u64 v[16:17], v[20:21], 3, s[0:1]
	v_subrev_co_u32_e32 v20, vcc, s19, v20
	v_lshl_add_u64 v[20:21], v[20:21], 3, s[4:5]
	s_nop 0
	v_cndmask_b32_e32 v17, v21, v17, vcc
	v_cndmask_b32_e32 v16, v20, v16, vcc
	global_load_dwordx2 v[16:17], v[16:17], off
.LBB117_20:
	s_or_b64 exec, exec, s[2:3]
.LBB117_21:
	v_min_u32_e32 v1, s17, v18
	v_sub_u32_e64 v19, v1, s33 clamp
	v_min_u32_e32 v20, s19, v1
	v_cmp_lt_u32_e32 vcc, v19, v20
	s_waitcnt vmcnt(0)
	ds_write2st64_b64 v18, v[2:3], v[4:5] offset1:2
	ds_write2st64_b64 v18, v[6:7], v[8:9] offset0:4 offset1:6
	ds_write2st64_b64 v18, v[10:11], v[12:13] offset0:8 offset1:10
	;; [unrolled: 1-line block ×3, first 2 shown]
	s_waitcnt lgkmcnt(0)
	s_barrier
	s_and_saveexec_b64 s[0:1], vcc
	s_cbranch_execz .LBB117_25
; %bb.22:
	v_lshlrev_b32_e32 v21, 3, v1
	v_lshl_add_u32 v21, s19, 3, v21
	s_mov_b64 s[2:3], 0
.LBB117_23:                             ; =>This Inner Loop Header: Depth=1
	v_add_u32_e32 v22, v20, v19
	v_lshrrev_b32_e32 v26, 1, v22
	v_not_b32_e32 v24, v26
	v_lshlrev_b32_e32 v22, 3, v26
	v_lshl_add_u32 v24, v24, 3, v21
	ds_read_b64 v[22:23], v22
	ds_read_b64 v[24:25], v24
	v_add_u32_e32 v27, 1, v26
	s_waitcnt lgkmcnt(1)
	v_and_b32_e32 v23, s21, v23
	v_and_b32_e32 v22, s20, v22
	s_waitcnt lgkmcnt(0)
	v_and_b32_e32 v25, s21, v25
	v_and_b32_e32 v24, s20, v24
	v_cmp_gt_i64_e32 vcc, v[22:23], v[24:25]
	s_nop 1
	v_cndmask_b32_e32 v20, v20, v26, vcc
	v_cndmask_b32_e32 v19, v27, v19, vcc
	v_cmp_ge_u32_e32 vcc, v19, v20
	s_or_b64 s[2:3], vcc, s[2:3]
	s_andn2_b64 exec, exec, s[2:3]
	s_cbranch_execnz .LBB117_23
; %bb.24:
	s_or_b64 exec, exec, s[2:3]
.LBB117_25:
	s_or_b64 exec, exec, s[0:1]
	v_sub_u32_e32 v1, v1, v19
	v_add_u32_e32 v20, s19, v1
	v_cmp_ge_u32_e32 vcc, s19, v19
	v_cmp_ge_u32_e64 s[0:1], s17, v20
	s_or_b64 s[0:1], vcc, s[0:1]
	v_mov_b32_e32 v28, 0
	v_mov_b32_e32 v30, 0
	;; [unrolled: 1-line block ×8, first 2 shown]
	s_and_saveexec_b64 s[34:35], s[0:1]
	s_cbranch_execz .LBB117_31
; %bb.26:
	v_cmp_gt_u32_e32 vcc, s19, v19
                                        ; implicit-def: $vgpr2_vgpr3
	s_and_saveexec_b64 s[0:1], vcc
; %bb.27:
	v_lshlrev_b32_e32 v1, 3, v19
	ds_read_b64 v[2:3], v1
; %bb.28:
	s_or_b64 exec, exec, s[0:1]
	v_cmp_le_u32_e64 s[0:1], s17, v20
	v_cmp_gt_u32_e64 s[2:3], s17, v20
                                        ; implicit-def: $vgpr4_vgpr5
	s_and_saveexec_b64 s[4:5], s[2:3]
; %bb.29:
	v_lshlrev_b32_e32 v1, 3, v20
	ds_read_b64 v[4:5], v1
; %bb.30:
	s_or_b64 exec, exec, s[4:5]
	s_waitcnt lgkmcnt(0)
	v_and_b32_e32 v7, s21, v5
	v_and_b32_e32 v6, s20, v4
	v_and_b32_e32 v9, s21, v3
	v_and_b32_e32 v8, s20, v2
	v_cmp_le_i64_e64 s[2:3], v[8:9], v[6:7]
	s_and_b64 s[2:3], vcc, s[2:3]
	s_or_b64 vcc, s[0:1], s[2:3]
	v_mov_b32_e32 v16, s17
	v_mov_b32_e32 v17, s19
	v_cndmask_b32_e32 v1, v20, v19, vcc
	v_cndmask_b32_e32 v6, v16, v17, vcc
	v_add_u32_e32 v8, 1, v1
	v_add_u32_e32 v6, -1, v6
	v_min_u32_e32 v6, v8, v6
	v_lshlrev_b32_e32 v6, 3, v6
	ds_read_b64 v[6:7], v6
	v_cndmask_b32_e32 v14, v8, v20, vcc
	v_cndmask_b32_e32 v15, v19, v8, vcc
	v_cmp_gt_u32_e64 s[2:3], s19, v15
	v_cmp_le_u32_e64 s[0:1], s17, v14
	s_waitcnt lgkmcnt(0)
	v_cndmask_b32_e32 v10, v7, v5, vcc
	v_cndmask_b32_e32 v11, v6, v4, vcc
	;; [unrolled: 1-line block ×4, first 2 shown]
	v_and_b32_e32 v7, s21, v10
	v_and_b32_e32 v6, s20, v11
	;; [unrolled: 1-line block ×4, first 2 shown]
	v_cmp_le_i64_e64 s[4:5], v[8:9], v[6:7]
	s_and_b64 s[2:3], s[2:3], s[4:5]
	s_or_b64 s[0:1], s[0:1], s[2:3]
	v_cndmask_b32_e64 v24, v14, v15, s[0:1]
	v_cndmask_b32_e64 v6, v16, v17, s[0:1]
	v_add_u32_e32 v8, 1, v24
	v_add_u32_e32 v6, -1, v6
	v_min_u32_e32 v6, v8, v6
	v_lshlrev_b32_e32 v6, 3, v6
	ds_read_b64 v[6:7], v6
	v_cndmask_b32_e64 v14, v8, v14, s[0:1]
	v_cndmask_b32_e64 v15, v15, v8, s[0:1]
	v_cmp_gt_u32_e64 s[4:5], s19, v15
	v_cmp_le_u32_e64 s[2:3], s17, v14
	s_waitcnt lgkmcnt(0)
	v_cndmask_b32_e64 v19, v7, v10, s[0:1]
	v_cndmask_b32_e64 v20, v6, v11, s[0:1]
	v_cndmask_b32_e64 v21, v12, v7, s[0:1]
	v_cndmask_b32_e64 v22, v13, v6, s[0:1]
	v_and_b32_e32 v7, s21, v19
	v_and_b32_e32 v6, s20, v20
	;; [unrolled: 1-line block ×4, first 2 shown]
	v_cmp_le_i64_e64 s[6:7], v[8:9], v[6:7]
	s_and_b64 s[4:5], s[4:5], s[6:7]
	s_or_b64 s[2:3], s[2:3], s[4:5]
	v_cndmask_b32_e64 v25, v14, v15, s[2:3]
	v_cndmask_b32_e64 v6, v16, v17, s[2:3]
	v_add_u32_e32 v8, 1, v25
	v_add_u32_e32 v6, -1, v6
	v_min_u32_e32 v6, v8, v6
	v_lshlrev_b32_e32 v6, 3, v6
	ds_read_b64 v[6:7], v6
	v_cndmask_b32_e64 v14, v8, v14, s[2:3]
	v_cndmask_b32_e64 v15, v15, v8, s[2:3]
	v_cmp_gt_u32_e64 s[6:7], s19, v15
	v_cmp_le_u32_e64 s[4:5], s17, v14
	s_waitcnt lgkmcnt(0)
	v_cndmask_b32_e64 v23, v7, v19, s[2:3]
	v_cndmask_b32_e64 v28, v6, v20, s[2:3]
	;; [unrolled: 1-line block ×4, first 2 shown]
	v_and_b32_e32 v7, s21, v23
	v_and_b32_e32 v6, s20, v28
	;; [unrolled: 1-line block ×4, first 2 shown]
	v_cmp_le_i64_e64 s[8:9], v[8:9], v[6:7]
	s_and_b64 s[6:7], s[6:7], s[8:9]
	s_or_b64 s[4:5], s[4:5], s[6:7]
	v_cndmask_b32_e64 v26, v14, v15, s[4:5]
	v_cndmask_b32_e64 v6, v16, v17, s[4:5]
	v_add_u32_e32 v8, 1, v26
	v_add_u32_e32 v6, -1, v6
	v_min_u32_e32 v6, v8, v6
	v_lshlrev_b32_e32 v6, 3, v6
	ds_read_b64 v[6:7], v6
	v_cndmask_b32_e32 v3, v5, v3, vcc
	v_cndmask_b32_e32 v2, v4, v2, vcc
	v_cndmask_b32_e64 v15, v15, v8, s[4:5]
	v_cndmask_b32_e64 v14, v8, v14, s[4:5]
	s_waitcnt lgkmcnt(0)
	v_cndmask_b32_e64 v32, v7, v23, s[4:5]
	v_cndmask_b32_e64 v33, v6, v28, s[4:5]
	;; [unrolled: 1-line block ×4, first 2 shown]
	v_and_b32_e32 v5, s21, v32
	v_and_b32_e32 v4, s20, v33
	;; [unrolled: 1-line block ×4, first 2 shown]
	v_cmp_gt_u32_e64 s[6:7], s19, v15
	v_cmp_le_i64_e64 s[8:9], v[6:7], v[4:5]
	v_cmp_le_u32_e32 vcc, s17, v14
	s_and_b64 s[6:7], s[6:7], s[8:9]
	s_or_b64 vcc, vcc, s[6:7]
	v_cndmask_b32_e32 v27, v14, v15, vcc
	v_cndmask_b32_e32 v4, v16, v17, vcc
	v_add_u32_e32 v29, 1, v27
	v_add_u32_e32 v4, -1, v4
	v_min_u32_e32 v4, v29, v4
	v_lshlrev_b32_e32 v4, 3, v4
	ds_read_b64 v[8:9], v4
	v_cndmask_b32_e64 v7, v19, v21, s[2:3]
	v_cndmask_b32_e64 v6, v20, v22, s[2:3]
	;; [unrolled: 1-line block ×4, first 2 shown]
	s_waitcnt lgkmcnt(0)
	v_cndmask_b32_e32 v19, v9, v32, vcc
	v_cndmask_b32_e32 v20, v8, v33, vcc
	;; [unrolled: 1-line block ×5, first 2 shown]
	v_and_b32_e32 v9, s21, v19
	v_and_b32_e32 v8, s20, v20
	;; [unrolled: 1-line block ×4, first 2 shown]
	v_cndmask_b32_e32 v14, v29, v14, vcc
	v_cmp_gt_u32_e64 s[2:3], s19, v15
	v_cmp_le_i64_e64 s[6:7], v[10:11], v[8:9]
	v_cmp_le_u32_e64 s[0:1], s17, v14
	s_and_b64 s[2:3], s[2:3], s[6:7]
	s_or_b64 s[0:1], s[0:1], s[2:3]
	v_cndmask_b32_e64 v29, v14, v15, s[0:1]
	v_cndmask_b32_e64 v8, v16, v17, s[0:1]
	v_add_u32_e32 v36, 1, v29
	v_add_u32_e32 v8, -1, v8
	v_min_u32_e32 v8, v36, v8
	v_lshlrev_b32_e32 v8, 3, v8
	ds_read_b64 v[12:13], v8
	v_cndmask_b32_e64 v9, v23, v30, s[4:5]
	v_cndmask_b32_e64 v8, v28, v31, s[4:5]
	v_cndmask_b32_e32 v11, v32, v34, vcc
	v_cndmask_b32_e32 v10, v33, v35, vcc
	s_waitcnt lgkmcnt(0)
	v_cndmask_b32_e64 v23, v13, v19, s[0:1]
	v_cndmask_b32_e64 v28, v12, v20, s[0:1]
	;; [unrolled: 1-line block ×6, first 2 shown]
	v_and_b32_e32 v13, s21, v23
	v_and_b32_e32 v12, s20, v28
	;; [unrolled: 1-line block ×4, first 2 shown]
	v_cmp_gt_u32_e64 s[2:3], s19, v34
	v_cmp_le_i64_e64 s[4:5], v[14:15], v[12:13]
	v_cmp_le_u32_e32 vcc, s17, v33
	s_and_b64 s[2:3], s[2:3], s[4:5]
	s_or_b64 vcc, vcc, s[2:3]
	v_cndmask_b32_e32 v30, v33, v34, vcc
	v_cndmask_b32_e32 v12, v16, v17, vcc
	v_add_u32_e32 v35, 1, v30
	v_add_u32_e32 v12, -1, v12
	v_min_u32_e32 v12, v35, v12
	v_lshlrev_b32_e32 v12, 3, v12
	ds_read_b64 v[16:17], v12
	v_cndmask_b32_e64 v13, v19, v21, s[0:1]
	v_cndmask_b32_e64 v12, v20, v22, s[0:1]
	v_cndmask_b32_e32 v15, v23, v31, vcc
	v_cndmask_b32_e32 v14, v28, v32, vcc
	s_waitcnt lgkmcnt(0)
	v_cndmask_b32_e32 v19, v17, v23, vcc
	v_cndmask_b32_e32 v22, v16, v28, vcc
	;; [unrolled: 1-line block ×5, first 2 shown]
	v_and_b32_e32 v17, s21, v19
	v_and_b32_e32 v16, s20, v22
	;; [unrolled: 1-line block ×4, first 2 shown]
	v_cndmask_b32_e32 v28, v35, v33, vcc
	v_cmp_gt_u32_e64 s[0:1], s19, v32
	v_cmp_le_i64_e64 s[2:3], v[20:21], v[16:17]
	v_cmp_le_u32_e32 vcc, s17, v28
	s_and_b64 s[0:1], s[0:1], s[2:3]
	s_or_b64 vcc, vcc, s[0:1]
	v_cndmask_b32_e32 v28, v28, v32, vcc
	v_cndmask_b32_e32 v17, v19, v23, vcc
	;; [unrolled: 1-line block ×3, first 2 shown]
.LBB117_31:
	s_or_b64 exec, exec, s[34:35]
	s_add_u32 s8, s12, s28
	s_addc_u32 s9, s13, s29
	s_add_u32 s6, s12, s30
	v_cndmask_b32_e64 v19, 0, 1, s[24:25]
	v_mov_b32_e32 v21, 0
	s_addc_u32 s7, s13, s31
	v_cmp_gt_u32_e64 s[4:5], s19, v0
	v_cmp_ne_u32_e64 s[0:1], 1, v19
	s_andn2_b64 vcc, exec, s[24:25]
	v_cmp_le_u32_e64 s[2:3], s19, v0
	s_barrier
	s_cbranch_vccnz .LBB117_33
; %bb.32:
	v_subrev_u32_e32 v19, s19, v0
	v_lshlrev_b32_e32 v20, 3, v19
	v_mov_b32_e32 v19, v21
	v_lshl_add_u64 v[32:33], s[8:9], 0, v[18:19]
	v_or_b32_e32 v19, 0x80, v0
	v_lshl_add_u64 v[22:23], s[6:7], 0, v[20:21]
	v_subrev_u32_e32 v20, s19, v19
	v_cndmask_b32_e64 v23, v23, v33, s[4:5]
	v_cndmask_b32_e64 v22, v22, v32, s[4:5]
	v_min_u32_e32 v20, v19, v20
	v_mov_b32_e32 v31, s7
	v_mov_b32_e32 v46, s9
	v_cmp_gt_u32_e32 vcc, s19, v19
	v_mov_b32_e32 v47, s6
	v_mov_b32_e32 v48, s8
	global_load_dwordx2 v[32:33], v[22:23], off
	v_cndmask_b32_e32 v23, v31, v46, vcc
	v_cndmask_b32_e32 v22, v47, v48, vcc
	v_lshlrev_b32_e32 v20, 3, v20
	v_or_b32_e32 v19, 0x100, v0
	v_lshl_add_u64 v[22:23], v[22:23], 0, v[20:21]
	v_subrev_u32_e32 v20, s19, v19
	v_min_u32_e32 v20, v19, v20
	v_cmp_gt_u32_e32 vcc, s19, v19
	global_load_dwordx2 v[34:35], v[22:23], off
	v_lshlrev_b32_e32 v20, 3, v20
	v_cndmask_b32_e32 v23, v31, v46, vcc
	v_cndmask_b32_e32 v22, v47, v48, vcc
	v_or_b32_e32 v19, 0x180, v0
	v_lshl_add_u64 v[22:23], v[22:23], 0, v[20:21]
	v_subrev_u32_e32 v20, s19, v19
	v_min_u32_e32 v20, v19, v20
	v_cmp_gt_u32_e32 vcc, s19, v19
	global_load_dwordx2 v[36:37], v[22:23], off
	v_lshlrev_b32_e32 v20, 3, v20
	v_cndmask_b32_e32 v23, v31, v46, vcc
	v_cndmask_b32_e32 v22, v47, v48, vcc
	v_or_b32_e32 v19, 0x200, v0
	v_lshl_add_u64 v[22:23], v[22:23], 0, v[20:21]
	v_subrev_u32_e32 v20, s19, v19
	v_min_u32_e32 v20, v19, v20
	v_cmp_gt_u32_e32 vcc, s19, v19
	global_load_dwordx2 v[38:39], v[22:23], off
	v_lshlrev_b32_e32 v20, 3, v20
	v_cndmask_b32_e32 v23, v31, v46, vcc
	v_cndmask_b32_e32 v22, v47, v48, vcc
	v_or_b32_e32 v19, 0x280, v0
	v_lshl_add_u64 v[22:23], v[22:23], 0, v[20:21]
	v_subrev_u32_e32 v20, s19, v19
	v_min_u32_e32 v20, v19, v20
	v_cmp_gt_u32_e32 vcc, s19, v19
	global_load_dwordx2 v[40:41], v[22:23], off
	v_lshlrev_b32_e32 v20, 3, v20
	v_cndmask_b32_e32 v23, v31, v46, vcc
	v_cndmask_b32_e32 v22, v47, v48, vcc
	v_or_b32_e32 v19, 0x300, v0
	v_lshl_add_u64 v[22:23], v[22:23], 0, v[20:21]
	v_subrev_u32_e32 v20, s19, v19
	v_min_u32_e32 v20, v19, v20
	v_cmp_gt_u32_e32 vcc, s19, v19
	global_load_dwordx2 v[42:43], v[22:23], off
	v_lshlrev_b32_e32 v20, 3, v20
	v_cndmask_b32_e32 v23, v31, v46, vcc
	v_cndmask_b32_e32 v22, v47, v48, vcc
	v_lshl_add_u64 v[20:21], v[22:23], 0, v[20:21]
	global_load_dwordx2 v[44:45], v[20:21], off
	v_or_b32_e32 v19, 0x380, v0
	v_subrev_u32_e32 v20, s19, v19
	v_cmp_gt_u32_e32 vcc, s19, v19
	v_min_u32_e32 v22, v19, v20
	s_nop 0
	v_cndmask_b32_e32 v21, v31, v46, vcc
	v_cndmask_b32_e32 v20, v47, v48, vcc
	s_mov_b64 s[4:5], -1
	s_waitcnt vmcnt(5)
	ds_write2st64_b64 v18, v[32:33], v[34:35] offset1:2
	s_waitcnt vmcnt(3)
	ds_write2st64_b64 v18, v[36:37], v[38:39] offset0:4 offset1:6
	s_waitcnt vmcnt(1)
	ds_write2st64_b64 v18, v[40:41], v[42:43] offset0:8 offset1:10
	s_waitcnt vmcnt(0)
	ds_write_b64 v18, v[44:45] offset:6144
	s_cbranch_execz .LBB117_34
	s_branch .LBB117_65
.LBB117_33:
	s_mov_b64 s[4:5], 0
                                        ; implicit-def: $vgpr19
                                        ; implicit-def: $vgpr20_vgpr21
                                        ; implicit-def: $vgpr22
.LBB117_34:
	s_mov_b64 s[4:5], 0
                                        ; implicit-def: $vgpr20_vgpr21
	s_and_saveexec_b64 s[20:21], s[2:3]
	s_xor_b64 s[2:3], exec, s[20:21]
	s_cbranch_execnz .LBB117_104
; %bb.35:
	s_andn2_saveexec_b64 s[2:3], s[2:3]
	s_cbranch_execnz .LBB117_107
.LBB117_36:
	s_or_b64 exec, exec, s[2:3]
	s_and_saveexec_b64 s[2:3], s[4:5]
	s_cbranch_execz .LBB117_38
.LBB117_37:
	global_load_dwordx2 v[20:21], v[20:21], off
	s_waitcnt vmcnt(0)
	ds_write_b64 v18, v[20:21]
.LBB117_38:
	s_or_b64 exec, exec, s[2:3]
	v_or_b32_e32 v19, 0x80, v0
	v_cmp_le_u32_e32 vcc, s19, v19
	s_mov_b64 s[2:3], -1
	v_mov_b64_e32 v[20:21], s[22:23]
	s_and_saveexec_b64 s[4:5], vcc
; %bb.39:
	v_subrev_u32_e32 v19, s19, v19
	v_cmp_gt_u32_e32 vcc, s33, v19
	v_mov_b64_e32 v[20:21], s[26:27]
	s_orn2_b64 s[2:3], vcc, exec
; %bb.40:
	s_or_b64 exec, exec, s[4:5]
	s_and_saveexec_b64 s[4:5], s[2:3]
	s_cbranch_execz .LBB117_42
; %bb.41:
	v_lshl_add_u64 v[20:21], v[20:21], 3, s[12:13]
	v_lshlrev_b32_e32 v22, 3, v19
	v_mov_b32_e32 v23, 0
	v_lshl_add_u64 v[20:21], v[20:21], 0, v[22:23]
	global_load_dwordx2 v[20:21], v[20:21], off
	s_waitcnt vmcnt(0)
	ds_write_b64 v18, v[20:21] offset:1024
.LBB117_42:
	s_or_b64 exec, exec, s[4:5]
	v_or_b32_e32 v19, 0x100, v0
	v_cmp_le_u32_e32 vcc, s19, v19
	s_mov_b64 s[2:3], -1
	v_mov_b64_e32 v[20:21], s[22:23]
	s_and_saveexec_b64 s[4:5], vcc
; %bb.43:
	v_subrev_u32_e32 v19, s19, v19
	v_cmp_gt_u32_e32 vcc, s33, v19
	v_mov_b64_e32 v[20:21], s[26:27]
	s_orn2_b64 s[2:3], vcc, exec
; %bb.44:
	s_or_b64 exec, exec, s[4:5]
	s_and_saveexec_b64 s[4:5], s[2:3]
	s_cbranch_execz .LBB117_46
; %bb.45:
	v_lshl_add_u64 v[20:21], v[20:21], 3, s[12:13]
	v_lshlrev_b32_e32 v22, 3, v19
	v_mov_b32_e32 v23, 0
	v_lshl_add_u64 v[20:21], v[20:21], 0, v[22:23]
	global_load_dwordx2 v[20:21], v[20:21], off
	s_waitcnt vmcnt(0)
	ds_write_b64 v18, v[20:21] offset:2048
.LBB117_46:
	;; [unrolled: 24-line block ×6, first 2 shown]
	s_or_b64 exec, exec, s[4:5]
	v_or_b32_e32 v19, 0x380, v0
	v_cmp_le_u32_e32 vcc, s19, v19
	s_mov_b64 s[4:5], -1
	v_mov_b64_e32 v[20:21], s[8:9]
	v_mov_b32_e32 v22, v19
	s_and_saveexec_b64 s[2:3], vcc
; %bb.63:
	v_subrev_u32_e32 v22, s19, v19
	v_cmp_gt_u32_e32 vcc, s33, v22
	v_mov_b64_e32 v[20:21], s[6:7]
	s_orn2_b64 s[4:5], vcc, exec
; %bb.64:
	s_or_b64 exec, exec, s[2:3]
.LBB117_65:
	s_and_saveexec_b64 s[2:3], s[4:5]
	s_cbranch_execz .LBB117_67
; %bb.66:
	v_mov_b32_e32 v23, 0
	v_lshl_add_u64 v[20:21], v[22:23], 3, v[20:21]
	global_load_dwordx2 v[20:21], v[20:21], off
	v_lshlrev_b32_e32 v19, 3, v19
	s_waitcnt vmcnt(0)
	ds_write_b64 v19, v[20:21]
.LBB117_67:
	s_or_b64 exec, exec, s[2:3]
	s_and_b64 vcc, exec, s[0:1]
	v_add_u32_e32 v20, s18, v18
	s_waitcnt lgkmcnt(0)
	s_barrier
	s_cbranch_vccnz .LBB117_69
; %bb.68:
	v_lshlrev_b32_e32 v19, 3, v1
	v_lshlrev_b32_e32 v22, 3, v24
	;; [unrolled: 1-line block ×4, first 2 shown]
	ds_read_b64 v[34:35], v19
	ds_read_b64 v[36:37], v22
	;; [unrolled: 1-line block ×4, first 2 shown]
	v_lshlrev_b32_e32 v19, 3, v27
	v_lshlrev_b32_e32 v22, 3, v29
	;; [unrolled: 1-line block ×3, first 2 shown]
	ds_read_b64 v[42:43], v19
	ds_read_b64 v[44:45], v22
	;; [unrolled: 1-line block ×3, first 2 shown]
	v_mov_b32_e32 v21, 0
	v_lshl_add_u64 v[32:33], v[20:21], 3, s[14:15]
	s_mov_b64 s[0:1], -1
	s_waitcnt lgkmcnt(5)
	global_store_dwordx4 v[32:33], v[34:37], off
	s_waitcnt lgkmcnt(3)
	global_store_dwordx4 v[32:33], v[38:41], off offset:16
	s_waitcnt lgkmcnt(1)
	global_store_dwordx4 v[32:33], v[42:45], off offset:32
	s_waitcnt lgkmcnt(0)
	global_store_dwordx2 v[32:33], v[22:23], off offset:48
	s_cbranch_execz .LBB117_70
	s_branch .LBB117_87
.LBB117_69:
	s_mov_b64 s[0:1], 0
.LBB117_70:
	v_cmp_gt_u32_e32 vcc, s17, v18
	s_and_saveexec_b64 s[2:3], vcc
	s_cbranch_execz .LBB117_72
; %bb.71:
	v_lshlrev_b32_e32 v1, 3, v1
	ds_read_b64 v[22:23], v1
	v_mov_b32_e32 v21, 0
	v_lshl_add_u64 v[32:33], v[20:21], 3, s[14:15]
	s_waitcnt lgkmcnt(0)
	global_store_dwordx2 v[32:33], v[22:23], off
.LBB117_72:
	s_or_b64 exec, exec, s[2:3]
	v_or_b32_e32 v1, 1, v18
	v_cmp_gt_u32_e32 vcc, s17, v1
	s_and_saveexec_b64 s[2:3], vcc
	s_cbranch_execz .LBB117_74
; %bb.73:
	v_lshlrev_b32_e32 v1, 3, v24
	ds_read_b64 v[22:23], v1
	v_mov_b32_e32 v21, 0
	v_lshl_add_u64 v[32:33], v[20:21], 3, s[14:15]
	s_waitcnt lgkmcnt(0)
	global_store_dwordx2 v[32:33], v[22:23], off offset:8
.LBB117_74:
	s_or_b64 exec, exec, s[2:3]
	v_or_b32_e32 v1, 2, v18
	v_cmp_gt_u32_e32 vcc, s17, v1
	s_and_saveexec_b64 s[2:3], vcc
	s_cbranch_execz .LBB117_76
; %bb.75:
	v_lshlrev_b32_e32 v1, 3, v25
	ds_read_b64 v[22:23], v1
	v_mov_b32_e32 v21, 0
	v_lshl_add_u64 v[24:25], v[20:21], 3, s[14:15]
	s_waitcnt lgkmcnt(0)
	global_store_dwordx2 v[24:25], v[22:23], off offset:16
.LBB117_76:
	;; [unrolled: 13-line block ×6, first 2 shown]
	s_or_b64 exec, exec, s[2:3]
	v_or_b32_e32 v1, 7, v18
	v_cmp_gt_u32_e32 vcc, s17, v1
	s_and_saveexec_b64 s[2:3], vcc
; %bb.85:
	v_mov_b32_e32 v21, 0
	s_or_b64 s[0:1], s[0:1], exec
; %bb.86:
	s_or_b64 exec, exec, s[2:3]
.LBB117_87:
	s_and_saveexec_b64 s[2:3], s[0:1]
	s_cbranch_execz .LBB117_89
; %bb.88:
	v_lshlrev_b32_e32 v1, 3, v28
	ds_read_b64 v[22:23], v1
	v_lshl_add_u64 v[20:21], v[20:21], 3, s[14:15]
	s_waitcnt lgkmcnt(0)
	global_store_dwordx2 v[20:21], v[22:23], off offset:56
.LBB117_89:
	s_or_b64 exec, exec, s[2:3]
	v_lshrrev_b32_e32 v1, 2, v0
	v_lshlrev_b32_e32 v19, 3, v18
	v_lshl_add_u32 v19, v1, 3, v19
	v_and_b32_e32 v1, 24, v1
	v_or_b32_e32 v23, 0x80, v0
	v_add_u32_e32 v24, v1, v18
	v_lshrrev_b32_e32 v1, 2, v23
	v_and_b32_e32 v1, 56, v1
	v_or_b32_e32 v22, 0x100, v0
	s_barrier
	s_barrier
	ds_write2_b64 v19, v[2:3], v[4:5] offset1:1
	ds_write2_b64 v19, v[6:7], v[8:9] offset0:2 offset1:3
	ds_write2_b64 v19, v[10:11], v[12:13] offset0:4 offset1:5
	;; [unrolled: 1-line block ×3, first 2 shown]
	v_add_u32_e32 v4, v1, v18
	v_lshrrev_b32_e32 v1, 2, v22
	v_and_b32_e32 v1, 0x58, v1
	v_or_b32_e32 v21, 0x180, v0
	v_add_u32_e32 v5, v1, v18
	v_lshrrev_b32_e32 v1, 2, v21
	v_and_b32_e32 v1, 0x78, v1
	v_or_b32_e32 v20, 0x200, v0
	;; [unrolled: 4-line block ×4, first 2 shown]
	v_add_u32_e32 v25, v1, v18
	v_lshrrev_b32_e32 v1, 2, v16
	s_mov_b32 s19, 0
	v_and_b32_e32 v1, 0xd8, v1
	s_lshl_b64 s[0:1], s[18:19], 3
	v_add_u32_e32 v26, v1, v18
	v_or_b32_e32 v1, 0x380, v0
	s_add_u32 s0, s10, s0
	v_lshrrev_b32_e32 v2, 2, v1
	s_addc_u32 s1, s11, s1
	v_and_b32_e32 v2, 0xf8, v2
	v_mov_b32_e32 v19, 0
	v_add_u32_e32 v27, v2, v18
	v_lshl_add_u64 v[2:3], s[0:1], 0, v[18:19]
	s_and_b64 vcc, exec, s[24:25]
	s_waitcnt lgkmcnt(0)
	s_cbranch_vccz .LBB117_91
; %bb.90:
	s_barrier
	ds_read_b64 v[8:9], v24
	ds_read_b64 v[10:11], v4 offset:1024
	ds_read_b64 v[12:13], v5 offset:2048
	;; [unrolled: 1-line block ×7, first 2 shown]
	s_waitcnt lgkmcnt(7)
	global_store_dwordx2 v[2:3], v[8:9], off
	s_waitcnt lgkmcnt(6)
	global_store_dwordx2 v[2:3], v[10:11], off offset:1024
	s_waitcnt lgkmcnt(5)
	global_store_dwordx2 v[2:3], v[12:13], off offset:2048
	;; [unrolled: 2-line block ×3, first 2 shown]
	v_add_co_u32_e32 v8, vcc, 0x1000, v2
	s_nop 1
	v_addc_co_u32_e32 v9, vcc, 0, v3, vcc
	s_waitcnt lgkmcnt(3)
	global_store_dwordx2 v[8:9], v[28:29], off
	s_waitcnt lgkmcnt(2)
	global_store_dwordx2 v[8:9], v[30:31], off offset:1024
	s_waitcnt lgkmcnt(1)
	global_store_dwordx2 v[8:9], v[32:33], off offset:2048
	s_mov_b64 s[0:1], -1
	s_cbranch_execz .LBB117_92
	s_branch .LBB117_101
.LBB117_91:
	s_mov_b64 s[0:1], 0
                                        ; implicit-def: $vgpr18_vgpr19
.LBB117_92:
	s_barrier
	s_waitcnt lgkmcnt(0)
	ds_read_b64 v[14:15], v4 offset:1024
	ds_read_b64 v[12:13], v5 offset:2048
	;; [unrolled: 1-line block ×7, first 2 shown]
	s_sub_i32 s2, s16, s18
	v_cmp_gt_u32_e32 vcc, s2, v0
	s_and_saveexec_b64 s[0:1], vcc
	s_cbranch_execnz .LBB117_108
; %bb.93:
	s_or_b64 exec, exec, s[0:1]
	v_cmp_gt_u32_e32 vcc, s2, v23
	s_and_saveexec_b64 s[0:1], vcc
	s_cbranch_execnz .LBB117_109
.LBB117_94:
	s_or_b64 exec, exec, s[0:1]
	v_cmp_gt_u32_e32 vcc, s2, v22
	s_and_saveexec_b64 s[0:1], vcc
	s_cbranch_execnz .LBB117_110
.LBB117_95:
	s_or_b64 exec, exec, s[0:1]
	v_cmp_gt_u32_e32 vcc, s2, v21
	s_and_saveexec_b64 s[0:1], vcc
	s_cbranch_execnz .LBB117_111
.LBB117_96:
	s_or_b64 exec, exec, s[0:1]
	v_cmp_gt_u32_e32 vcc, s2, v20
	s_and_saveexec_b64 s[0:1], vcc
	s_cbranch_execnz .LBB117_112
.LBB117_97:
	s_or_b64 exec, exec, s[0:1]
	v_cmp_gt_u32_e32 vcc, s2, v17
	s_and_saveexec_b64 s[0:1], vcc
	s_cbranch_execnz .LBB117_113
.LBB117_98:
	s_or_b64 exec, exec, s[0:1]
	v_cmp_gt_u32_e32 vcc, s2, v16
	s_and_saveexec_b64 s[0:1], vcc
	s_cbranch_execz .LBB117_100
.LBB117_99:
	s_waitcnt lgkmcnt(2)
	v_add_co_u32_e32 v6, vcc, 0x1000, v2
	s_nop 1
	v_addc_co_u32_e32 v7, vcc, 0, v3, vcc
	s_waitcnt lgkmcnt(1)
	global_store_dwordx2 v[6:7], v[4:5], off offset:2048
.LBB117_100:
	s_or_b64 exec, exec, s[0:1]
	v_cmp_gt_u32_e64 s[0:1], s2, v1
.LBB117_101:
	s_and_saveexec_b64 s[2:3], s[0:1]
	s_cbranch_execz .LBB117_103
; %bb.102:
	v_add_co_u32_e32 v0, vcc, 0x1000, v2
	s_nop 1
	v_addc_co_u32_e32 v1, vcc, 0, v3, vcc
	s_waitcnt lgkmcnt(0)
	global_store_dwordx2 v[0:1], v[18:19], off offset:3072
.LBB117_103:
	s_endpgm
.LBB117_104:
	v_subrev_u32_e32 v19, s19, v0
	v_cmp_gt_u32_e32 vcc, s33, v19
                                        ; implicit-def: $vgpr20_vgpr21
	s_and_saveexec_b64 s[20:21], vcc
	s_xor_b64 s[20:21], exec, s[20:21]
; %bb.105:
	v_lshlrev_b32_e32 v20, 3, v19
	v_mov_b32_e32 v21, 0
	s_mov_b64 s[4:5], exec
	v_lshl_add_u64 v[20:21], s[6:7], 0, v[20:21]
; %bb.106:
	s_or_b64 exec, exec, s[20:21]
	s_and_b64 s[4:5], s[4:5], exec
	s_andn2_saveexec_b64 s[2:3], s[2:3]
	s_cbranch_execz .LBB117_36
.LBB117_107:
	v_mov_b32_e32 v19, 0
	v_lshl_add_u64 v[20:21], s[8:9], 0, v[18:19]
	s_or_b64 s[4:5], s[4:5], exec
	s_or_b64 exec, exec, s[2:3]
	s_and_saveexec_b64 s[2:3], s[4:5]
	s_cbranch_execnz .LBB117_37
	s_branch .LBB117_38
.LBB117_108:
	ds_read_b64 v[24:25], v24
	s_waitcnt lgkmcnt(0)
	global_store_dwordx2 v[2:3], v[24:25], off
	s_or_b64 exec, exec, s[0:1]
	v_cmp_gt_u32_e32 vcc, s2, v23
	s_and_saveexec_b64 s[0:1], vcc
	s_cbranch_execz .LBB117_94
.LBB117_109:
	s_waitcnt lgkmcnt(6)
	global_store_dwordx2 v[2:3], v[14:15], off offset:1024
	s_or_b64 exec, exec, s[0:1]
	v_cmp_gt_u32_e32 vcc, s2, v22
	s_and_saveexec_b64 s[0:1], vcc
	s_cbranch_execz .LBB117_95
.LBB117_110:
	s_waitcnt lgkmcnt(5)
	global_store_dwordx2 v[2:3], v[12:13], off offset:2048
	s_or_b64 exec, exec, s[0:1]
	v_cmp_gt_u32_e32 vcc, s2, v21
	s_and_saveexec_b64 s[0:1], vcc
	s_cbranch_execz .LBB117_96
.LBB117_111:
	s_waitcnt lgkmcnt(4)
	global_store_dwordx2 v[2:3], v[10:11], off offset:3072
	s_or_b64 exec, exec, s[0:1]
	v_cmp_gt_u32_e32 vcc, s2, v20
	s_and_saveexec_b64 s[0:1], vcc
	s_cbranch_execz .LBB117_97
.LBB117_112:
	s_waitcnt lgkmcnt(4)
	v_add_co_u32_e32 v10, vcc, 0x1000, v2
	s_nop 1
	v_addc_co_u32_e32 v11, vcc, 0, v3, vcc
	s_waitcnt lgkmcnt(3)
	global_store_dwordx2 v[10:11], v[8:9], off
	s_or_b64 exec, exec, s[0:1]
	v_cmp_gt_u32_e32 vcc, s2, v17
	s_and_saveexec_b64 s[0:1], vcc
	s_cbranch_execz .LBB117_98
.LBB117_113:
	s_waitcnt lgkmcnt(3)
	v_add_co_u32_e32 v8, vcc, 0x1000, v2
	s_nop 1
	v_addc_co_u32_e32 v9, vcc, 0, v3, vcc
	s_waitcnt lgkmcnt(2)
	global_store_dwordx2 v[8:9], v[6:7], off offset:1024
	s_or_b64 exec, exec, s[0:1]
	v_cmp_gt_u32_e32 vcc, s2, v16
	s_and_saveexec_b64 s[0:1], vcc
	s_cbranch_execnz .LBB117_99
	s_branch .LBB117_100
	.section	.rodata,"a",@progbits
	.p2align	6, 0x0
	.amdhsa_kernel _ZN7rocprim17ROCPRIM_304000_NS6detail35device_block_merge_mergepath_kernelINS1_37wrapped_merge_sort_block_merge_configINS0_14default_configElN2at4cuda3cub6detail10OpaqueTypeILi8EEEEEPlSC_PSA_SD_jNS1_19radix_merge_compareILb0ELb1ElNS0_19identity_decomposerEEEEEvT0_T1_T2_T3_T4_SL_jT5_PKSL_NS1_7vsmem_tE
		.amdhsa_group_segment_fixed_size 8448
		.amdhsa_private_segment_fixed_size 0
		.amdhsa_kernarg_size 328
		.amdhsa_user_sgpr_count 2
		.amdhsa_user_sgpr_dispatch_ptr 0
		.amdhsa_user_sgpr_queue_ptr 0
		.amdhsa_user_sgpr_kernarg_segment_ptr 1
		.amdhsa_user_sgpr_dispatch_id 0
		.amdhsa_user_sgpr_kernarg_preload_length 0
		.amdhsa_user_sgpr_kernarg_preload_offset 0
		.amdhsa_user_sgpr_private_segment_size 0
		.amdhsa_uses_dynamic_stack 0
		.amdhsa_enable_private_segment 0
		.amdhsa_system_sgpr_workgroup_id_x 1
		.amdhsa_system_sgpr_workgroup_id_y 1
		.amdhsa_system_sgpr_workgroup_id_z 1
		.amdhsa_system_sgpr_workgroup_info 0
		.amdhsa_system_vgpr_workitem_id 0
		.amdhsa_next_free_vgpr 49
		.amdhsa_next_free_sgpr 38
		.amdhsa_accum_offset 52
		.amdhsa_reserve_vcc 1
		.amdhsa_float_round_mode_32 0
		.amdhsa_float_round_mode_16_64 0
		.amdhsa_float_denorm_mode_32 3
		.amdhsa_float_denorm_mode_16_64 3
		.amdhsa_dx10_clamp 1
		.amdhsa_ieee_mode 1
		.amdhsa_fp16_overflow 0
		.amdhsa_tg_split 0
		.amdhsa_exception_fp_ieee_invalid_op 0
		.amdhsa_exception_fp_denorm_src 0
		.amdhsa_exception_fp_ieee_div_zero 0
		.amdhsa_exception_fp_ieee_overflow 0
		.amdhsa_exception_fp_ieee_underflow 0
		.amdhsa_exception_fp_ieee_inexact 0
		.amdhsa_exception_int_div_zero 0
	.end_amdhsa_kernel
	.section	.text._ZN7rocprim17ROCPRIM_304000_NS6detail35device_block_merge_mergepath_kernelINS1_37wrapped_merge_sort_block_merge_configINS0_14default_configElN2at4cuda3cub6detail10OpaqueTypeILi8EEEEEPlSC_PSA_SD_jNS1_19radix_merge_compareILb0ELb1ElNS0_19identity_decomposerEEEEEvT0_T1_T2_T3_T4_SL_jT5_PKSL_NS1_7vsmem_tE,"axG",@progbits,_ZN7rocprim17ROCPRIM_304000_NS6detail35device_block_merge_mergepath_kernelINS1_37wrapped_merge_sort_block_merge_configINS0_14default_configElN2at4cuda3cub6detail10OpaqueTypeILi8EEEEEPlSC_PSA_SD_jNS1_19radix_merge_compareILb0ELb1ElNS0_19identity_decomposerEEEEEvT0_T1_T2_T3_T4_SL_jT5_PKSL_NS1_7vsmem_tE,comdat
.Lfunc_end117:
	.size	_ZN7rocprim17ROCPRIM_304000_NS6detail35device_block_merge_mergepath_kernelINS1_37wrapped_merge_sort_block_merge_configINS0_14default_configElN2at4cuda3cub6detail10OpaqueTypeILi8EEEEEPlSC_PSA_SD_jNS1_19radix_merge_compareILb0ELb1ElNS0_19identity_decomposerEEEEEvT0_T1_T2_T3_T4_SL_jT5_PKSL_NS1_7vsmem_tE, .Lfunc_end117-_ZN7rocprim17ROCPRIM_304000_NS6detail35device_block_merge_mergepath_kernelINS1_37wrapped_merge_sort_block_merge_configINS0_14default_configElN2at4cuda3cub6detail10OpaqueTypeILi8EEEEEPlSC_PSA_SD_jNS1_19radix_merge_compareILb0ELb1ElNS0_19identity_decomposerEEEEEvT0_T1_T2_T3_T4_SL_jT5_PKSL_NS1_7vsmem_tE
                                        ; -- End function
	.set _ZN7rocprim17ROCPRIM_304000_NS6detail35device_block_merge_mergepath_kernelINS1_37wrapped_merge_sort_block_merge_configINS0_14default_configElN2at4cuda3cub6detail10OpaqueTypeILi8EEEEEPlSC_PSA_SD_jNS1_19radix_merge_compareILb0ELb1ElNS0_19identity_decomposerEEEEEvT0_T1_T2_T3_T4_SL_jT5_PKSL_NS1_7vsmem_tE.num_vgpr, 49
	.set _ZN7rocprim17ROCPRIM_304000_NS6detail35device_block_merge_mergepath_kernelINS1_37wrapped_merge_sort_block_merge_configINS0_14default_configElN2at4cuda3cub6detail10OpaqueTypeILi8EEEEEPlSC_PSA_SD_jNS1_19radix_merge_compareILb0ELb1ElNS0_19identity_decomposerEEEEEvT0_T1_T2_T3_T4_SL_jT5_PKSL_NS1_7vsmem_tE.num_agpr, 0
	.set _ZN7rocprim17ROCPRIM_304000_NS6detail35device_block_merge_mergepath_kernelINS1_37wrapped_merge_sort_block_merge_configINS0_14default_configElN2at4cuda3cub6detail10OpaqueTypeILi8EEEEEPlSC_PSA_SD_jNS1_19radix_merge_compareILb0ELb1ElNS0_19identity_decomposerEEEEEvT0_T1_T2_T3_T4_SL_jT5_PKSL_NS1_7vsmem_tE.numbered_sgpr, 38
	.set _ZN7rocprim17ROCPRIM_304000_NS6detail35device_block_merge_mergepath_kernelINS1_37wrapped_merge_sort_block_merge_configINS0_14default_configElN2at4cuda3cub6detail10OpaqueTypeILi8EEEEEPlSC_PSA_SD_jNS1_19radix_merge_compareILb0ELb1ElNS0_19identity_decomposerEEEEEvT0_T1_T2_T3_T4_SL_jT5_PKSL_NS1_7vsmem_tE.num_named_barrier, 0
	.set _ZN7rocprim17ROCPRIM_304000_NS6detail35device_block_merge_mergepath_kernelINS1_37wrapped_merge_sort_block_merge_configINS0_14default_configElN2at4cuda3cub6detail10OpaqueTypeILi8EEEEEPlSC_PSA_SD_jNS1_19radix_merge_compareILb0ELb1ElNS0_19identity_decomposerEEEEEvT0_T1_T2_T3_T4_SL_jT5_PKSL_NS1_7vsmem_tE.private_seg_size, 0
	.set _ZN7rocprim17ROCPRIM_304000_NS6detail35device_block_merge_mergepath_kernelINS1_37wrapped_merge_sort_block_merge_configINS0_14default_configElN2at4cuda3cub6detail10OpaqueTypeILi8EEEEEPlSC_PSA_SD_jNS1_19radix_merge_compareILb0ELb1ElNS0_19identity_decomposerEEEEEvT0_T1_T2_T3_T4_SL_jT5_PKSL_NS1_7vsmem_tE.uses_vcc, 1
	.set _ZN7rocprim17ROCPRIM_304000_NS6detail35device_block_merge_mergepath_kernelINS1_37wrapped_merge_sort_block_merge_configINS0_14default_configElN2at4cuda3cub6detail10OpaqueTypeILi8EEEEEPlSC_PSA_SD_jNS1_19radix_merge_compareILb0ELb1ElNS0_19identity_decomposerEEEEEvT0_T1_T2_T3_T4_SL_jT5_PKSL_NS1_7vsmem_tE.uses_flat_scratch, 0
	.set _ZN7rocprim17ROCPRIM_304000_NS6detail35device_block_merge_mergepath_kernelINS1_37wrapped_merge_sort_block_merge_configINS0_14default_configElN2at4cuda3cub6detail10OpaqueTypeILi8EEEEEPlSC_PSA_SD_jNS1_19radix_merge_compareILb0ELb1ElNS0_19identity_decomposerEEEEEvT0_T1_T2_T3_T4_SL_jT5_PKSL_NS1_7vsmem_tE.has_dyn_sized_stack, 0
	.set _ZN7rocprim17ROCPRIM_304000_NS6detail35device_block_merge_mergepath_kernelINS1_37wrapped_merge_sort_block_merge_configINS0_14default_configElN2at4cuda3cub6detail10OpaqueTypeILi8EEEEEPlSC_PSA_SD_jNS1_19radix_merge_compareILb0ELb1ElNS0_19identity_decomposerEEEEEvT0_T1_T2_T3_T4_SL_jT5_PKSL_NS1_7vsmem_tE.has_recursion, 0
	.set _ZN7rocprim17ROCPRIM_304000_NS6detail35device_block_merge_mergepath_kernelINS1_37wrapped_merge_sort_block_merge_configINS0_14default_configElN2at4cuda3cub6detail10OpaqueTypeILi8EEEEEPlSC_PSA_SD_jNS1_19radix_merge_compareILb0ELb1ElNS0_19identity_decomposerEEEEEvT0_T1_T2_T3_T4_SL_jT5_PKSL_NS1_7vsmem_tE.has_indirect_call, 0
	.section	.AMDGPU.csdata,"",@progbits
; Kernel info:
; codeLenInByte = 5716
; TotalNumSgprs: 44
; NumVgprs: 49
; NumAgprs: 0
; TotalNumVgprs: 49
; ScratchSize: 0
; MemoryBound: 1
; FloatMode: 240
; IeeeMode: 1
; LDSByteSize: 8448 bytes/workgroup (compile time only)
; SGPRBlocks: 5
; VGPRBlocks: 6
; NumSGPRsForWavesPerEU: 44
; NumVGPRsForWavesPerEU: 49
; AccumOffset: 52
; Occupancy: 8
; WaveLimiterHint : 1
; COMPUTE_PGM_RSRC2:SCRATCH_EN: 0
; COMPUTE_PGM_RSRC2:USER_SGPR: 2
; COMPUTE_PGM_RSRC2:TRAP_HANDLER: 0
; COMPUTE_PGM_RSRC2:TGID_X_EN: 1
; COMPUTE_PGM_RSRC2:TGID_Y_EN: 1
; COMPUTE_PGM_RSRC2:TGID_Z_EN: 1
; COMPUTE_PGM_RSRC2:TIDIG_COMP_CNT: 0
; COMPUTE_PGM_RSRC3_GFX90A:ACCUM_OFFSET: 12
; COMPUTE_PGM_RSRC3_GFX90A:TG_SPLIT: 0
	.section	.text._ZN7rocprim17ROCPRIM_304000_NS6detail33device_block_merge_oddeven_kernelINS1_37wrapped_merge_sort_block_merge_configINS0_14default_configElN2at4cuda3cub6detail10OpaqueTypeILi8EEEEEPlSC_PSA_SD_jNS1_19radix_merge_compareILb0ELb1ElNS0_19identity_decomposerEEEEEvT0_T1_T2_T3_T4_SL_T5_,"axG",@progbits,_ZN7rocprim17ROCPRIM_304000_NS6detail33device_block_merge_oddeven_kernelINS1_37wrapped_merge_sort_block_merge_configINS0_14default_configElN2at4cuda3cub6detail10OpaqueTypeILi8EEEEEPlSC_PSA_SD_jNS1_19radix_merge_compareILb0ELb1ElNS0_19identity_decomposerEEEEEvT0_T1_T2_T3_T4_SL_T5_,comdat
	.protected	_ZN7rocprim17ROCPRIM_304000_NS6detail33device_block_merge_oddeven_kernelINS1_37wrapped_merge_sort_block_merge_configINS0_14default_configElN2at4cuda3cub6detail10OpaqueTypeILi8EEEEEPlSC_PSA_SD_jNS1_19radix_merge_compareILb0ELb1ElNS0_19identity_decomposerEEEEEvT0_T1_T2_T3_T4_SL_T5_ ; -- Begin function _ZN7rocprim17ROCPRIM_304000_NS6detail33device_block_merge_oddeven_kernelINS1_37wrapped_merge_sort_block_merge_configINS0_14default_configElN2at4cuda3cub6detail10OpaqueTypeILi8EEEEEPlSC_PSA_SD_jNS1_19radix_merge_compareILb0ELb1ElNS0_19identity_decomposerEEEEEvT0_T1_T2_T3_T4_SL_T5_
	.globl	_ZN7rocprim17ROCPRIM_304000_NS6detail33device_block_merge_oddeven_kernelINS1_37wrapped_merge_sort_block_merge_configINS0_14default_configElN2at4cuda3cub6detail10OpaqueTypeILi8EEEEEPlSC_PSA_SD_jNS1_19radix_merge_compareILb0ELb1ElNS0_19identity_decomposerEEEEEvT0_T1_T2_T3_T4_SL_T5_
	.p2align	8
	.type	_ZN7rocprim17ROCPRIM_304000_NS6detail33device_block_merge_oddeven_kernelINS1_37wrapped_merge_sort_block_merge_configINS0_14default_configElN2at4cuda3cub6detail10OpaqueTypeILi8EEEEEPlSC_PSA_SD_jNS1_19radix_merge_compareILb0ELb1ElNS0_19identity_decomposerEEEEEvT0_T1_T2_T3_T4_SL_T5_,@function
_ZN7rocprim17ROCPRIM_304000_NS6detail33device_block_merge_oddeven_kernelINS1_37wrapped_merge_sort_block_merge_configINS0_14default_configElN2at4cuda3cub6detail10OpaqueTypeILi8EEEEEPlSC_PSA_SD_jNS1_19radix_merge_compareILb0ELb1ElNS0_19identity_decomposerEEEEEvT0_T1_T2_T3_T4_SL_T5_: ; @_ZN7rocprim17ROCPRIM_304000_NS6detail33device_block_merge_oddeven_kernelINS1_37wrapped_merge_sort_block_merge_configINS0_14default_configElN2at4cuda3cub6detail10OpaqueTypeILi8EEEEEPlSC_PSA_SD_jNS1_19radix_merge_compareILb0ELb1ElNS0_19identity_decomposerEEEEEvT0_T1_T2_T3_T4_SL_T5_
; %bb.0:
	s_load_dwordx2 s[18:19], s[0:1], 0x20
	s_waitcnt lgkmcnt(0)
	s_lshr_b32 s3, s18, 8
	s_cmp_eq_u32 s2, s3
	s_cselect_b64 s[16:17], -1, 0
	s_cmp_lg_u32 s2, s3
	s_cselect_b64 s[4:5], -1, 0
	s_lshl_b32 s20, s2, 8
	s_sub_i32 s3, s18, s20
	v_cmp_gt_u32_e64 s[6:7], s3, v0
	s_or_b64 s[4:5], s[4:5], s[6:7]
	s_and_saveexec_b64 s[8:9], s[4:5]
	s_cbranch_execz .LBB118_24
; %bb.1:
	s_load_dwordx8 s[8:15], s[0:1], 0x0
	s_mov_b32 s21, 0
	s_lshl_b64 s[4:5], s[20:21], 3
	v_lshlrev_b32_e32 v1, 3, v0
	v_add_u32_e32 v0, s20, v0
	s_waitcnt lgkmcnt(0)
	s_add_u32 s22, s8, s4
	s_addc_u32 s23, s9, s5
	s_add_u32 s4, s12, s4
	s_addc_u32 s5, s13, s5
	global_load_dwordx2 v[2:3], v1, s[4:5]
	global_load_dwordx2 v[4:5], v1, s[22:23]
	s_lshr_b32 s3, s19, 8
	s_sub_i32 s4, 0, s3
	s_and_b32 s2, s2, s4
	s_and_b32 s3, s2, s3
	s_lshl_b32 s21, s2, 8
	s_sub_i32 s12, 0, s19
	s_cmp_eq_u32 s3, 0
	s_cselect_b64 s[4:5], -1, 0
	s_and_b64 s[2:3], s[4:5], exec
	s_cselect_b32 s12, s19, s12
	s_add_i32 s12, s12, s21
	s_mov_b64 s[2:3], -1
	s_cmp_gt_u32 s18, s12
	s_cbranch_scc1 .LBB118_9
; %bb.2:
	s_and_b64 vcc, exec, s[16:17]
	s_cbranch_vccz .LBB118_6
; %bb.3:
	v_cmp_gt_u32_e32 vcc, s18, v0
	s_and_saveexec_b64 s[2:3], vcc
	s_cbranch_execz .LBB118_5
; %bb.4:
	v_mov_b32_e32 v1, 0
	v_lshlrev_b64 v[6:7], 3, v[0:1]
	v_lshl_add_u64 v[8:9], s[14:15], 0, v[6:7]
	v_lshl_add_u64 v[6:7], s[10:11], 0, v[6:7]
	s_waitcnt vmcnt(0)
	global_store_dwordx2 v[6:7], v[4:5], off
	global_store_dwordx2 v[8:9], v[2:3], off
.LBB118_5:
	s_or_b64 exec, exec, s[2:3]
	s_mov_b64 s[2:3], 0
.LBB118_6:
	s_andn2_b64 vcc, exec, s[2:3]
	s_cbranch_vccnz .LBB118_8
; %bb.7:
	v_mov_b32_e32 v1, 0
	v_lshlrev_b64 v[6:7], 3, v[0:1]
	v_lshl_add_u64 v[8:9], s[10:11], 0, v[6:7]
	v_lshl_add_u64 v[6:7], s[14:15], 0, v[6:7]
	s_waitcnt vmcnt(0)
	global_store_dwordx2 v[8:9], v[4:5], off
	global_store_dwordx2 v[6:7], v[2:3], off
.LBB118_8:
	s_mov_b64 s[2:3], 0
.LBB118_9:
	s_andn2_b64 vcc, exec, s[2:3]
	s_cbranch_vccnz .LBB118_24
; %bb.10:
	s_load_dwordx2 s[0:1], s[0:1], 0x28
	s_min_u32 s13, s12, s18
	s_add_i32 s2, s13, s19
	s_min_u32 s18, s2, s18
	s_min_u32 s2, s21, s13
	s_add_i32 s21, s21, s13
	v_subrev_u32_e32 v0, s21, v0
	v_add_u32_e32 v8, s2, v0
	s_waitcnt vmcnt(0) lgkmcnt(0)
	v_and_b32_e32 v1, s1, v5
	v_and_b32_e32 v0, s0, v4
	s_mov_b64 s[2:3], -1
	s_and_b64 vcc, exec, s[16:17]
	s_cbranch_vccz .LBB118_18
; %bb.11:
	s_and_saveexec_b64 s[2:3], s[6:7]
	s_cbranch_execz .LBB118_17
; %bb.12:
	s_cmp_ge_u32 s12, s18
	v_mov_b32_e32 v9, s13
	s_cbranch_scc1 .LBB118_16
; %bb.13:
	s_mov_b64 s[6:7], 0
	v_mov_b32_e32 v10, s18
	v_mov_b32_e32 v9, s13
	;; [unrolled: 1-line block ×3, first 2 shown]
.LBB118_14:                             ; =>This Inner Loop Header: Depth=1
	v_add_u32_e32 v6, v9, v10
	v_lshrrev_b32_e32 v6, 1, v6
	v_lshl_add_u64 v[12:13], v[6:7], 3, s[8:9]
	global_load_dwordx2 v[12:13], v[12:13], off
	v_add_u32_e32 v11, 1, v6
	s_waitcnt vmcnt(0)
	v_and_b32_e32 v13, s1, v13
	v_and_b32_e32 v12, s0, v12
	v_cmp_gt_i64_e32 vcc, v[0:1], v[12:13]
	s_nop 1
	v_cndmask_b32_e64 v14, 0, 1, vcc
	v_cmp_le_i64_e32 vcc, v[12:13], v[0:1]
	s_nop 1
	v_cndmask_b32_e64 v12, 0, 1, vcc
	v_cndmask_b32_e64 v12, v12, v14, s[4:5]
	v_and_b32_e32 v12, 1, v12
	v_cmp_eq_u32_e32 vcc, 1, v12
	s_nop 1
	v_cndmask_b32_e32 v10, v6, v10, vcc
	v_cndmask_b32_e32 v9, v9, v11, vcc
	v_cmp_ge_u32_e32 vcc, v9, v10
	s_or_b64 s[6:7], vcc, s[6:7]
	s_andn2_b64 exec, exec, s[6:7]
	s_cbranch_execnz .LBB118_14
; %bb.15:
	s_or_b64 exec, exec, s[6:7]
.LBB118_16:
	v_add_u32_e32 v6, v9, v8
	v_mov_b32_e32 v7, 0
	v_lshlrev_b64 v[6:7], 3, v[6:7]
	v_lshl_add_u64 v[10:11], s[10:11], 0, v[6:7]
	v_lshl_add_u64 v[6:7], s[14:15], 0, v[6:7]
	global_store_dwordx2 v[10:11], v[4:5], off
	global_store_dwordx2 v[6:7], v[2:3], off
.LBB118_17:
	s_or_b64 exec, exec, s[2:3]
	s_mov_b64 s[2:3], 0
.LBB118_18:
	s_andn2_b64 vcc, exec, s[2:3]
	s_cbranch_vccnz .LBB118_24
; %bb.19:
	s_cmp_ge_u32 s12, s18
	v_mov_b32_e32 v9, s13
	s_cbranch_scc1 .LBB118_23
; %bb.20:
	s_mov_b64 s[2:3], 0
	v_mov_b32_e32 v10, s18
	v_mov_b32_e32 v9, s13
	;; [unrolled: 1-line block ×3, first 2 shown]
.LBB118_21:                             ; =>This Inner Loop Header: Depth=1
	v_add_u32_e32 v6, v9, v10
	v_lshrrev_b32_e32 v6, 1, v6
	v_lshl_add_u64 v[12:13], v[6:7], 3, s[8:9]
	global_load_dwordx2 v[12:13], v[12:13], off
	v_add_u32_e32 v11, 1, v6
	s_waitcnt vmcnt(0)
	v_and_b32_e32 v13, s1, v13
	v_and_b32_e32 v12, s0, v12
	v_cmp_gt_i64_e32 vcc, v[0:1], v[12:13]
	s_nop 1
	v_cndmask_b32_e64 v14, 0, 1, vcc
	v_cmp_le_i64_e32 vcc, v[12:13], v[0:1]
	s_nop 1
	v_cndmask_b32_e64 v12, 0, 1, vcc
	v_cndmask_b32_e64 v12, v12, v14, s[4:5]
	v_and_b32_e32 v12, 1, v12
	v_cmp_eq_u32_e32 vcc, 1, v12
	s_nop 1
	v_cndmask_b32_e32 v10, v6, v10, vcc
	v_cndmask_b32_e32 v9, v9, v11, vcc
	v_cmp_ge_u32_e32 vcc, v9, v10
	s_or_b64 s[2:3], vcc, s[2:3]
	s_andn2_b64 exec, exec, s[2:3]
	s_cbranch_execnz .LBB118_21
; %bb.22:
	s_or_b64 exec, exec, s[2:3]
.LBB118_23:
	v_add_u32_e32 v0, v9, v8
	v_mov_b32_e32 v1, 0
	v_lshlrev_b64 v[0:1], 3, v[0:1]
	v_lshl_add_u64 v[6:7], s[10:11], 0, v[0:1]
	v_lshl_add_u64 v[0:1], s[14:15], 0, v[0:1]
	global_store_dwordx2 v[6:7], v[4:5], off
	global_store_dwordx2 v[0:1], v[2:3], off
.LBB118_24:
	s_endpgm
	.section	.rodata,"a",@progbits
	.p2align	6, 0x0
	.amdhsa_kernel _ZN7rocprim17ROCPRIM_304000_NS6detail33device_block_merge_oddeven_kernelINS1_37wrapped_merge_sort_block_merge_configINS0_14default_configElN2at4cuda3cub6detail10OpaqueTypeILi8EEEEEPlSC_PSA_SD_jNS1_19radix_merge_compareILb0ELb1ElNS0_19identity_decomposerEEEEEvT0_T1_T2_T3_T4_SL_T5_
		.amdhsa_group_segment_fixed_size 0
		.amdhsa_private_segment_fixed_size 0
		.amdhsa_kernarg_size 48
		.amdhsa_user_sgpr_count 2
		.amdhsa_user_sgpr_dispatch_ptr 0
		.amdhsa_user_sgpr_queue_ptr 0
		.amdhsa_user_sgpr_kernarg_segment_ptr 1
		.amdhsa_user_sgpr_dispatch_id 0
		.amdhsa_user_sgpr_kernarg_preload_length 0
		.amdhsa_user_sgpr_kernarg_preload_offset 0
		.amdhsa_user_sgpr_private_segment_size 0
		.amdhsa_uses_dynamic_stack 0
		.amdhsa_enable_private_segment 0
		.amdhsa_system_sgpr_workgroup_id_x 1
		.amdhsa_system_sgpr_workgroup_id_y 0
		.amdhsa_system_sgpr_workgroup_id_z 0
		.amdhsa_system_sgpr_workgroup_info 0
		.amdhsa_system_vgpr_workitem_id 0
		.amdhsa_next_free_vgpr 15
		.amdhsa_next_free_sgpr 24
		.amdhsa_accum_offset 16
		.amdhsa_reserve_vcc 1
		.amdhsa_float_round_mode_32 0
		.amdhsa_float_round_mode_16_64 0
		.amdhsa_float_denorm_mode_32 3
		.amdhsa_float_denorm_mode_16_64 3
		.amdhsa_dx10_clamp 1
		.amdhsa_ieee_mode 1
		.amdhsa_fp16_overflow 0
		.amdhsa_tg_split 0
		.amdhsa_exception_fp_ieee_invalid_op 0
		.amdhsa_exception_fp_denorm_src 0
		.amdhsa_exception_fp_ieee_div_zero 0
		.amdhsa_exception_fp_ieee_overflow 0
		.amdhsa_exception_fp_ieee_underflow 0
		.amdhsa_exception_fp_ieee_inexact 0
		.amdhsa_exception_int_div_zero 0
	.end_amdhsa_kernel
	.section	.text._ZN7rocprim17ROCPRIM_304000_NS6detail33device_block_merge_oddeven_kernelINS1_37wrapped_merge_sort_block_merge_configINS0_14default_configElN2at4cuda3cub6detail10OpaqueTypeILi8EEEEEPlSC_PSA_SD_jNS1_19radix_merge_compareILb0ELb1ElNS0_19identity_decomposerEEEEEvT0_T1_T2_T3_T4_SL_T5_,"axG",@progbits,_ZN7rocprim17ROCPRIM_304000_NS6detail33device_block_merge_oddeven_kernelINS1_37wrapped_merge_sort_block_merge_configINS0_14default_configElN2at4cuda3cub6detail10OpaqueTypeILi8EEEEEPlSC_PSA_SD_jNS1_19radix_merge_compareILb0ELb1ElNS0_19identity_decomposerEEEEEvT0_T1_T2_T3_T4_SL_T5_,comdat
.Lfunc_end118:
	.size	_ZN7rocprim17ROCPRIM_304000_NS6detail33device_block_merge_oddeven_kernelINS1_37wrapped_merge_sort_block_merge_configINS0_14default_configElN2at4cuda3cub6detail10OpaqueTypeILi8EEEEEPlSC_PSA_SD_jNS1_19radix_merge_compareILb0ELb1ElNS0_19identity_decomposerEEEEEvT0_T1_T2_T3_T4_SL_T5_, .Lfunc_end118-_ZN7rocprim17ROCPRIM_304000_NS6detail33device_block_merge_oddeven_kernelINS1_37wrapped_merge_sort_block_merge_configINS0_14default_configElN2at4cuda3cub6detail10OpaqueTypeILi8EEEEEPlSC_PSA_SD_jNS1_19radix_merge_compareILb0ELb1ElNS0_19identity_decomposerEEEEEvT0_T1_T2_T3_T4_SL_T5_
                                        ; -- End function
	.set _ZN7rocprim17ROCPRIM_304000_NS6detail33device_block_merge_oddeven_kernelINS1_37wrapped_merge_sort_block_merge_configINS0_14default_configElN2at4cuda3cub6detail10OpaqueTypeILi8EEEEEPlSC_PSA_SD_jNS1_19radix_merge_compareILb0ELb1ElNS0_19identity_decomposerEEEEEvT0_T1_T2_T3_T4_SL_T5_.num_vgpr, 15
	.set _ZN7rocprim17ROCPRIM_304000_NS6detail33device_block_merge_oddeven_kernelINS1_37wrapped_merge_sort_block_merge_configINS0_14default_configElN2at4cuda3cub6detail10OpaqueTypeILi8EEEEEPlSC_PSA_SD_jNS1_19radix_merge_compareILb0ELb1ElNS0_19identity_decomposerEEEEEvT0_T1_T2_T3_T4_SL_T5_.num_agpr, 0
	.set _ZN7rocprim17ROCPRIM_304000_NS6detail33device_block_merge_oddeven_kernelINS1_37wrapped_merge_sort_block_merge_configINS0_14default_configElN2at4cuda3cub6detail10OpaqueTypeILi8EEEEEPlSC_PSA_SD_jNS1_19radix_merge_compareILb0ELb1ElNS0_19identity_decomposerEEEEEvT0_T1_T2_T3_T4_SL_T5_.numbered_sgpr, 24
	.set _ZN7rocprim17ROCPRIM_304000_NS6detail33device_block_merge_oddeven_kernelINS1_37wrapped_merge_sort_block_merge_configINS0_14default_configElN2at4cuda3cub6detail10OpaqueTypeILi8EEEEEPlSC_PSA_SD_jNS1_19radix_merge_compareILb0ELb1ElNS0_19identity_decomposerEEEEEvT0_T1_T2_T3_T4_SL_T5_.num_named_barrier, 0
	.set _ZN7rocprim17ROCPRIM_304000_NS6detail33device_block_merge_oddeven_kernelINS1_37wrapped_merge_sort_block_merge_configINS0_14default_configElN2at4cuda3cub6detail10OpaqueTypeILi8EEEEEPlSC_PSA_SD_jNS1_19radix_merge_compareILb0ELb1ElNS0_19identity_decomposerEEEEEvT0_T1_T2_T3_T4_SL_T5_.private_seg_size, 0
	.set _ZN7rocprim17ROCPRIM_304000_NS6detail33device_block_merge_oddeven_kernelINS1_37wrapped_merge_sort_block_merge_configINS0_14default_configElN2at4cuda3cub6detail10OpaqueTypeILi8EEEEEPlSC_PSA_SD_jNS1_19radix_merge_compareILb0ELb1ElNS0_19identity_decomposerEEEEEvT0_T1_T2_T3_T4_SL_T5_.uses_vcc, 1
	.set _ZN7rocprim17ROCPRIM_304000_NS6detail33device_block_merge_oddeven_kernelINS1_37wrapped_merge_sort_block_merge_configINS0_14default_configElN2at4cuda3cub6detail10OpaqueTypeILi8EEEEEPlSC_PSA_SD_jNS1_19radix_merge_compareILb0ELb1ElNS0_19identity_decomposerEEEEEvT0_T1_T2_T3_T4_SL_T5_.uses_flat_scratch, 0
	.set _ZN7rocprim17ROCPRIM_304000_NS6detail33device_block_merge_oddeven_kernelINS1_37wrapped_merge_sort_block_merge_configINS0_14default_configElN2at4cuda3cub6detail10OpaqueTypeILi8EEEEEPlSC_PSA_SD_jNS1_19radix_merge_compareILb0ELb1ElNS0_19identity_decomposerEEEEEvT0_T1_T2_T3_T4_SL_T5_.has_dyn_sized_stack, 0
	.set _ZN7rocprim17ROCPRIM_304000_NS6detail33device_block_merge_oddeven_kernelINS1_37wrapped_merge_sort_block_merge_configINS0_14default_configElN2at4cuda3cub6detail10OpaqueTypeILi8EEEEEPlSC_PSA_SD_jNS1_19radix_merge_compareILb0ELb1ElNS0_19identity_decomposerEEEEEvT0_T1_T2_T3_T4_SL_T5_.has_recursion, 0
	.set _ZN7rocprim17ROCPRIM_304000_NS6detail33device_block_merge_oddeven_kernelINS1_37wrapped_merge_sort_block_merge_configINS0_14default_configElN2at4cuda3cub6detail10OpaqueTypeILi8EEEEEPlSC_PSA_SD_jNS1_19radix_merge_compareILb0ELb1ElNS0_19identity_decomposerEEEEEvT0_T1_T2_T3_T4_SL_T5_.has_indirect_call, 0
	.section	.AMDGPU.csdata,"",@progbits
; Kernel info:
; codeLenInByte = 800
; TotalNumSgprs: 30
; NumVgprs: 15
; NumAgprs: 0
; TotalNumVgprs: 15
; ScratchSize: 0
; MemoryBound: 0
; FloatMode: 240
; IeeeMode: 1
; LDSByteSize: 0 bytes/workgroup (compile time only)
; SGPRBlocks: 3
; VGPRBlocks: 1
; NumSGPRsForWavesPerEU: 30
; NumVGPRsForWavesPerEU: 15
; AccumOffset: 16
; Occupancy: 8
; WaveLimiterHint : 0
; COMPUTE_PGM_RSRC2:SCRATCH_EN: 0
; COMPUTE_PGM_RSRC2:USER_SGPR: 2
; COMPUTE_PGM_RSRC2:TRAP_HANDLER: 0
; COMPUTE_PGM_RSRC2:TGID_X_EN: 1
; COMPUTE_PGM_RSRC2:TGID_Y_EN: 0
; COMPUTE_PGM_RSRC2:TGID_Z_EN: 0
; COMPUTE_PGM_RSRC2:TIDIG_COMP_CNT: 0
; COMPUTE_PGM_RSRC3_GFX90A:ACCUM_OFFSET: 3
; COMPUTE_PGM_RSRC3_GFX90A:TG_SPLIT: 0
	.section	.text._ZN7rocprim17ROCPRIM_304000_NS6detail26onesweep_histograms_kernelINS1_34wrapped_radix_sort_onesweep_configINS0_14default_configElN2at4cuda3cub6detail10OpaqueTypeILi8EEEEELb0EPKlmNS0_19identity_decomposerEEEvT1_PT2_SG_SG_T3_jj,"axG",@progbits,_ZN7rocprim17ROCPRIM_304000_NS6detail26onesweep_histograms_kernelINS1_34wrapped_radix_sort_onesweep_configINS0_14default_configElN2at4cuda3cub6detail10OpaqueTypeILi8EEEEELb0EPKlmNS0_19identity_decomposerEEEvT1_PT2_SG_SG_T3_jj,comdat
	.protected	_ZN7rocprim17ROCPRIM_304000_NS6detail26onesweep_histograms_kernelINS1_34wrapped_radix_sort_onesweep_configINS0_14default_configElN2at4cuda3cub6detail10OpaqueTypeILi8EEEEELb0EPKlmNS0_19identity_decomposerEEEvT1_PT2_SG_SG_T3_jj ; -- Begin function _ZN7rocprim17ROCPRIM_304000_NS6detail26onesweep_histograms_kernelINS1_34wrapped_radix_sort_onesweep_configINS0_14default_configElN2at4cuda3cub6detail10OpaqueTypeILi8EEEEELb0EPKlmNS0_19identity_decomposerEEEvT1_PT2_SG_SG_T3_jj
	.globl	_ZN7rocprim17ROCPRIM_304000_NS6detail26onesweep_histograms_kernelINS1_34wrapped_radix_sort_onesweep_configINS0_14default_configElN2at4cuda3cub6detail10OpaqueTypeILi8EEEEELb0EPKlmNS0_19identity_decomposerEEEvT1_PT2_SG_SG_T3_jj
	.p2align	8
	.type	_ZN7rocprim17ROCPRIM_304000_NS6detail26onesweep_histograms_kernelINS1_34wrapped_radix_sort_onesweep_configINS0_14default_configElN2at4cuda3cub6detail10OpaqueTypeILi8EEEEELb0EPKlmNS0_19identity_decomposerEEEvT1_PT2_SG_SG_T3_jj,@function
_ZN7rocprim17ROCPRIM_304000_NS6detail26onesweep_histograms_kernelINS1_34wrapped_radix_sort_onesweep_configINS0_14default_configElN2at4cuda3cub6detail10OpaqueTypeILi8EEEEELb0EPKlmNS0_19identity_decomposerEEEvT1_PT2_SG_SG_T3_jj: ; @_ZN7rocprim17ROCPRIM_304000_NS6detail26onesweep_histograms_kernelINS1_34wrapped_radix_sort_onesweep_configINS0_14default_configElN2at4cuda3cub6detail10OpaqueTypeILi8EEEEELb0EPKlmNS0_19identity_decomposerEEEvT1_PT2_SG_SG_T3_jj
; %bb.0:
	s_load_dwordx8 s[12:19], s[0:1], 0x0
	s_load_dwordx2 s[20:21], s[0:1], 0x24
	v_mov_b32_e32 v2, s2
	v_mov_b32_e32 v3, 0
	s_mul_hi_u32 s0, s2, 0xc000
	s_mul_i32 s2, s2, 0xc000
	s_waitcnt lgkmcnt(0)
	v_cmp_le_u64_e32 vcc, s[18:19], v[2:3]
	s_add_u32 s22, s12, s2
	s_addc_u32 s23, s13, s0
	s_mov_b64 s[0:1], -1
	v_lshlrev_b32_e32 v2, 3, v0
	s_cbranch_vccz .LBB119_50
; %bb.1:
	s_mul_i32 s12, s18, 0xffffe800
	s_add_i32 s12, s12, s16
	v_lshl_add_u64 v[16:17], s[22:23], 0, v[2:3]
	v_cmp_gt_u32_e64 s[10:11], s12, v0
                                        ; implicit-def: $vgpr14_vgpr15
	s_and_saveexec_b64 s[0:1], s[10:11]
	s_cbranch_execz .LBB119_3
; %bb.2:
	global_load_dwordx2 v[14:15], v[16:17], off
	s_waitcnt vmcnt(0)
	v_xor_b32_e32 v15, 0x80000000, v15
.LBB119_3:
	s_or_b64 exec, exec, s[0:1]
	v_or_b32_e32 v1, 0x400, v0
	v_cmp_gt_u32_e64 s[8:9], s12, v1
                                        ; implicit-def: $vgpr12_vgpr13
	s_and_saveexec_b64 s[0:1], s[8:9]
	s_cbranch_execz .LBB119_5
; %bb.4:
	v_add_co_u32_e32 v4, vcc, 0x2000, v16
	s_nop 1
	v_addc_co_u32_e32 v5, vcc, 0, v17, vcc
	global_load_dwordx2 v[12:13], v[4:5], off
	s_waitcnt vmcnt(0)
	v_xor_b32_e32 v13, 0x80000000, v13
.LBB119_5:
	s_or_b64 exec, exec, s[0:1]
	v_or_b32_e32 v1, 0x800, v0
	v_cmp_gt_u32_e64 s[6:7], s12, v1
                                        ; implicit-def: $vgpr10_vgpr11
	s_and_saveexec_b64 s[0:1], s[6:7]
	s_cbranch_execz .LBB119_7
; %bb.6:
	v_add_co_u32_e32 v4, vcc, 0x4000, v16
	s_nop 1
	v_addc_co_u32_e32 v5, vcc, 0, v17, vcc
	global_load_dwordx2 v[10:11], v[4:5], off
	s_waitcnt vmcnt(0)
	v_xor_b32_e32 v11, 0x80000000, v11
.LBB119_7:
	s_or_b64 exec, exec, s[0:1]
	v_or_b32_e32 v1, 0xc00, v0
	v_cmp_gt_u32_e64 s[4:5], s12, v1
                                        ; implicit-def: $vgpr8_vgpr9
	s_and_saveexec_b64 s[0:1], s[4:5]
	s_cbranch_execz .LBB119_9
; %bb.8:
	v_add_co_u32_e32 v4, vcc, 0x6000, v16
	s_nop 1
	v_addc_co_u32_e32 v5, vcc, 0, v17, vcc
	global_load_dwordx2 v[8:9], v[4:5], off
	s_waitcnt vmcnt(0)
	v_xor_b32_e32 v9, 0x80000000, v9
.LBB119_9:
	s_or_b64 exec, exec, s[0:1]
	v_or_b32_e32 v1, 0x1000, v0
	v_cmp_gt_u32_e64 s[2:3], s12, v1
                                        ; implicit-def: $vgpr6_vgpr7
	s_and_saveexec_b64 s[0:1], s[2:3]
	s_cbranch_execz .LBB119_11
; %bb.10:
	v_add_co_u32_e32 v4, vcc, 0x8000, v16
	s_nop 1
	v_addc_co_u32_e32 v5, vcc, 0, v17, vcc
	global_load_dwordx2 v[6:7], v[4:5], off
	s_waitcnt vmcnt(0)
	v_xor_b32_e32 v7, 0x80000000, v7
.LBB119_11:
	s_or_b64 exec, exec, s[0:1]
	v_or_b32_e32 v1, 0x1400, v0
	v_cmp_gt_u32_e64 s[0:1], s12, v1
                                        ; implicit-def: $vgpr4_vgpr5
	s_and_saveexec_b64 s[12:13], s[0:1]
	s_cbranch_execz .LBB119_13
; %bb.12:
	v_add_co_u32_e32 v4, vcc, 0xa000, v16
	s_nop 1
	v_addc_co_u32_e32 v5, vcc, 0, v17, vcc
	global_load_dwordx2 v[4:5], v[4:5], off
	s_waitcnt vmcnt(0)
	v_xor_b32_e32 v5, 0x80000000, v5
.LBB119_13:
	s_or_b64 exec, exec, s[12:13]
	v_sub_u32_e32 v1, 0xaff, v0
	v_lshrrev_b32_e32 v16, 10, v1
	v_add_u32_e32 v1, 2, v16
	s_mov_b32 s16, 0
	v_and_b32_e32 v3, 6, v1
	v_mov_b32_e32 v1, v16
	v_lshlrev_b32_e32 v17, 2, v0
	s_mov_b32 s17, 1
	s_mov_b64 s[18:19], 0
	v_mov_b32_e32 v18, 0
	s_mov_b32 s24, s16
	s_branch .LBB119_15
.LBB119_14:                             ;   in Loop: Header=BB119_15 Depth=1
	s_or_b64 exec, exec, s[12:13]
	s_add_i32 s24, s24, 2
	v_cmp_eq_u32_e32 vcc, s24, v3
	s_or_b64 s[18:19], vcc, s[18:19]
	v_add_u32_e32 v17, 0x2000, v17
	s_andn2_b64 exec, exec, s[18:19]
	s_cbranch_execz .LBB119_19
.LBB119_15:                             ; =>This Inner Loop Header: Depth=1
	s_mov_b32 s25, s24
	s_or_b64 s[12:13], s[24:25], s[16:17]
	v_cmp_le_u32_e32 vcc, s13, v1
	v_cmp_le_u32_e64 s[12:13], s12, v16
	s_and_saveexec_b64 s[26:27], s[12:13]
; %bb.16:                               ;   in Loop: Header=BB119_15 Depth=1
	ds_write_b32 v17, v18
; %bb.17:                               ;   in Loop: Header=BB119_15 Depth=1
	s_or_b64 exec, exec, s[26:27]
	s_and_saveexec_b64 s[12:13], vcc
	s_cbranch_execz .LBB119_14
; %bb.18:                               ;   in Loop: Header=BB119_15 Depth=1
	ds_write_b32 v17, v18 offset:4096
	s_branch .LBB119_14
.LBB119_19:
	s_or_b64 exec, exec, s[18:19]
	s_cmp_gt_u32 s21, s20
	s_cselect_b64 s[12:13], -1, 0
	s_cmp_le_u32 s21, s20
	s_waitcnt lgkmcnt(0)
	s_barrier
	s_cbranch_scc1 .LBB119_44
; %bb.20:
	v_and_b32_e32 v1, 3, v0
	v_lshlrev_b32_e32 v1, 2, v1
	s_sub_i32 s18, s21, s20
	v_mov_b32_e32 v3, 1
	s_mov_b32 s19, s18
	v_mov_b32_e32 v16, v1
	s_mov_b32 s24, s20
	s_branch .LBB119_22
.LBB119_21:                             ;   in Loop: Header=BB119_22 Depth=1
	s_or_b64 exec, exec, s[16:17]
	s_add_i32 s24, s24, 6
	s_add_i32 s19, s19, -6
	s_cmp_lt_u32 s24, s21
	v_add_u32_e32 v16, 0x400, v16
	s_cbranch_scc0 .LBB119_24
.LBB119_22:                             ; =>This Inner Loop Header: Depth=1
	s_and_saveexec_b64 s[16:17], s[10:11]
	s_cbranch_execz .LBB119_21
; %bb.23:                               ;   in Loop: Header=BB119_22 Depth=1
	s_min_u32 s25, s19, 6
	v_lshrrev_b64 v[18:19], s24, v[14:15]
	v_bfe_u32 v17, v18, 0, s25
	v_lshl_add_u32 v17, v17, 4, v16
	ds_add_u32 v17, v3
	s_branch .LBB119_21
.LBB119_24:
	v_mov_b32_e32 v3, 1
	s_mov_b32 s16, s18
	v_mov_b32_e32 v14, v1
	s_mov_b32 s17, s20
	s_branch .LBB119_26
.LBB119_25:                             ;   in Loop: Header=BB119_26 Depth=1
	s_or_b64 exec, exec, s[10:11]
	s_add_i32 s17, s17, 6
	s_add_i32 s16, s16, -6
	s_cmp_lt_u32 s17, s21
	v_add_u32_e32 v14, 0x400, v14
	s_cbranch_scc0 .LBB119_28
.LBB119_26:                             ; =>This Inner Loop Header: Depth=1
	s_and_saveexec_b64 s[10:11], s[8:9]
	s_cbranch_execz .LBB119_25
; %bb.27:                               ;   in Loop: Header=BB119_26 Depth=1
	s_min_u32 s19, s16, 6
	v_lshrrev_b64 v[16:17], s17, v[12:13]
	v_bfe_u32 v15, v16, 0, s19
	v_lshl_add_u32 v15, v15, 4, v14
	ds_add_u32 v15, v3
	s_branch .LBB119_25
.LBB119_28:
	;; [unrolled: 23-line block ×5, first 2 shown]
	v_mov_b32_e32 v3, 1
	s_mov_b32 s4, s20
	s_branch .LBB119_42
.LBB119_41:                             ;   in Loop: Header=BB119_42 Depth=1
	s_or_b64 exec, exec, s[2:3]
	s_add_i32 s4, s4, 6
	s_add_i32 s18, s18, -6
	s_cmp_lt_u32 s4, s21
	v_add_u32_e32 v1, 0x400, v1
	s_cbranch_scc0 .LBB119_44
.LBB119_42:                             ; =>This Inner Loop Header: Depth=1
	s_and_saveexec_b64 s[2:3], s[0:1]
	s_cbranch_execz .LBB119_41
; %bb.43:                               ;   in Loop: Header=BB119_42 Depth=1
	s_min_u32 s5, s18, 6
	v_lshrrev_b64 v[6:7], s4, v[4:5]
	v_bfe_u32 v6, v6, 0, s5
	v_lshl_add_u32 v6, v6, 4, v1
	ds_add_u32 v6, v3
	s_branch .LBB119_41
.LBB119_44:
	s_and_b64 vcc, exec, s[12:13]
	s_waitcnt lgkmcnt(0)
	s_barrier
	s_cbranch_vccz .LBB119_49
; %bb.45:
	v_cmp_gt_u32_e32 vcc, 64, v0
	v_lshlrev_b32_e32 v1, 4, v0
	v_mov_b32_e32 v5, 0
	v_mov_b32_e32 v4, v0
	s_mov_b32 s2, s20
	s_branch .LBB119_47
.LBB119_46:                             ;   in Loop: Header=BB119_47 Depth=1
	s_or_b64 exec, exec, s[0:1]
	s_add_i32 s2, s2, 6
	v_add_u32_e32 v4, 64, v4
	s_cmp_lt_u32 s2, s21
	v_add_u32_e32 v1, 0x400, v1
	s_cbranch_scc0 .LBB119_49
.LBB119_47:                             ; =>This Inner Loop Header: Depth=1
	s_and_saveexec_b64 s[0:1], vcc
	s_cbranch_execz .LBB119_46
; %bb.48:                               ;   in Loop: Header=BB119_47 Depth=1
	ds_read2_b32 v[6:7], v1 offset1:1
	ds_read2_b32 v[8:9], v1 offset0:2 offset1:3
	v_lshl_add_u64 v[10:11], v[4:5], 3, s[14:15]
	s_waitcnt lgkmcnt(1)
	v_add_u32_e32 v3, v7, v6
	s_waitcnt lgkmcnt(0)
	v_add3_u32 v6, v3, v8, v9
	v_mov_b32_e32 v7, v5
	global_atomic_add_x2 v[10:11], v[6:7], off
	s_branch .LBB119_46
.LBB119_49:
	s_mov_b64 s[0:1], 0
.LBB119_50:
	s_and_b64 vcc, exec, s[0:1]
	s_cbranch_vccz .LBB119_86
; %bb.51:
	v_mov_b32_e32 v3, 0
	v_lshl_add_u64 v[4:5], s[22:23], 0, v[2:3]
	v_add_co_u32_e32 v14, vcc, 0x2000, v4
	s_cmp_eq_u32 s20, 0
	s_nop 0
	v_addc_co_u32_e32 v15, vcc, 0, v5, vcc
	v_add_co_u32_e32 v16, vcc, 0x4000, v4
	s_cselect_b64 s[0:1], -1, 0
	s_nop 0
	v_addc_co_u32_e32 v17, vcc, 0, v5, vcc
	v_add_co_u32_e32 v18, vcc, 0x6000, v4
	s_cmp_eq_u32 s21, 64
	s_nop 0
	v_addc_co_u32_e32 v19, vcc, 0, v5, vcc
	v_add_co_u32_e32 v20, vcc, 0x8000, v4
	v_sub_u32_e32 v1, 0xaff, v0
	s_nop 0
	v_addc_co_u32_e32 v21, vcc, 0, v5, vcc
	global_load_dwordx2 v[12:13], v[14:15], off
	global_load_dwordx2 v[10:11], v[16:17], off
	;; [unrolled: 1-line block ×4, first 2 shown]
	v_add_co_u32_e32 v16, vcc, 0xa000, v4
	s_cselect_b64 s[4:5], -1, 0
	s_nop 0
	v_addc_co_u32_e32 v17, vcc, 0, v5, vcc
	global_load_dwordx2 v[14:15], v2, s[22:23]
	global_load_dwordx2 v[4:5], v[16:17], off
	v_lshrrev_b32_e32 v1, 10, v1
	s_and_b64 s[4:5], s[0:1], s[4:5]
	v_add_u32_e32 v16, 2, v1
	s_mov_b32 s2, 0
	v_and_b32_e32 v18, 6, v16
	s_mov_b64 s[0:1], -1
	s_and_b64 vcc, exec, s[4:5]
	v_lshlrev_b32_e32 v19, 2, v0
	s_cbranch_vccnz .LBB119_77
; %bb.52:
	v_lshlrev_b32_e32 v16, 2, v0
	s_mov_b64 s[4:5], 0
	s_mov_b32 s3, 1
	s_mov_b32 s6, s2
	s_branch .LBB119_54
.LBB119_53:                             ;   in Loop: Header=BB119_54 Depth=1
	s_or_b64 exec, exec, s[0:1]
	s_add_i32 s6, s6, 2
	v_cmp_eq_u32_e32 vcc, s6, v18
	s_or_b64 s[4:5], vcc, s[4:5]
	v_add_u32_e32 v16, 0x2000, v16
	s_andn2_b64 exec, exec, s[4:5]
	s_cbranch_execz .LBB119_58
.LBB119_54:                             ; =>This Inner Loop Header: Depth=1
	s_mov_b32 s7, s6
	s_or_b64 s[0:1], s[6:7], s[2:3]
	v_cmp_le_u32_e32 vcc, s1, v1
	v_cmp_le_u32_e64 s[0:1], s0, v1
	s_and_saveexec_b64 s[8:9], s[0:1]
; %bb.55:                               ;   in Loop: Header=BB119_54 Depth=1
	ds_write_b32 v16, v3
; %bb.56:                               ;   in Loop: Header=BB119_54 Depth=1
	s_or_b64 exec, exec, s[8:9]
	s_and_saveexec_b64 s[0:1], vcc
	s_cbranch_execz .LBB119_53
; %bb.57:                               ;   in Loop: Header=BB119_54 Depth=1
	ds_write_b32 v16, v3 offset:4096
	s_branch .LBB119_53
.LBB119_58:
	s_or_b64 exec, exec, s[4:5]
	s_cmp_gt_u32 s21, s20
	s_cselect_b64 s[0:1], -1, 0
	s_cmp_le_u32 s21, s20
	s_waitcnt lgkmcnt(0)
	s_barrier
	s_cbranch_scc1 .LBB119_71
; %bb.59:
	v_and_b32_e32 v3, 3, v0
	v_lshlrev_b32_e32 v3, 2, v3
	s_sub_i32 s2, s21, s20
	s_waitcnt vmcnt(1)
	v_xor_b32_e32 v17, 0x80000000, v15
	v_mov_b32_e32 v16, v14
	v_mov_b32_e32 v20, 1
	s_mov_b32 s3, s2
	v_mov_b32_e32 v21, v3
	s_mov_b32 s4, s20
.LBB119_60:                             ; =>This Inner Loop Header: Depth=1
	s_min_u32 s5, s3, 6
	v_lshrrev_b64 v[22:23], s4, v[16:17]
	v_bfe_u32 v22, v22, 0, s5
	v_lshl_add_u32 v22, v22, 4, v21
	ds_add_u32 v22, v20
	s_add_i32 s4, s4, 6
	s_add_i32 s3, s3, -6
	s_cmp_lt_u32 s4, s21
	v_add_u32_e32 v21, 0x400, v21
	s_cbranch_scc1 .LBB119_60
; %bb.61:
	v_xor_b32_e32 v17, 0x80000000, v13
	v_mov_b32_e32 v16, v12
	v_mov_b32_e32 v20, 1
	s_mov_b32 s3, s2
	v_mov_b32_e32 v21, v3
	s_mov_b32 s4, s20
.LBB119_62:                             ; =>This Inner Loop Header: Depth=1
	s_min_u32 s5, s3, 6
	v_lshrrev_b64 v[22:23], s4, v[16:17]
	v_bfe_u32 v22, v22, 0, s5
	v_lshl_add_u32 v22, v22, 4, v21
	ds_add_u32 v22, v20
	s_add_i32 s4, s4, 6
	s_add_i32 s3, s3, -6
	s_cmp_lt_u32 s4, s21
	v_add_u32_e32 v21, 0x400, v21
	s_cbranch_scc1 .LBB119_62
; %bb.63:
	;; [unrolled: 18-line block ×5, first 2 shown]
	s_waitcnt vmcnt(0)
	v_xor_b32_e32 v17, 0x80000000, v5
	v_mov_b32_e32 v16, v4
	v_mov_b32_e32 v20, 1
	s_mov_b32 s3, s20
.LBB119_70:                             ; =>This Inner Loop Header: Depth=1
	s_min_u32 s4, s2, 6
	v_lshrrev_b64 v[22:23], s3, v[16:17]
	v_bfe_u32 v21, v22, 0, s4
	v_lshl_add_u32 v21, v21, 4, v3
	ds_add_u32 v21, v20
	s_add_i32 s3, s3, 6
	s_add_i32 s2, s2, -6
	s_cmp_lt_u32 s3, s21
	v_add_u32_e32 v3, 0x400, v3
	s_cbranch_scc1 .LBB119_70
.LBB119_71:
	s_and_b64 vcc, exec, s[0:1]
	s_waitcnt lgkmcnt(0)
	s_barrier
	s_cbranch_vccz .LBB119_76
; %bb.72:
	v_cmp_gt_u32_e32 vcc, 64, v0
	v_lshlrev_b32_e32 v3, 4, v0
	v_mov_b32_e32 v17, 0
	v_mov_b32_e32 v16, v0
	s_branch .LBB119_74
.LBB119_73:                             ;   in Loop: Header=BB119_74 Depth=1
	s_or_b64 exec, exec, s[0:1]
	s_add_i32 s20, s20, 6
	v_add_u32_e32 v16, 64, v16
	s_cmp_ge_u32 s20, s21
	v_add_u32_e32 v3, 0x400, v3
	s_cbranch_scc1 .LBB119_76
.LBB119_74:                             ; =>This Inner Loop Header: Depth=1
	s_and_saveexec_b64 s[0:1], vcc
	s_cbranch_execz .LBB119_73
; %bb.75:                               ;   in Loop: Header=BB119_74 Depth=1
	ds_read2_b32 v[20:21], v3 offset1:1
	ds_read2_b32 v[22:23], v3 offset0:2 offset1:3
	v_lshl_add_u64 v[24:25], v[16:17], 3, s[14:15]
	s_waitcnt lgkmcnt(1)
	v_add_u32_e32 v20, v21, v20
	s_waitcnt lgkmcnt(0)
	v_add3_u32 v20, v20, v22, v23
	v_mov_b32_e32 v21, v17
	global_atomic_add_x2 v[24:25], v[20:21], off
	s_branch .LBB119_73
.LBB119_76:
	s_mov_b64 s[0:1], 0
.LBB119_77:
	s_and_b64 vcc, exec, s[0:1]
	s_cbranch_vccz .LBB119_86
; %bb.78:
	s_mov_b32 s2, 0
	s_mov_b32 s3, 1
	s_mov_b64 s[4:5], 0
	v_mov_b32_e32 v3, 0
	s_mov_b32 s6, s2
	s_branch .LBB119_80
.LBB119_79:                             ;   in Loop: Header=BB119_80 Depth=1
	s_or_b64 exec, exec, s[0:1]
	s_add_i32 s6, s6, 2
	v_cmp_eq_u32_e32 vcc, s6, v18
	s_or_b64 s[4:5], vcc, s[4:5]
	v_add_u32_e32 v19, 0x2000, v19
	s_andn2_b64 exec, exec, s[4:5]
	s_cbranch_execz .LBB119_84
.LBB119_80:                             ; =>This Inner Loop Header: Depth=1
	s_mov_b32 s7, s6
	s_or_b64 s[0:1], s[6:7], s[2:3]
	v_cmp_le_u32_e32 vcc, s1, v1
	v_cmp_le_u32_e64 s[0:1], s0, v1
	s_and_saveexec_b64 s[8:9], s[0:1]
; %bb.81:                               ;   in Loop: Header=BB119_80 Depth=1
	ds_write_b32 v19, v3
; %bb.82:                               ;   in Loop: Header=BB119_80 Depth=1
	s_or_b64 exec, exec, s[8:9]
	s_and_saveexec_b64 s[0:1], vcc
	s_cbranch_execz .LBB119_79
; %bb.83:                               ;   in Loop: Header=BB119_80 Depth=1
	ds_write_b32 v19, v3 offset:4096
	s_branch .LBB119_79
.LBB119_84:
	s_or_b64 exec, exec, s[4:5]
	v_and_b32_e32 v1, 3, v0
	s_waitcnt vmcnt(1)
	v_lshlrev_b32_e32 v3, 4, v14
	v_lshlrev_b32_e32 v1, 2, v1
	s_movk_i32 s0, 0x3f0
	v_and_or_b32 v3, v3, s0, v1
	v_mov_b32_e32 v16, 1
	s_waitcnt lgkmcnt(0)
	s_barrier
	ds_add_u32 v3, v16
	v_lshrrev_b32_e32 v3, 2, v14
	v_and_or_b32 v3, v3, s0, v1
	ds_add_u32 v3, v16 offset:1024
	v_lshrrev_b32_e32 v3, 8, v14
	v_and_or_b32 v3, v3, s0, v1
	ds_add_u32 v3, v16 offset:2048
	;; [unrolled: 3-line block ×4, first 2 shown]
	v_alignbit_b32 v3, v15, v14, 26
	v_and_or_b32 v3, v3, s0, v1
	ds_add_u32 v3, v16 offset:5120
	v_and_or_b32 v3, v15, s0, v1
	ds_add_u32 v3, v16 offset:6144
	v_lshrrev_b32_e32 v3, 6, v15
	v_and_or_b32 v3, v3, s0, v1
	ds_add_u32 v3, v16 offset:7168
	v_lshrrev_b32_e32 v3, 12, v15
	v_and_or_b32 v3, v3, s0, v1
	ds_add_u32 v3, v16 offset:8192
	v_lshrrev_b32_e32 v3, 18, v15
	v_and_or_b32 v3, v3, s0, v1
	s_movk_i32 s1, 0xf0
	ds_add_u32 v3, v16 offset:9216
	v_and_b32_sdwa v3, v15, s1 dst_sel:DWORD dst_unused:UNUSED_PAD src0_sel:BYTE_3 src1_sel:DWORD
	s_movk_i32 s2, 0x80
	v_bitop3_b32 v3, v3, v1, s2 bitop3:0xde
	ds_add_u32 v3, v16 offset:10240
	v_lshlrev_b32_e32 v3, 4, v12
	v_and_or_b32 v3, v3, s0, v1
	ds_add_u32 v3, v16
	v_lshrrev_b32_e32 v3, 2, v12
	v_and_or_b32 v3, v3, s0, v1
	ds_add_u32 v3, v16 offset:1024
	v_lshrrev_b32_e32 v3, 8, v12
	v_and_or_b32 v3, v3, s0, v1
	ds_add_u32 v3, v16 offset:2048
	v_lshrrev_b32_e32 v3, 14, v12
	v_and_or_b32 v3, v3, s0, v1
	ds_add_u32 v3, v16 offset:3072
	v_lshrrev_b32_e32 v3, 20, v12
	v_and_or_b32 v3, v3, s0, v1
	ds_add_u32 v3, v16 offset:4096
	v_alignbit_b32 v3, v13, v12, 26
	v_and_or_b32 v3, v3, s0, v1
	ds_add_u32 v3, v16 offset:5120
	v_and_or_b32 v3, v13, s0, v1
	ds_add_u32 v3, v16 offset:6144
	v_lshrrev_b32_e32 v3, 6, v13
	v_and_or_b32 v3, v3, s0, v1
	ds_add_u32 v3, v16 offset:7168
	v_lshrrev_b32_e32 v3, 12, v13
	v_and_or_b32 v3, v3, s0, v1
	ds_add_u32 v3, v16 offset:8192
	v_lshrrev_b32_e32 v3, 18, v13
	v_and_or_b32 v3, v3, s0, v1
	ds_add_u32 v3, v16 offset:9216
	v_and_b32_sdwa v3, v13, s1 dst_sel:DWORD dst_unused:UNUSED_PAD src0_sel:BYTE_3 src1_sel:DWORD
	v_bitop3_b32 v3, v3, v1, s2 bitop3:0xde
	ds_add_u32 v3, v16 offset:10240
	v_lshlrev_b32_e32 v3, 4, v10
	v_and_or_b32 v3, v3, s0, v1
	ds_add_u32 v3, v16
	v_lshrrev_b32_e32 v3, 2, v10
	v_and_or_b32 v3, v3, s0, v1
	ds_add_u32 v3, v16 offset:1024
	v_lshrrev_b32_e32 v3, 8, v10
	v_and_or_b32 v3, v3, s0, v1
	ds_add_u32 v3, v16 offset:2048
	v_lshrrev_b32_e32 v3, 14, v10
	v_and_or_b32 v3, v3, s0, v1
	ds_add_u32 v3, v16 offset:3072
	v_lshrrev_b32_e32 v3, 20, v10
	v_and_or_b32 v3, v3, s0, v1
	ds_add_u32 v3, v16 offset:4096
	v_alignbit_b32 v3, v11, v10, 26
	v_and_or_b32 v3, v3, s0, v1
	ds_add_u32 v3, v16 offset:5120
	v_and_or_b32 v3, v11, s0, v1
	ds_add_u32 v3, v16 offset:6144
	v_lshrrev_b32_e32 v3, 6, v11
	v_and_or_b32 v3, v3, s0, v1
	ds_add_u32 v3, v16 offset:7168
	v_lshrrev_b32_e32 v3, 12, v11
	v_and_or_b32 v3, v3, s0, v1
	ds_add_u32 v3, v16 offset:8192
	v_lshrrev_b32_e32 v3, 18, v11
	v_and_or_b32 v3, v3, s0, v1
	ds_add_u32 v3, v16 offset:9216
	v_and_b32_sdwa v3, v11, s1 dst_sel:DWORD dst_unused:UNUSED_PAD src0_sel:BYTE_3 src1_sel:DWORD
	;; [unrolled: 32-line block ×4, first 2 shown]
	v_bitop3_b32 v3, v3, v1, s2 bitop3:0xde
	ds_add_u32 v3, v16 offset:10240
	s_waitcnt vmcnt(0)
	v_lshlrev_b32_e32 v3, 4, v4
	v_and_or_b32 v3, v3, s0, v1
	ds_add_u32 v3, v16
	v_lshrrev_b32_e32 v3, 2, v4
	v_and_or_b32 v3, v3, s0, v1
	ds_add_u32 v3, v16 offset:1024
	v_lshrrev_b32_e32 v3, 8, v4
	v_and_or_b32 v3, v3, s0, v1
	ds_add_u32 v3, v16 offset:2048
	;; [unrolled: 3-line block ×4, first 2 shown]
	v_alignbit_b32 v3, v5, v4, 26
	v_and_or_b32 v3, v3, s0, v1
	ds_add_u32 v3, v16 offset:5120
	v_and_or_b32 v3, v5, s0, v1
	ds_add_u32 v3, v16 offset:6144
	v_lshrrev_b32_e32 v3, 6, v5
	v_and_or_b32 v3, v3, s0, v1
	ds_add_u32 v3, v16 offset:7168
	v_lshrrev_b32_e32 v3, 12, v5
	;; [unrolled: 3-line block ×3, first 2 shown]
	v_and_or_b32 v3, v3, s0, v1
	ds_add_u32 v3, v16 offset:9216
	v_and_b32_sdwa v3, v5, s1 dst_sel:DWORD dst_unused:UNUSED_PAD src0_sel:BYTE_3 src1_sel:DWORD
	v_bitop3_b32 v1, v3, v1, s2 bitop3:0xde
	ds_add_u32 v1, v16 offset:10240
	v_cmp_gt_u32_e32 vcc, 64, v0
	s_waitcnt lgkmcnt(0)
	s_barrier
	s_and_saveexec_b64 s[0:1], vcc
	s_cbranch_execz .LBB119_86
; %bb.85:
	v_lshlrev_b32_e32 v8, 4, v0
	ds_read2_b32 v[0:1], v8 offset1:1
	ds_read2_b32 v[4:5], v8 offset0:2 offset1:3
	v_mov_b32_e32 v3, 0
	v_mov_b32_e32 v7, v3
	v_add_u32_e32 v9, 0x400, v8
	s_waitcnt lgkmcnt(1)
	v_add_u32_e32 v0, v1, v0
	s_waitcnt lgkmcnt(0)
	v_add3_u32 v6, v0, v4, v5
	global_atomic_add_x2 v2, v[6:7], s[14:15]
	v_add_u32_e32 v4, 0x408, v8
	ds_read2_b32 v[0:1], v9 offset1:1
	ds_read2_b32 v[4:5], v4 offset1:1
	v_add_u32_e32 v9, 0x800, v8
	s_movk_i32 s0, 0x1000
	s_waitcnt lgkmcnt(1)
	v_add_u32_e32 v0, v1, v0
	s_waitcnt lgkmcnt(0)
	v_add3_u32 v6, v0, v4, v5
	global_atomic_add_x2 v2, v[6:7], s[14:15] offset:512
	v_add_u32_e32 v4, 0x808, v8
	ds_read2_b32 v[0:1], v9 offset1:1
	ds_read2_b32 v[4:5], v4 offset1:1
	v_add_u32_e32 v9, 0xc00, v8
	s_waitcnt lgkmcnt(1)
	v_add_u32_e32 v0, v1, v0
	s_waitcnt lgkmcnt(0)
	v_add3_u32 v6, v0, v4, v5
	global_atomic_add_x2 v2, v[6:7], s[14:15] offset:1024
	v_add_u32_e32 v4, 0xc08, v8
	ds_read2_b32 v[0:1], v9 offset1:1
	ds_read2_b32 v[4:5], v4 offset1:1
	v_add_u32_e32 v9, 0x1000, v8
	;; [unrolled: 9-line block ×6, first 2 shown]
	s_waitcnt lgkmcnt(1)
	v_add_u32_e32 v0, v1, v0
	s_waitcnt lgkmcnt(0)
	v_add3_u32 v6, v0, v4, v5
	global_atomic_add_x2 v2, v[6:7], s[14:15] offset:3584
	v_add_u32_e32 v4, 0x2008, v8
	ds_read2_b32 v[0:1], v9 offset1:1
	ds_read2_b32 v[4:5], v4 offset1:1
	v_lshl_add_u64 v[6:7], s[14:15], 0, v[2:3]
	s_waitcnt lgkmcnt(1)
	v_add_u32_e32 v0, v1, v0
	s_waitcnt lgkmcnt(0)
	v_add3_u32 v2, v0, v4, v5
	v_add_co_u32_e32 v0, vcc, s0, v6
	v_add_u32_e32 v6, 0x2408, v8
	s_nop 0
	v_addc_co_u32_e32 v1, vcc, 0, v7, vcc
	global_atomic_add_x2 v[0:1], v[2:3], off
	v_add_u32_e32 v2, 0x2400, v8
	ds_read2_b32 v[4:5], v2 offset1:1
	ds_read2_b32 v[6:7], v6 offset1:1
	s_waitcnt lgkmcnt(1)
	v_add_u32_e32 v2, v5, v4
	s_waitcnt lgkmcnt(0)
	v_add3_u32 v2, v2, v6, v7
	global_atomic_add_x2 v[0:1], v[2:3], off offset:512
	v_add_u32_e32 v2, 0x2800, v8
	v_add_u32_e32 v6, 0x2808, v8
	ds_read2_b32 v[4:5], v2 offset1:1
	ds_read2_b32 v[6:7], v6 offset1:1
	s_waitcnt lgkmcnt(1)
	v_add_u32_e32 v2, v5, v4
	s_waitcnt lgkmcnt(0)
	v_add3_u32 v2, v2, v6, v7
	global_atomic_add_x2 v[0:1], v[2:3], off offset:1024
.LBB119_86:
	s_endpgm
	.section	.rodata,"a",@progbits
	.p2align	6, 0x0
	.amdhsa_kernel _ZN7rocprim17ROCPRIM_304000_NS6detail26onesweep_histograms_kernelINS1_34wrapped_radix_sort_onesweep_configINS0_14default_configElN2at4cuda3cub6detail10OpaqueTypeILi8EEEEELb0EPKlmNS0_19identity_decomposerEEEvT1_PT2_SG_SG_T3_jj
		.amdhsa_group_segment_fixed_size 11264
		.amdhsa_private_segment_fixed_size 0
		.amdhsa_kernarg_size 44
		.amdhsa_user_sgpr_count 2
		.amdhsa_user_sgpr_dispatch_ptr 0
		.amdhsa_user_sgpr_queue_ptr 0
		.amdhsa_user_sgpr_kernarg_segment_ptr 1
		.amdhsa_user_sgpr_dispatch_id 0
		.amdhsa_user_sgpr_kernarg_preload_length 0
		.amdhsa_user_sgpr_kernarg_preload_offset 0
		.amdhsa_user_sgpr_private_segment_size 0
		.amdhsa_uses_dynamic_stack 0
		.amdhsa_enable_private_segment 0
		.amdhsa_system_sgpr_workgroup_id_x 1
		.amdhsa_system_sgpr_workgroup_id_y 0
		.amdhsa_system_sgpr_workgroup_id_z 0
		.amdhsa_system_sgpr_workgroup_info 0
		.amdhsa_system_vgpr_workitem_id 0
		.amdhsa_next_free_vgpr 26
		.amdhsa_next_free_sgpr 28
		.amdhsa_accum_offset 28
		.amdhsa_reserve_vcc 1
		.amdhsa_float_round_mode_32 0
		.amdhsa_float_round_mode_16_64 0
		.amdhsa_float_denorm_mode_32 3
		.amdhsa_float_denorm_mode_16_64 3
		.amdhsa_dx10_clamp 1
		.amdhsa_ieee_mode 1
		.amdhsa_fp16_overflow 0
		.amdhsa_tg_split 0
		.amdhsa_exception_fp_ieee_invalid_op 0
		.amdhsa_exception_fp_denorm_src 0
		.amdhsa_exception_fp_ieee_div_zero 0
		.amdhsa_exception_fp_ieee_overflow 0
		.amdhsa_exception_fp_ieee_underflow 0
		.amdhsa_exception_fp_ieee_inexact 0
		.amdhsa_exception_int_div_zero 0
	.end_amdhsa_kernel
	.section	.text._ZN7rocprim17ROCPRIM_304000_NS6detail26onesweep_histograms_kernelINS1_34wrapped_radix_sort_onesweep_configINS0_14default_configElN2at4cuda3cub6detail10OpaqueTypeILi8EEEEELb0EPKlmNS0_19identity_decomposerEEEvT1_PT2_SG_SG_T3_jj,"axG",@progbits,_ZN7rocprim17ROCPRIM_304000_NS6detail26onesweep_histograms_kernelINS1_34wrapped_radix_sort_onesweep_configINS0_14default_configElN2at4cuda3cub6detail10OpaqueTypeILi8EEEEELb0EPKlmNS0_19identity_decomposerEEEvT1_PT2_SG_SG_T3_jj,comdat
.Lfunc_end119:
	.size	_ZN7rocprim17ROCPRIM_304000_NS6detail26onesweep_histograms_kernelINS1_34wrapped_radix_sort_onesweep_configINS0_14default_configElN2at4cuda3cub6detail10OpaqueTypeILi8EEEEELb0EPKlmNS0_19identity_decomposerEEEvT1_PT2_SG_SG_T3_jj, .Lfunc_end119-_ZN7rocprim17ROCPRIM_304000_NS6detail26onesweep_histograms_kernelINS1_34wrapped_radix_sort_onesweep_configINS0_14default_configElN2at4cuda3cub6detail10OpaqueTypeILi8EEEEELb0EPKlmNS0_19identity_decomposerEEEvT1_PT2_SG_SG_T3_jj
                                        ; -- End function
	.set _ZN7rocprim17ROCPRIM_304000_NS6detail26onesweep_histograms_kernelINS1_34wrapped_radix_sort_onesweep_configINS0_14default_configElN2at4cuda3cub6detail10OpaqueTypeILi8EEEEELb0EPKlmNS0_19identity_decomposerEEEvT1_PT2_SG_SG_T3_jj.num_vgpr, 26
	.set _ZN7rocprim17ROCPRIM_304000_NS6detail26onesweep_histograms_kernelINS1_34wrapped_radix_sort_onesweep_configINS0_14default_configElN2at4cuda3cub6detail10OpaqueTypeILi8EEEEELb0EPKlmNS0_19identity_decomposerEEEvT1_PT2_SG_SG_T3_jj.num_agpr, 0
	.set _ZN7rocprim17ROCPRIM_304000_NS6detail26onesweep_histograms_kernelINS1_34wrapped_radix_sort_onesweep_configINS0_14default_configElN2at4cuda3cub6detail10OpaqueTypeILi8EEEEELb0EPKlmNS0_19identity_decomposerEEEvT1_PT2_SG_SG_T3_jj.numbered_sgpr, 28
	.set _ZN7rocprim17ROCPRIM_304000_NS6detail26onesweep_histograms_kernelINS1_34wrapped_radix_sort_onesweep_configINS0_14default_configElN2at4cuda3cub6detail10OpaqueTypeILi8EEEEELb0EPKlmNS0_19identity_decomposerEEEvT1_PT2_SG_SG_T3_jj.num_named_barrier, 0
	.set _ZN7rocprim17ROCPRIM_304000_NS6detail26onesweep_histograms_kernelINS1_34wrapped_radix_sort_onesweep_configINS0_14default_configElN2at4cuda3cub6detail10OpaqueTypeILi8EEEEELb0EPKlmNS0_19identity_decomposerEEEvT1_PT2_SG_SG_T3_jj.private_seg_size, 0
	.set _ZN7rocprim17ROCPRIM_304000_NS6detail26onesweep_histograms_kernelINS1_34wrapped_radix_sort_onesweep_configINS0_14default_configElN2at4cuda3cub6detail10OpaqueTypeILi8EEEEELb0EPKlmNS0_19identity_decomposerEEEvT1_PT2_SG_SG_T3_jj.uses_vcc, 1
	.set _ZN7rocprim17ROCPRIM_304000_NS6detail26onesweep_histograms_kernelINS1_34wrapped_radix_sort_onesweep_configINS0_14default_configElN2at4cuda3cub6detail10OpaqueTypeILi8EEEEELb0EPKlmNS0_19identity_decomposerEEEvT1_PT2_SG_SG_T3_jj.uses_flat_scratch, 0
	.set _ZN7rocprim17ROCPRIM_304000_NS6detail26onesweep_histograms_kernelINS1_34wrapped_radix_sort_onesweep_configINS0_14default_configElN2at4cuda3cub6detail10OpaqueTypeILi8EEEEELb0EPKlmNS0_19identity_decomposerEEEvT1_PT2_SG_SG_T3_jj.has_dyn_sized_stack, 0
	.set _ZN7rocprim17ROCPRIM_304000_NS6detail26onesweep_histograms_kernelINS1_34wrapped_radix_sort_onesweep_configINS0_14default_configElN2at4cuda3cub6detail10OpaqueTypeILi8EEEEELb0EPKlmNS0_19identity_decomposerEEEvT1_PT2_SG_SG_T3_jj.has_recursion, 0
	.set _ZN7rocprim17ROCPRIM_304000_NS6detail26onesweep_histograms_kernelINS1_34wrapped_radix_sort_onesweep_configINS0_14default_configElN2at4cuda3cub6detail10OpaqueTypeILi8EEEEELb0EPKlmNS0_19identity_decomposerEEEvT1_PT2_SG_SG_T3_jj.has_indirect_call, 0
	.section	.AMDGPU.csdata,"",@progbits
; Kernel info:
; codeLenInByte = 4568
; TotalNumSgprs: 34
; NumVgprs: 26
; NumAgprs: 0
; TotalNumVgprs: 26
; ScratchSize: 0
; MemoryBound: 1
; FloatMode: 240
; IeeeMode: 1
; LDSByteSize: 11264 bytes/workgroup (compile time only)
; SGPRBlocks: 4
; VGPRBlocks: 3
; NumSGPRsForWavesPerEU: 34
; NumVGPRsForWavesPerEU: 26
; AccumOffset: 28
; Occupancy: 8
; WaveLimiterHint : 1
; COMPUTE_PGM_RSRC2:SCRATCH_EN: 0
; COMPUTE_PGM_RSRC2:USER_SGPR: 2
; COMPUTE_PGM_RSRC2:TRAP_HANDLER: 0
; COMPUTE_PGM_RSRC2:TGID_X_EN: 1
; COMPUTE_PGM_RSRC2:TGID_Y_EN: 0
; COMPUTE_PGM_RSRC2:TGID_Z_EN: 0
; COMPUTE_PGM_RSRC2:TIDIG_COMP_CNT: 0
; COMPUTE_PGM_RSRC3_GFX90A:ACCUM_OFFSET: 6
; COMPUTE_PGM_RSRC3_GFX90A:TG_SPLIT: 0
	.section	.text._ZN7rocprim17ROCPRIM_304000_NS6detail25onesweep_iteration_kernelINS1_34wrapped_radix_sort_onesweep_configINS0_14default_configElN2at4cuda3cub6detail10OpaqueTypeILi8EEEEELb0EPKlPlPKSA_PSA_mNS0_19identity_decomposerEEEvT1_T2_T3_T4_jPT5_SO_PNS1_23onesweep_lookback_stateET6_jjj,"axG",@progbits,_ZN7rocprim17ROCPRIM_304000_NS6detail25onesweep_iteration_kernelINS1_34wrapped_radix_sort_onesweep_configINS0_14default_configElN2at4cuda3cub6detail10OpaqueTypeILi8EEEEELb0EPKlPlPKSA_PSA_mNS0_19identity_decomposerEEEvT1_T2_T3_T4_jPT5_SO_PNS1_23onesweep_lookback_stateET6_jjj,comdat
	.protected	_ZN7rocprim17ROCPRIM_304000_NS6detail25onesweep_iteration_kernelINS1_34wrapped_radix_sort_onesweep_configINS0_14default_configElN2at4cuda3cub6detail10OpaqueTypeILi8EEEEELb0EPKlPlPKSA_PSA_mNS0_19identity_decomposerEEEvT1_T2_T3_T4_jPT5_SO_PNS1_23onesweep_lookback_stateET6_jjj ; -- Begin function _ZN7rocprim17ROCPRIM_304000_NS6detail25onesweep_iteration_kernelINS1_34wrapped_radix_sort_onesweep_configINS0_14default_configElN2at4cuda3cub6detail10OpaqueTypeILi8EEEEELb0EPKlPlPKSA_PSA_mNS0_19identity_decomposerEEEvT1_T2_T3_T4_jPT5_SO_PNS1_23onesweep_lookback_stateET6_jjj
	.globl	_ZN7rocprim17ROCPRIM_304000_NS6detail25onesweep_iteration_kernelINS1_34wrapped_radix_sort_onesweep_configINS0_14default_configElN2at4cuda3cub6detail10OpaqueTypeILi8EEEEELb0EPKlPlPKSA_PSA_mNS0_19identity_decomposerEEEvT1_T2_T3_T4_jPT5_SO_PNS1_23onesweep_lookback_stateET6_jjj
	.p2align	8
	.type	_ZN7rocprim17ROCPRIM_304000_NS6detail25onesweep_iteration_kernelINS1_34wrapped_radix_sort_onesweep_configINS0_14default_configElN2at4cuda3cub6detail10OpaqueTypeILi8EEEEELb0EPKlPlPKSA_PSA_mNS0_19identity_decomposerEEEvT1_T2_T3_T4_jPT5_SO_PNS1_23onesweep_lookback_stateET6_jjj,@function
_ZN7rocprim17ROCPRIM_304000_NS6detail25onesweep_iteration_kernelINS1_34wrapped_radix_sort_onesweep_configINS0_14default_configElN2at4cuda3cub6detail10OpaqueTypeILi8EEEEELb0EPKlPlPKSA_PSA_mNS0_19identity_decomposerEEEvT1_T2_T3_T4_jPT5_SO_PNS1_23onesweep_lookback_stateET6_jjj: ; @_ZN7rocprim17ROCPRIM_304000_NS6detail25onesweep_iteration_kernelINS1_34wrapped_radix_sort_onesweep_configINS0_14default_configElN2at4cuda3cub6detail10OpaqueTypeILi8EEEEELb0EPKlPlPKSA_PSA_mNS0_19identity_decomposerEEEvT1_T2_T3_T4_jPT5_SO_PNS1_23onesweep_lookback_stateET6_jjj
; %bb.0:
	s_load_dwordx4 s[44:47], s[0:1], 0x44
	s_load_dwordx8 s[36:43], s[0:1], 0x0
	s_load_dwordx4 s[28:31], s[0:1], 0x28
	s_load_dwordx2 s[34:35], s[0:1], 0x38
	s_mov_b64 s[4:5], -1
	s_waitcnt lgkmcnt(0)
	s_cmp_ge_u32 s2, s46
	s_mul_i32 s48, s2, 0x1800
	v_mbcnt_lo_u32_b32 v1, -1, 0
	s_cbranch_scc0 .LBB120_96
; %bb.1:
	s_load_dword s3, s[0:1], 0x20
	s_mul_i32 s4, s46, 0xffffe800
	s_mov_b32 s49, 0
	s_lshl_b64 s[46:47], s[48:49], 3
	v_mbcnt_hi_u32_b32 v9, -1, v1
	s_waitcnt lgkmcnt(0)
	s_add_i32 s49, s4, s3
	s_add_u32 s4, s36, s46
	v_and_b32_e32 v2, 0x3c0, v0
	s_addc_u32 s5, s37, s47
	v_mul_u32_u24_e32 v8, 6, v2
	v_mov_b32_e32 v5, 0
	v_lshlrev_b32_e32 v4, 3, v9
	v_lshl_add_u64 v[2:3], s[4:5], 0, v[4:5]
	v_lshlrev_b32_e32 v6, 3, v8
	v_mov_b32_e32 v7, v5
	v_or_b32_e32 v5, v9, v8
	v_lshl_add_u64 v[2:3], v[2:3], 0, v[6:7]
	v_cmp_gt_u32_e32 vcc, s49, v5
	v_mov_b64_e32 v[10:11], -1
	v_mov_b64_e32 v[12:13], -1
	s_and_saveexec_b64 s[4:5], vcc
	s_cbranch_execz .LBB120_3
; %bb.2:
	global_load_dwordx2 v[12:13], v[2:3], off
	s_waitcnt vmcnt(0)
	v_xor_b32_e32 v13, 0x80000000, v13
.LBB120_3:
	s_or_b64 exec, exec, s[4:5]
	v_add_u32_e32 v7, 64, v5
	v_cmp_gt_u32_e64 s[26:27], s49, v7
	s_and_saveexec_b64 s[4:5], s[26:27]
	s_cbranch_execz .LBB120_5
; %bb.4:
	global_load_dwordx2 v[10:11], v[2:3], off offset:512
	s_waitcnt vmcnt(0)
	v_xor_b32_e32 v11, 0x80000000, v11
.LBB120_5:
	s_or_b64 exec, exec, s[4:5]
	v_add_u32_e32 v7, 0x80, v5
	v_cmp_gt_u32_e64 s[4:5], s49, v7
	v_mov_b64_e32 v[14:15], -1
	v_mov_b64_e32 v[16:17], -1
	s_and_saveexec_b64 s[6:7], s[4:5]
	s_cbranch_execz .LBB120_7
; %bb.6:
	global_load_dwordx2 v[16:17], v[2:3], off offset:1024
	s_waitcnt vmcnt(0)
	v_xor_b32_e32 v17, 0x80000000, v17
.LBB120_7:
	s_or_b64 exec, exec, s[6:7]
	v_add_u32_e32 v7, 0xc0, v5
	v_cmp_gt_u32_e64 s[6:7], s49, v7
	s_and_saveexec_b64 s[8:9], s[6:7]
	s_cbranch_execz .LBB120_9
; %bb.8:
	global_load_dwordx2 v[14:15], v[2:3], off offset:1536
	s_waitcnt vmcnt(0)
	v_xor_b32_e32 v15, 0x80000000, v15
.LBB120_9:
	s_or_b64 exec, exec, s[8:9]
	v_add_u32_e32 v7, 0x100, v5
	v_cmp_gt_u32_e64 s[8:9], s49, v7
	v_mov_b64_e32 v[18:19], -1
	v_mov_b64_e32 v[20:21], -1
	s_and_saveexec_b64 s[10:11], s[8:9]
	s_cbranch_execz .LBB120_11
; %bb.10:
	global_load_dwordx2 v[20:21], v[2:3], off offset:2048
	s_waitcnt vmcnt(0)
	v_xor_b32_e32 v21, 0x80000000, v21
.LBB120_11:
	s_or_b64 exec, exec, s[10:11]
	v_add_u32_e32 v5, 0x140, v5
	v_and_b32_e32 v8, 0x3ff, v0
	v_cmp_gt_u32_e64 s[10:11], s49, v5
	s_and_saveexec_b64 s[12:13], s[10:11]
	s_cbranch_execz .LBB120_13
; %bb.12:
	global_load_dwordx2 v[18:19], v[2:3], off offset:2560
	s_waitcnt vmcnt(0)
	v_xor_b32_e32 v19, 0x80000000, v19
.LBB120_13:
	s_or_b64 exec, exec, s[12:13]
	s_load_dword s12, s[0:1], 0x5c
	s_load_dword s3, s[0:1], 0x50
	s_add_u32 s13, s0, 0x50
	s_addc_u32 s14, s1, 0
	v_mov_b32_e32 v22, 0
	s_waitcnt lgkmcnt(0)
	s_lshr_b32 s15, s12, 16
	s_cmp_lt_u32 s2, s3
	s_cselect_b32 s12, 12, 18
	s_add_u32 s12, s13, s12
	s_addc_u32 s13, s14, 0
	global_load_ushort v5, v22, s[12:13]
	v_bfe_u32 v3, v0, 10, 10
	v_bfe_u32 v7, v0, 20, 10
	v_lshrrev_b64 v[24:25], s44, v[12:13]
	s_lshl_b32 s12, -1, s45
	v_lshlrev_b32_e32 v2, 3, v8
	v_mov_b32_e32 v23, v22
	v_mad_u32_u24 v7, v7, s15, v3
	v_bitop3_b32 v3, v24, s12, v24 bitop3:0x30
	v_mov_b32_e32 v25, v22
	ds_write_b64 v2, v[22:23] offset:64
	v_and_b32_e32 v24, 1, v3
	v_lshlrev_b32_e32 v23, 30, v3
	s_not_b32 s33, s12
	v_lshl_add_u64 v[26:27], v[24:25], 0, -1
	v_cmp_ne_u32_e64 s[12:13], 0, v24
	v_cmp_gt_i64_e64 s[14:15], 0, v[22:23]
	v_not_b32_e32 v24, v23
	v_lshlrev_b32_e32 v23, 29, v3
	v_xor_b32_e32 v25, s13, v27
	v_xor_b32_e32 v26, s12, v26
	v_ashrrev_i32_e32 v24, 31, v24
	v_cmp_gt_i64_e64 s[12:13], 0, v[22:23]
	v_not_b32_e32 v27, v23
	v_lshlrev_b32_e32 v23, 28, v3
	v_and_b32_e32 v25, exec_hi, v25
	v_and_b32_e32 v26, exec_lo, v26
	v_xor_b32_e32 v29, s15, v24
	v_xor_b32_e32 v24, s14, v24
	v_ashrrev_i32_e32 v27, 31, v27
	v_cmp_gt_i64_e64 s[14:15], 0, v[22:23]
	v_not_b32_e32 v30, v23
	v_lshlrev_b32_e32 v23, 27, v3
	s_movk_i32 s16, 0x44
	v_and_b32_e32 v25, v25, v29
	v_and_b32_e32 v24, v26, v24
	v_xor_b32_e32 v26, s13, v27
	v_xor_b32_e32 v27, s12, v27
	v_ashrrev_i32_e32 v29, 31, v30
	v_cmp_gt_i64_e64 s[12:13], 0, v[22:23]
	v_not_b32_e32 v30, v23
	v_lshlrev_b32_e32 v23, 26, v3
	v_mul_lo_u32 v28, v3, s16
	v_and_b32_e32 v3, v25, v26
	v_and_b32_e32 v24, v24, v27
	v_xor_b32_e32 v25, s15, v29
	v_xor_b32_e32 v26, s14, v29
	v_ashrrev_i32_e32 v27, 31, v30
	v_cmp_gt_i64_e64 s[14:15], 0, v[22:23]
	v_not_b32_e32 v23, v23
	v_and_b32_e32 v3, v3, v25
	v_and_b32_e32 v24, v24, v26
	v_xor_b32_e32 v25, s13, v27
	v_xor_b32_e32 v26, s12, v27
	v_ashrrev_i32_e32 v23, 31, v23
	v_and_b32_e32 v3, v3, v25
	v_and_b32_e32 v24, v24, v26
	v_xor_b32_e32 v25, s15, v23
	v_xor_b32_e32 v23, s14, v23
	v_and_b32_e32 v24, v24, v23
	v_and_b32_e32 v25, v3, v25
	v_mbcnt_lo_u32_b32 v3, v24, 0
	v_mbcnt_hi_u32_b32 v3, v25, v3
	v_cmp_ne_u64_e64 s[12:13], 0, v[24:25]
	v_cmp_eq_u32_e64 s[14:15], 0, v3
	s_and_b64 s[14:15], s[12:13], s[14:15]
	s_waitcnt lgkmcnt(0)
	s_barrier
	s_waitcnt vmcnt(0)
	; wave barrier
	v_mad_u64_u32 v[26:27], s[18:19], v7, v5, v[8:9]
	v_lshrrev_b32_e32 v32, 6, v26
	v_lshl_add_u32 v7, v32, 2, v28
	s_and_saveexec_b64 s[12:13], s[14:15]
; %bb.14:
	v_bcnt_u32_b32 v5, v24, 0
	v_bcnt_u32_b32 v5, v25, v5
	ds_write_b32 v7, v5 offset:64
; %bb.15:
	s_or_b64 exec, exec, s[12:13]
	v_lshrrev_b64 v[24:25], s44, v[10:11]
	v_and_b32_e32 v27, s33, v24
	v_and_b32_e32 v24, 1, v27
	v_mov_b32_e32 v25, v22
	v_lshl_add_u64 v[28:29], v[24:25], 0, -1
	v_cmp_ne_u32_e64 s[12:13], 0, v24
	v_mul_lo_u32 v5, v27, s16
	v_lshl_add_u32 v26, v32, 2, v5
	v_xor_b32_e32 v23, s13, v29
	v_and_b32_e32 v25, exec_hi, v23
	v_lshlrev_b32_e32 v23, 30, v27
	v_xor_b32_e32 v24, s12, v28
	v_cmp_gt_i64_e64 s[12:13], 0, v[22:23]
	v_not_b32_e32 v23, v23
	v_ashrrev_i32_e32 v23, 31, v23
	v_and_b32_e32 v24, exec_lo, v24
	v_xor_b32_e32 v28, s13, v23
	v_xor_b32_e32 v23, s12, v23
	v_and_b32_e32 v24, v24, v23
	v_lshlrev_b32_e32 v23, 29, v27
	v_cmp_gt_i64_e64 s[12:13], 0, v[22:23]
	v_not_b32_e32 v23, v23
	v_ashrrev_i32_e32 v23, 31, v23
	v_and_b32_e32 v25, v25, v28
	v_xor_b32_e32 v28, s13, v23
	v_xor_b32_e32 v23, s12, v23
	v_and_b32_e32 v24, v24, v23
	v_lshlrev_b32_e32 v23, 28, v27
	v_cmp_gt_i64_e64 s[12:13], 0, v[22:23]
	v_not_b32_e32 v23, v23
	v_ashrrev_i32_e32 v23, 31, v23
	v_and_b32_e32 v25, v25, v28
	;; [unrolled: 8-line block ×3, first 2 shown]
	v_xor_b32_e32 v28, s13, v23
	v_xor_b32_e32 v23, s12, v23
	v_and_b32_e32 v24, v24, v23
	v_lshlrev_b32_e32 v23, 26, v27
	v_cmp_gt_i64_e64 s[12:13], 0, v[22:23]
	v_not_b32_e32 v22, v23
	v_ashrrev_i32_e32 v22, 31, v22
	v_xor_b32_e32 v23, s13, v22
	v_xor_b32_e32 v22, s12, v22
	; wave barrier
	ds_read_b32 v5, v26 offset:64
	v_and_b32_e32 v25, v25, v28
	v_and_b32_e32 v22, v24, v22
	;; [unrolled: 1-line block ×3, first 2 shown]
	v_mbcnt_lo_u32_b32 v24, v22, 0
	v_mbcnt_hi_u32_b32 v27, v23, v24
	v_cmp_eq_u32_e64 s[12:13], 0, v27
	v_cmp_ne_u64_e64 s[14:15], 0, v[22:23]
	s_and_b64 s[14:15], s[14:15], s[12:13]
	; wave barrier
	s_and_saveexec_b64 s[12:13], s[14:15]
	s_cbranch_execz .LBB120_17
; %bb.16:
	v_bcnt_u32_b32 v22, v22, 0
	v_bcnt_u32_b32 v22, v23, v22
	s_waitcnt lgkmcnt(0)
	v_add_u32_e32 v22, v5, v22
	ds_write_b32 v26, v22 offset:64
.LBB120_17:
	s_or_b64 exec, exec, s[12:13]
	v_lshrrev_b64 v[22:23], s44, v[16:17]
	v_and_b32_e32 v30, s33, v22
	v_mul_lo_u32 v22, v30, s16
	v_lshl_add_u32 v29, v32, 2, v22
	v_and_b32_e32 v22, 1, v30
	v_mov_b32_e32 v23, 0
	v_lshl_add_u64 v[24:25], v[22:23], 0, -1
	v_cmp_ne_u32_e64 s[12:13], 0, v22
	; wave barrier
	s_nop 1
	v_xor_b32_e32 v24, s12, v24
	v_xor_b32_e32 v22, s13, v25
	v_and_b32_e32 v31, exec_lo, v24
	v_lshlrev_b32_e32 v25, 30, v30
	v_mov_b32_e32 v24, v23
	v_cmp_gt_i64_e64 s[12:13], 0, v[24:25]
	v_not_b32_e32 v24, v25
	v_ashrrev_i32_e32 v24, 31, v24
	v_and_b32_e32 v22, exec_hi, v22
	v_xor_b32_e32 v25, s13, v24
	v_xor_b32_e32 v24, s12, v24
	v_and_b32_e32 v22, v22, v25
	v_and_b32_e32 v31, v31, v24
	v_lshlrev_b32_e32 v25, 29, v30
	v_mov_b32_e32 v24, v23
	v_cmp_gt_i64_e64 s[12:13], 0, v[24:25]
	v_not_b32_e32 v24, v25
	v_ashrrev_i32_e32 v24, 31, v24
	v_xor_b32_e32 v25, s13, v24
	v_xor_b32_e32 v24, s12, v24
	v_and_b32_e32 v22, v22, v25
	v_and_b32_e32 v31, v31, v24
	v_lshlrev_b32_e32 v25, 28, v30
	v_mov_b32_e32 v24, v23
	v_cmp_gt_i64_e64 s[12:13], 0, v[24:25]
	v_not_b32_e32 v24, v25
	v_ashrrev_i32_e32 v24, 31, v24
	;; [unrolled: 9-line block ×4, first 2 shown]
	v_xor_b32_e32 v25, s13, v24
	v_xor_b32_e32 v24, s12, v24
	ds_read_b32 v28, v29 offset:64
	v_and_b32_e32 v24, v31, v24
	v_and_b32_e32 v25, v22, v25
	v_mbcnt_lo_u32_b32 v22, v24, 0
	v_mbcnt_hi_u32_b32 v30, v25, v22
	v_cmp_eq_u32_e64 s[12:13], 0, v30
	v_cmp_ne_u64_e64 s[14:15], 0, v[24:25]
	s_and_b64 s[14:15], s[14:15], s[12:13]
	; wave barrier
	s_and_saveexec_b64 s[12:13], s[14:15]
	s_cbranch_execz .LBB120_19
; %bb.18:
	v_bcnt_u32_b32 v22, v24, 0
	v_bcnt_u32_b32 v22, v25, v22
	s_waitcnt lgkmcnt(0)
	v_add_u32_e32 v22, v28, v22
	ds_write_b32 v29, v22 offset:64
.LBB120_19:
	s_or_b64 exec, exec, s[12:13]
	v_lshrrev_b64 v[24:25], s44, v[14:15]
	v_and_b32_e32 v34, s33, v24
	v_mul_lo_u32 v22, v34, s16
	v_lshl_add_u32 v33, v32, 2, v22
	v_and_b32_e32 v22, 1, v34
	v_lshl_add_u64 v[24:25], v[22:23], 0, -1
	v_cmp_ne_u32_e64 s[12:13], 0, v22
	; wave barrier
	s_nop 1
	v_xor_b32_e32 v24, s12, v24
	v_xor_b32_e32 v22, s13, v25
	v_and_b32_e32 v35, exec_lo, v24
	v_lshlrev_b32_e32 v25, 30, v34
	v_mov_b32_e32 v24, v23
	v_cmp_gt_i64_e64 s[12:13], 0, v[24:25]
	v_not_b32_e32 v24, v25
	v_ashrrev_i32_e32 v24, 31, v24
	v_and_b32_e32 v22, exec_hi, v22
	v_xor_b32_e32 v25, s13, v24
	v_xor_b32_e32 v24, s12, v24
	v_and_b32_e32 v22, v22, v25
	v_and_b32_e32 v35, v35, v24
	v_lshlrev_b32_e32 v25, 29, v34
	v_mov_b32_e32 v24, v23
	v_cmp_gt_i64_e64 s[12:13], 0, v[24:25]
	v_not_b32_e32 v24, v25
	v_ashrrev_i32_e32 v24, 31, v24
	v_xor_b32_e32 v25, s13, v24
	v_xor_b32_e32 v24, s12, v24
	v_and_b32_e32 v22, v22, v25
	v_and_b32_e32 v35, v35, v24
	v_lshlrev_b32_e32 v25, 28, v34
	v_mov_b32_e32 v24, v23
	v_cmp_gt_i64_e64 s[12:13], 0, v[24:25]
	v_not_b32_e32 v24, v25
	v_ashrrev_i32_e32 v24, 31, v24
	;; [unrolled: 9-line block ×3, first 2 shown]
	v_xor_b32_e32 v25, s13, v24
	v_xor_b32_e32 v24, s12, v24
	v_and_b32_e32 v22, v22, v25
	v_lshlrev_b32_e32 v25, 26, v34
	v_and_b32_e32 v35, v35, v24
	v_mov_b32_e32 v24, v23
	v_not_b32_e32 v23, v25
	v_cmp_gt_i64_e64 s[12:13], 0, v[24:25]
	v_ashrrev_i32_e32 v23, 31, v23
	ds_read_b32 v31, v33 offset:64
	v_xor_b32_e32 v24, s13, v23
	v_xor_b32_e32 v25, s12, v23
	v_and_b32_e32 v23, v22, v24
	v_and_b32_e32 v22, v35, v25
	v_mbcnt_lo_u32_b32 v24, v22, 0
	v_mbcnt_hi_u32_b32 v34, v23, v24
	v_cmp_eq_u32_e64 s[12:13], 0, v34
	v_cmp_ne_u64_e64 s[14:15], 0, v[22:23]
	s_and_b64 s[14:15], s[14:15], s[12:13]
	; wave barrier
	s_and_saveexec_b64 s[12:13], s[14:15]
	s_cbranch_execz .LBB120_21
; %bb.20:
	v_bcnt_u32_b32 v22, v22, 0
	v_bcnt_u32_b32 v22, v23, v22
	s_waitcnt lgkmcnt(0)
	v_add_u32_e32 v22, v31, v22
	ds_write_b32 v33, v22 offset:64
.LBB120_21:
	s_or_b64 exec, exec, s[12:13]
	v_lshrrev_b64 v[22:23], s44, v[20:21]
	v_and_b32_e32 v37, s33, v22
	v_mul_lo_u32 v22, v37, s16
	v_lshl_add_u32 v36, v32, 2, v22
	v_and_b32_e32 v22, 1, v37
	v_mov_b32_e32 v23, 0
	v_lshl_add_u64 v[24:25], v[22:23], 0, -1
	v_cmp_ne_u32_e64 s[12:13], 0, v22
	; wave barrier
	s_nop 1
	v_xor_b32_e32 v24, s12, v24
	v_xor_b32_e32 v22, s13, v25
	v_and_b32_e32 v38, exec_lo, v24
	v_lshlrev_b32_e32 v25, 30, v37
	v_mov_b32_e32 v24, v23
	v_cmp_gt_i64_e64 s[12:13], 0, v[24:25]
	v_not_b32_e32 v24, v25
	v_ashrrev_i32_e32 v24, 31, v24
	v_and_b32_e32 v22, exec_hi, v22
	v_xor_b32_e32 v25, s13, v24
	v_xor_b32_e32 v24, s12, v24
	v_and_b32_e32 v22, v22, v25
	v_and_b32_e32 v38, v38, v24
	v_lshlrev_b32_e32 v25, 29, v37
	v_mov_b32_e32 v24, v23
	v_cmp_gt_i64_e64 s[12:13], 0, v[24:25]
	v_not_b32_e32 v24, v25
	v_ashrrev_i32_e32 v24, 31, v24
	v_xor_b32_e32 v25, s13, v24
	v_xor_b32_e32 v24, s12, v24
	v_and_b32_e32 v22, v22, v25
	v_and_b32_e32 v38, v38, v24
	v_lshlrev_b32_e32 v25, 28, v37
	v_mov_b32_e32 v24, v23
	v_cmp_gt_i64_e64 s[12:13], 0, v[24:25]
	v_not_b32_e32 v24, v25
	v_ashrrev_i32_e32 v24, 31, v24
	;; [unrolled: 9-line block ×4, first 2 shown]
	v_xor_b32_e32 v25, s13, v24
	v_xor_b32_e32 v24, s12, v24
	ds_read_b32 v35, v36 offset:64
	v_and_b32_e32 v24, v38, v24
	v_and_b32_e32 v25, v22, v25
	v_mbcnt_lo_u32_b32 v22, v24, 0
	v_mbcnt_hi_u32_b32 v37, v25, v22
	v_cmp_eq_u32_e64 s[12:13], 0, v37
	v_cmp_ne_u64_e64 s[14:15], 0, v[24:25]
	s_and_b64 s[14:15], s[14:15], s[12:13]
	; wave barrier
	s_and_saveexec_b64 s[12:13], s[14:15]
	s_cbranch_execz .LBB120_23
; %bb.22:
	v_bcnt_u32_b32 v22, v24, 0
	v_bcnt_u32_b32 v22, v25, v22
	s_waitcnt lgkmcnt(0)
	v_add_u32_e32 v22, v35, v22
	ds_write_b32 v36, v22 offset:64
.LBB120_23:
	s_or_b64 exec, exec, s[12:13]
	v_lshrrev_b64 v[24:25], s44, v[18:19]
	v_and_b32_e32 v25, s33, v24
	v_mul_lo_u32 v22, v25, s16
	v_lshl_add_u32 v24, v32, 2, v22
	v_and_b32_e32 v22, 1, v25
	v_lshl_add_u64 v[40:41], v[22:23], 0, -1
	v_cmp_ne_u32_e64 s[12:13], 0, v22
	; wave barrier
	s_nop 1
	v_xor_b32_e32 v22, s13, v41
	v_lshlrev_b32_e32 v41, 30, v25
	v_xor_b32_e32 v32, s12, v40
	v_mov_b32_e32 v40, v23
	v_not_b32_e32 v39, v41
	v_cmp_gt_i64_e64 s[12:13], 0, v[40:41]
	v_ashrrev_i32_e32 v39, 31, v39
	v_and_b32_e32 v22, exec_hi, v22
	v_and_b32_e32 v32, exec_lo, v32
	v_xor_b32_e32 v40, s13, v39
	v_xor_b32_e32 v39, s12, v39
	v_lshlrev_b32_e32 v41, 29, v25
	v_and_b32_e32 v22, v22, v40
	v_and_b32_e32 v32, v32, v39
	v_mov_b32_e32 v40, v23
	v_not_b32_e32 v39, v41
	v_cmp_gt_i64_e64 s[12:13], 0, v[40:41]
	v_ashrrev_i32_e32 v39, 31, v39
	v_lshlrev_b32_e32 v41, 28, v25
	v_xor_b32_e32 v40, s13, v39
	v_xor_b32_e32 v39, s12, v39
	v_and_b32_e32 v22, v22, v40
	v_and_b32_e32 v32, v32, v39
	v_mov_b32_e32 v40, v23
	v_not_b32_e32 v39, v41
	v_cmp_gt_i64_e64 s[12:13], 0, v[40:41]
	v_ashrrev_i32_e32 v39, 31, v39
	v_lshlrev_b32_e32 v41, 27, v25
	v_xor_b32_e32 v40, s13, v39
	v_xor_b32_e32 v39, s12, v39
	v_and_b32_e32 v22, v22, v40
	v_and_b32_e32 v32, v32, v39
	v_mov_b32_e32 v40, v23
	v_not_b32_e32 v39, v41
	v_cmp_gt_i64_e64 s[12:13], 0, v[40:41]
	v_ashrrev_i32_e32 v39, 31, v39
	v_lshlrev_b32_e32 v41, 26, v25
	v_xor_b32_e32 v40, s13, v39
	v_and_b32_e32 v22, v22, v40
	v_mov_b32_e32 v40, v23
	v_not_b32_e32 v23, v41
	v_xor_b32_e32 v39, s12, v39
	v_cmp_gt_i64_e64 s[12:13], 0, v[40:41]
	v_ashrrev_i32_e32 v23, 31, v23
	v_and_b32_e32 v32, v32, v39
	v_xor_b32_e32 v25, s13, v23
	v_xor_b32_e32 v39, s12, v23
	ds_read_b32 v38, v24 offset:64
	v_and_b32_e32 v23, v22, v25
	v_and_b32_e32 v22, v32, v39
	v_mbcnt_lo_u32_b32 v25, v22, 0
	v_mbcnt_hi_u32_b32 v39, v23, v25
	v_cmp_eq_u32_e64 s[12:13], 0, v39
	v_cmp_ne_u64_e64 s[14:15], 0, v[22:23]
	s_and_b64 s[14:15], s[14:15], s[12:13]
	; wave barrier
	s_and_saveexec_b64 s[12:13], s[14:15]
	s_cbranch_execz .LBB120_25
; %bb.24:
	v_bcnt_u32_b32 v22, v22, 0
	v_bcnt_u32_b32 v22, v23, v22
	s_waitcnt lgkmcnt(0)
	v_add_u32_e32 v22, v38, v22
	ds_write_b32 v24, v22 offset:64
.LBB120_25:
	s_or_b64 exec, exec, s[12:13]
	; wave barrier
	s_waitcnt lgkmcnt(0)
	s_barrier
	ds_read_b64 v[22:23], v2 offset:64
	v_and_b32_e32 v25, 15, v9
	v_cmp_eq_u32_e64 s[12:13], 0, v25
	v_cmp_lt_u32_e64 s[14:15], 1, v25
	v_cmp_lt_u32_e64 s[16:17], 3, v25
	s_waitcnt lgkmcnt(0)
	v_add_u32_e32 v23, v23, v22
	v_cmp_lt_u32_e64 s[18:19], 7, v25
	v_cmp_lt_u32_e64 s[20:21], 31, v9
	v_mov_b32_dpp v32, v23 row_shr:1 row_mask:0xf bank_mask:0xf
	v_cndmask_b32_e64 v32, v32, 0, s[12:13]
	v_add_u32_e32 v23, v32, v23
	s_nop 1
	v_mov_b32_dpp v32, v23 row_shr:2 row_mask:0xf bank_mask:0xf
	v_cndmask_b32_e64 v32, 0, v32, s[14:15]
	v_add_u32_e32 v23, v23, v32
	s_nop 1
	;; [unrolled: 4-line block ×3, first 2 shown]
	v_mov_b32_dpp v32, v23 row_shr:8 row_mask:0xf bank_mask:0xf
	v_cndmask_b32_e64 v25, 0, v32, s[18:19]
	v_add_u32_e32 v23, v23, v25
	v_bfe_i32 v32, v9, 4, 1
	s_nop 0
	v_mov_b32_dpp v25, v23 row_bcast:15 row_mask:0xf bank_mask:0xf
	v_and_b32_e32 v25, v32, v25
	v_add_u32_e32 v23, v23, v25
	v_and_b32_e32 v32, 63, v8
	s_nop 0
	v_mov_b32_dpp v25, v23 row_bcast:31 row_mask:0xf bank_mask:0xf
	v_cndmask_b32_e64 v25, 0, v25, s[20:21]
	v_add_u32_e32 v23, v23, v25
	v_lshrrev_b32_e32 v25, 6, v8
	v_cmp_eq_u32_e64 s[20:21], 63, v32
	s_and_saveexec_b64 s[22:23], s[20:21]
; %bb.26:
	v_lshlrev_b32_e32 v32, 2, v25
	ds_write_b32 v32, v23
; %bb.27:
	s_or_b64 exec, exec, s[22:23]
	v_cmp_gt_u32_e64 s[20:21], 16, v8
	s_waitcnt lgkmcnt(0)
	s_barrier
	s_and_saveexec_b64 s[22:23], s[20:21]
	s_cbranch_execz .LBB120_29
; %bb.28:
	v_lshlrev_b32_e32 v32, 2, v8
	ds_read_b32 v40, v32
	s_waitcnt lgkmcnt(0)
	s_nop 0
	v_mov_b32_dpp v41, v40 row_shr:1 row_mask:0xf bank_mask:0xf
	v_cndmask_b32_e64 v41, v41, 0, s[12:13]
	v_add_u32_e32 v40, v41, v40
	s_nop 1
	v_mov_b32_dpp v41, v40 row_shr:2 row_mask:0xf bank_mask:0xf
	v_cndmask_b32_e64 v41, 0, v41, s[14:15]
	v_add_u32_e32 v40, v40, v41
	;; [unrolled: 4-line block ×4, first 2 shown]
	ds_write_b32 v32, v40
.LBB120_29:
	s_or_b64 exec, exec, s[22:23]
	v_cmp_gt_u32_e64 s[14:15], 64, v8
	v_cmp_lt_u32_e64 s[12:13], 63, v8
	v_mov_b32_e32 v32, 0
	s_waitcnt lgkmcnt(0)
	s_barrier
	s_and_saveexec_b64 s[16:17], s[12:13]
; %bb.30:
	v_lshl_add_u32 v25, v25, 2, -4
	ds_read_b32 v32, v25
; %bb.31:
	s_or_b64 exec, exec, s[16:17]
	v_add_u32_e32 v25, -1, v9
	v_and_b32_e32 v40, 64, v9
	v_cmp_lt_i32_e64 s[16:17], v25, v40
	s_waitcnt lgkmcnt(0)
	v_add_u32_e32 v23, v32, v23
	v_cndmask_b32_e64 v25, v25, v9, s[16:17]
	v_lshlrev_b32_e32 v25, 2, v25
	ds_bpermute_b32 v23, v25, v23
	v_cmp_eq_u32_e64 s[16:17], 0, v9
	s_waitcnt lgkmcnt(0)
	s_nop 0
	v_cndmask_b32_e64 v9, v23, v32, s[16:17]
	v_cmp_ne_u32_e64 s[16:17], 0, v8
	s_nop 1
	v_cndmask_b32_e64 v40, 0, v9, s[16:17]
	v_add_u32_e32 v41, v40, v22
	ds_write_b64 v2, v[40:41] offset:64
	s_waitcnt lgkmcnt(0)
	s_barrier
	ds_read_b32 v25, v7 offset:64
	ds_read_b32 v32, v26 offset:64
	ds_read_b32 v29, v29 offset:64
	ds_read_b32 v26, v33 offset:64
	ds_read_b32 v9, v36 offset:64
	ds_read_b32 v7, v24 offset:64
	v_mov_b64_e32 v[22:23], 0
                                        ; implicit-def: $vgpr24
	s_and_saveexec_b64 s[18:19], s[14:15]
	s_cbranch_execz .LBB120_35
; %bb.32:
	v_mul_u32_u24_e32 v22, 0x44, v8
	ds_read_b32 v22, v22 offset:64
	v_add_u32_e32 v24, 1, v8
	v_cmp_ne_u32_e64 s[16:17], 64, v24
	v_mov_b32_e32 v23, 0x1800
	s_and_saveexec_b64 s[20:21], s[16:17]
; %bb.33:
	v_mul_u32_u24_e32 v23, 0x44, v24
	ds_read_b32 v23, v23 offset:64
; %bb.34:
	s_or_b64 exec, exec, s[20:21]
	s_waitcnt lgkmcnt(0)
	v_sub_u32_e32 v24, v23, v22
	v_mov_b32_e32 v23, 0
.LBB120_35:
	s_or_b64 exec, exec, s[18:19]
	v_lshlrev_b32_e32 v3, 3, v3
	s_waitcnt lgkmcnt(5)
	v_lshl_add_u32 v25, v25, 3, v3
	s_waitcnt lgkmcnt(0)
	s_barrier
	ds_write_b64 v25, v[12:13] offset:512
	v_lshlrev_b32_e32 v3, 3, v32
	v_lshlrev_b32_e32 v12, 3, v27
	v_lshlrev_b32_e32 v5, 3, v5
	v_add3_u32 v32, v3, v12, v5
	ds_write_b64 v32, v[10:11] offset:512
	v_lshlrev_b32_e32 v3, 3, v29
	v_lshlrev_b32_e32 v5, 3, v30
	v_lshlrev_b32_e32 v10, 3, v28
	v_add3_u32 v33, v3, v5, v10
	v_lshlrev_b32_e32 v3, 3, v26
	v_lshlrev_b32_e32 v5, 3, v34
	v_lshlrev_b32_e32 v10, 3, v31
	v_add3_u32 v34, v3, v5, v10
	;; [unrolled: 4-line block ×4, first 2 shown]
	v_mov_b32_e32 v11, 0
	ds_write_b64 v33, v[16:17] offset:512
	ds_write_b64 v34, v[14:15] offset:512
	;; [unrolled: 1-line block ×4, first 2 shown]
	s_waitcnt lgkmcnt(0)
	s_barrier
	s_and_saveexec_b64 s[16:17], s[14:15]
	s_cbranch_execz .LBB120_45
; %bb.36:
	v_lshl_add_u32 v10, s2, 6, v8
	v_lshl_add_u64 v[12:13], v[10:11], 2, s[34:35]
	v_or_b32_e32 v3, 2.0, v24
	global_store_dword v[12:13], v3, off sc1
	s_mov_b64 s[18:19], 0
	s_brev_b32 s24, -4
	s_mov_b32 s25, s2
	v_mov_b32_e32 v3, 0
                                        ; implicit-def: $sgpr14_sgpr15
	s_branch .LBB120_39
.LBB120_37:                             ;   in Loop: Header=BB120_39 Depth=1
	s_or_b64 exec, exec, s[22:23]
.LBB120_38:                             ;   in Loop: Header=BB120_39 Depth=1
	s_or_b64 exec, exec, s[20:21]
	v_and_b32_e32 v7, 0x3fffffff, v5
	v_add_u32_e32 v3, v7, v3
	v_cmp_gt_i32_e64 s[14:15], -2.0, v5
	s_and_b64 s[20:21], exec, s[14:15]
	s_or_b64 s[18:19], s[20:21], s[18:19]
	s_andn2_b64 exec, exec, s[18:19]
	s_cbranch_execz .LBB120_44
.LBB120_39:                             ; =>This Loop Header: Depth=1
                                        ;     Child Loop BB120_42 Depth 2
	s_or_b64 s[14:15], s[14:15], exec
	s_cmp_eq_u32 s25, 0
	s_cbranch_scc1 .LBB120_43
; %bb.40:                               ;   in Loop: Header=BB120_39 Depth=1
	s_add_i32 s25, s25, -1
	v_lshl_or_b32 v10, s25, 6, v8
	v_lshl_add_u64 v[14:15], v[10:11], 2, s[34:35]
	global_load_dword v5, v[14:15], off sc1
	s_waitcnt vmcnt(0)
	v_cmp_gt_u32_e64 s[14:15], 2.0, v5
	s_and_saveexec_b64 s[20:21], s[14:15]
	s_cbranch_execz .LBB120_38
; %bb.41:                               ;   in Loop: Header=BB120_39 Depth=1
	s_mov_b64 s[22:23], 0
.LBB120_42:                             ;   Parent Loop BB120_39 Depth=1
                                        ; =>  This Inner Loop Header: Depth=2
	global_load_dword v5, v[14:15], off sc1
	s_waitcnt vmcnt(0)
	v_cmp_lt_u32_e64 s[14:15], s24, v5
	s_or_b64 s[22:23], s[14:15], s[22:23]
	s_andn2_b64 exec, exec, s[22:23]
	s_cbranch_execnz .LBB120_42
	s_branch .LBB120_37
.LBB120_43:                             ;   in Loop: Header=BB120_39 Depth=1
                                        ; implicit-def: $sgpr25
	s_and_b64 s[20:21], exec, s[14:15]
	s_or_b64 s[18:19], s[20:21], s[18:19]
	s_andn2_b64 exec, exec, s[18:19]
	s_cbranch_execnz .LBB120_39
.LBB120_44:
	s_or_b64 exec, exec, s[18:19]
	v_add_u32_e32 v5, v3, v24
	v_or_b32_e32 v5, 0x80000000, v5
	global_store_dword v[12:13], v5, off sc1
	global_load_dwordx2 v[10:11], v2, s[28:29]
	v_sub_co_u32_e64 v12, s[14:15], v3, v22
	s_nop 1
	v_subb_co_u32_e64 v13, s[14:15], 0, v23, s[14:15]
	s_waitcnt vmcnt(0)
	v_lshl_add_u64 v[10:11], v[12:13], 0, v[10:11]
	ds_write_b64 v2, v[10:11]
.LBB120_45:
	s_or_b64 exec, exec, s[16:17]
	v_cmp_gt_u32_e64 s[14:15], s49, v8
	s_waitcnt lgkmcnt(0)
	s_barrier
	s_and_saveexec_b64 s[16:17], s[14:15]
	s_cbranch_execz .LBB120_47
; %bb.46:
	ds_read_b64 v[10:11], v2 offset:512
	s_waitcnt lgkmcnt(0)
	v_lshrrev_b64 v[12:13], s44, v[10:11]
	v_and_b32_e32 v3, s33, v12
	v_lshlrev_b32_e32 v3, 3, v3
	ds_read_b64 v[12:13], v3
	v_mov_b32_e32 v3, 0
	v_xor_b32_e32 v11, 0x80000000, v11
	s_waitcnt lgkmcnt(0)
	v_lshl_add_u64 v[12:13], v[12:13], 3, s[38:39]
	v_lshl_add_u64 v[12:13], v[12:13], 0, v[2:3]
	global_store_dwordx2 v[12:13], v[10:11], off
.LBB120_47:
	s_or_b64 exec, exec, s[16:17]
	v_or_b32_e32 v3, 0x400, v8
	v_cmp_gt_u32_e64 s[16:17], s49, v3
	v_lshlrev_b32_e32 v10, 3, v3
	s_and_saveexec_b64 s[18:19], s[16:17]
	s_cbranch_execz .LBB120_49
; %bb.48:
	ds_read_b64 v[12:13], v2 offset:8704
	v_mov_b32_e32 v11, 0
	s_waitcnt lgkmcnt(0)
	v_lshrrev_b64 v[14:15], s44, v[12:13]
	v_and_b32_e32 v3, s33, v14
	v_lshlrev_b32_e32 v3, 3, v3
	ds_read_b64 v[14:15], v3
	v_xor_b32_e32 v13, 0x80000000, v13
	s_waitcnt lgkmcnt(0)
	v_lshl_add_u64 v[14:15], v[14:15], 3, s[38:39]
	v_lshl_add_u64 v[14:15], v[14:15], 0, v[10:11]
	global_store_dwordx2 v[14:15], v[12:13], off
.LBB120_49:
	s_or_b64 exec, exec, s[18:19]
	v_or_b32_e32 v3, 0x800, v8
	v_cmp_gt_u32_e64 s[18:19], s49, v3
	v_lshlrev_b32_e32 v12, 3, v3
	s_and_saveexec_b64 s[20:21], s[18:19]
	s_cbranch_execz .LBB120_51
; %bb.50:
	ds_read_b64 v[14:15], v2 offset:16896
	v_mov_b32_e32 v13, 0
	s_waitcnt lgkmcnt(0)
	v_lshrrev_b64 v[16:17], s44, v[14:15]
	v_and_b32_e32 v3, s33, v16
	v_lshlrev_b32_e32 v3, 3, v3
	ds_read_b64 v[16:17], v3
	v_xor_b32_e32 v15, 0x80000000, v15
	s_waitcnt lgkmcnt(0)
	v_lshl_add_u64 v[16:17], v[16:17], 3, s[38:39]
	v_lshl_add_u64 v[16:17], v[16:17], 0, v[12:13]
	global_store_dwordx2 v[16:17], v[14:15], off
.LBB120_51:
	;; [unrolled: 20-line block ×5, first 2 shown]
	s_or_b64 exec, exec, s[50:51]
	s_add_u32 s46, s40, s46
	s_addc_u32 s47, s41, s47
	v_mov_b32_e32 v5, 0
	v_lshl_add_u64 v[18:19], s[46:47], 0, v[4:5]
	v_mov_b32_e32 v7, v5
	v_lshl_add_u64 v[30:31], v[18:19], 0, v[6:7]
                                        ; implicit-def: $vgpr4_vgpr5
	s_and_saveexec_b64 s[46:47], vcc
	s_xor_b64 s[46:47], exec, s[46:47]
	s_cbranch_execz .LBB120_63
; %bb.58:
	global_load_dwordx2 v[4:5], v[30:31], off
	s_or_b64 exec, exec, s[46:47]
                                        ; implicit-def: $vgpr6_vgpr7
	s_and_saveexec_b64 s[46:47], s[26:27]
	s_cbranch_execnz .LBB120_64
.LBB120_59:
	s_or_b64 exec, exec, s[46:47]
                                        ; implicit-def: $vgpr18_vgpr19
	s_and_saveexec_b64 s[26:27], s[4:5]
	s_cbranch_execz .LBB120_65
.LBB120_60:
	global_load_dwordx2 v[18:19], v[30:31], off offset:1024
	s_or_b64 exec, exec, s[26:27]
                                        ; implicit-def: $vgpr20_vgpr21
	s_and_saveexec_b64 s[4:5], s[6:7]
	s_cbranch_execnz .LBB120_66
.LBB120_61:
	s_or_b64 exec, exec, s[4:5]
                                        ; implicit-def: $vgpr26_vgpr27
	s_and_saveexec_b64 s[4:5], s[8:9]
	s_cbranch_execz .LBB120_67
.LBB120_62:
	global_load_dwordx2 v[26:27], v[30:31], off offset:2048
	s_or_b64 exec, exec, s[4:5]
                                        ; implicit-def: $vgpr28_vgpr29
	s_and_saveexec_b64 s[4:5], s[10:11]
	s_cbranch_execnz .LBB120_68
	s_branch .LBB120_69
.LBB120_63:
	s_or_b64 exec, exec, s[46:47]
                                        ; implicit-def: $vgpr6_vgpr7
	s_and_saveexec_b64 s[46:47], s[26:27]
	s_cbranch_execz .LBB120_59
.LBB120_64:
	global_load_dwordx2 v[6:7], v[30:31], off offset:512
	s_or_b64 exec, exec, s[46:47]
                                        ; implicit-def: $vgpr18_vgpr19
	s_and_saveexec_b64 s[26:27], s[4:5]
	s_cbranch_execnz .LBB120_60
.LBB120_65:
	s_or_b64 exec, exec, s[26:27]
                                        ; implicit-def: $vgpr20_vgpr21
	s_and_saveexec_b64 s[4:5], s[6:7]
	s_cbranch_execz .LBB120_61
.LBB120_66:
	global_load_dwordx2 v[20:21], v[30:31], off offset:1536
	s_or_b64 exec, exec, s[4:5]
                                        ; implicit-def: $vgpr26_vgpr27
	s_and_saveexec_b64 s[4:5], s[8:9]
	s_cbranch_execnz .LBB120_62
.LBB120_67:
	s_or_b64 exec, exec, s[4:5]
                                        ; implicit-def: $vgpr28_vgpr29
	s_and_saveexec_b64 s[4:5], s[10:11]
	s_cbranch_execz .LBB120_69
.LBB120_68:
	global_load_dwordx2 v[28:29], v[30:31], off offset:2560
.LBB120_69:
	s_or_b64 exec, exec, s[4:5]
	v_mov_b32_e32 v11, 0
	v_mov_b32_e32 v3, 0
	s_and_saveexec_b64 s[4:5], s[14:15]
	s_cbranch_execz .LBB120_71
; %bb.70:
	ds_read_b64 v[30:31], v2 offset:512
	s_waitcnt lgkmcnt(0)
	v_lshrrev_b64 v[30:31], s44, v[30:31]
	v_and_b32_e32 v3, s33, v30
.LBB120_71:
	s_or_b64 exec, exec, s[4:5]
	s_and_saveexec_b64 s[4:5], s[16:17]
	s_cbranch_execz .LBB120_73
; %bb.72:
	ds_read_b64 v[30:31], v2 offset:8704
	s_waitcnt lgkmcnt(0)
	v_lshrrev_b64 v[30:31], s44, v[30:31]
	v_and_b32_e32 v11, s33, v30
.LBB120_73:
	s_or_b64 exec, exec, s[4:5]
	v_mov_b32_e32 v15, 0
	v_mov_b32_e32 v13, 0
	s_and_saveexec_b64 s[4:5], s[18:19]
	s_cbranch_execz .LBB120_75
; %bb.74:
	ds_read_b64 v[30:31], v2 offset:16896
	s_waitcnt lgkmcnt(0)
	v_lshrrev_b64 v[30:31], s44, v[30:31]
	v_and_b32_e32 v13, s33, v30
.LBB120_75:
	s_or_b64 exec, exec, s[4:5]
	s_and_saveexec_b64 s[4:5], s[20:21]
	s_cbranch_execz .LBB120_77
; %bb.76:
	ds_read_b64 v[30:31], v2 offset:25088
	s_waitcnt lgkmcnt(0)
	v_lshrrev_b64 v[30:31], s44, v[30:31]
	v_and_b32_e32 v15, s33, v30
.LBB120_77:
	;; [unrolled: 20-line block ×3, first 2 shown]
	s_or_b64 exec, exec, s[4:5]
	s_barrier
	s_waitcnt vmcnt(0)
	ds_write_b64 v25, v[4:5] offset:512
	ds_write_b64 v32, v[6:7] offset:512
	;; [unrolled: 1-line block ×6, first 2 shown]
	s_waitcnt lgkmcnt(0)
	s_barrier
	s_and_saveexec_b64 s[4:5], s[14:15]
	s_cbranch_execz .LBB120_87
; %bb.82:
	v_lshlrev_b32_e32 v3, 3, v3
	ds_read_b64 v[4:5], v3
	ds_read_b64 v[6:7], v2 offset:512
	v_mov_b32_e32 v3, 0
	s_waitcnt lgkmcnt(1)
	v_lshl_add_u64 v[4:5], v[4:5], 3, s[42:43]
	v_lshl_add_u64 v[4:5], v[4:5], 0, v[2:3]
	s_waitcnt lgkmcnt(0)
	global_store_dwordx2 v[4:5], v[6:7], off
	s_or_b64 exec, exec, s[4:5]
	s_and_saveexec_b64 s[4:5], s[16:17]
	s_cbranch_execnz .LBB120_88
.LBB120_83:
	s_or_b64 exec, exec, s[4:5]
	s_and_saveexec_b64 s[4:5], s[18:19]
	s_cbranch_execz .LBB120_89
.LBB120_84:
	v_lshlrev_b32_e32 v3, 3, v13
	ds_read_b64 v[4:5], v3
	ds_read_b64 v[6:7], v2 offset:16896
	v_mov_b32_e32 v13, 0
	s_waitcnt lgkmcnt(1)
	v_lshl_add_u64 v[4:5], v[4:5], 3, s[42:43]
	v_lshl_add_u64 v[4:5], v[4:5], 0, v[12:13]
	s_waitcnt lgkmcnt(0)
	global_store_dwordx2 v[4:5], v[6:7], off
	s_or_b64 exec, exec, s[4:5]
	s_and_saveexec_b64 s[4:5], s[20:21]
	s_cbranch_execnz .LBB120_90
.LBB120_85:
	s_or_b64 exec, exec, s[4:5]
	s_and_saveexec_b64 s[4:5], s[22:23]
	s_cbranch_execz .LBB120_91
.LBB120_86:
	v_lshlrev_b32_e32 v3, 3, v17
	ds_read_b64 v[4:5], v3
	ds_read_b64 v[6:7], v2 offset:33280
	v_mov_b32_e32 v17, 0
	s_waitcnt lgkmcnt(1)
	v_lshl_add_u64 v[4:5], v[4:5], 3, s[42:43]
	v_lshl_add_u64 v[4:5], v[4:5], 0, v[16:17]
	s_waitcnt lgkmcnt(0)
	global_store_dwordx2 v[4:5], v[6:7], off
	s_or_b64 exec, exec, s[4:5]
	s_and_saveexec_b64 s[4:5], s[24:25]
	s_cbranch_execnz .LBB120_92
	s_branch .LBB120_93
.LBB120_87:
	s_or_b64 exec, exec, s[4:5]
	s_and_saveexec_b64 s[4:5], s[16:17]
	s_cbranch_execz .LBB120_83
.LBB120_88:
	v_lshlrev_b32_e32 v3, 3, v11
	ds_read_b64 v[4:5], v3
	ds_read_b64 v[6:7], v2 offset:8704
	v_mov_b32_e32 v11, 0
	s_waitcnt lgkmcnt(1)
	v_lshl_add_u64 v[4:5], v[4:5], 3, s[42:43]
	v_lshl_add_u64 v[4:5], v[4:5], 0, v[10:11]
	s_waitcnt lgkmcnt(0)
	global_store_dwordx2 v[4:5], v[6:7], off
	s_or_b64 exec, exec, s[4:5]
	s_and_saveexec_b64 s[4:5], s[18:19]
	s_cbranch_execnz .LBB120_84
.LBB120_89:
	s_or_b64 exec, exec, s[4:5]
	s_and_saveexec_b64 s[4:5], s[20:21]
	s_cbranch_execz .LBB120_85
.LBB120_90:
	v_lshlrev_b32_e32 v3, 3, v15
	ds_read_b64 v[4:5], v3
	ds_read_b64 v[6:7], v2 offset:25088
	v_mov_b32_e32 v15, 0
	s_waitcnt lgkmcnt(1)
	v_lshl_add_u64 v[4:5], v[4:5], 3, s[42:43]
	v_lshl_add_u64 v[4:5], v[4:5], 0, v[14:15]
	s_waitcnt lgkmcnt(0)
	global_store_dwordx2 v[4:5], v[6:7], off
	s_or_b64 exec, exec, s[4:5]
	s_and_saveexec_b64 s[4:5], s[22:23]
	s_cbranch_execnz .LBB120_86
.LBB120_91:
	s_or_b64 exec, exec, s[4:5]
	s_and_saveexec_b64 s[4:5], s[24:25]
	s_cbranch_execz .LBB120_93
.LBB120_92:
	v_lshlrev_b32_e32 v3, 3, v9
	ds_read_b64 v[4:5], v3
	ds_read_b64 v[6:7], v2 offset:41472
	v_mov_b32_e32 v9, 0
	s_waitcnt lgkmcnt(1)
	v_lshl_add_u64 v[4:5], v[4:5], 3, s[42:43]
	v_lshl_add_u64 v[4:5], v[4:5], 0, v[8:9]
	s_waitcnt lgkmcnt(0)
	global_store_dwordx2 v[4:5], v[6:7], off
.LBB120_93:
	s_or_b64 exec, exec, s[4:5]
	s_add_i32 s3, s3, -1
	s_cmp_eq_u32 s2, s3
	s_cselect_b64 s[4:5], -1, 0
	s_xor_b64 s[6:7], s[12:13], -1
	s_and_b64 s[6:7], s[6:7], s[4:5]
	s_and_saveexec_b64 s[4:5], s[6:7]
	s_cbranch_execz .LBB120_95
; %bb.94:
	ds_read_b64 v[4:5], v2
	v_mov_b32_e32 v25, 0
	v_lshl_add_u64 v[6:7], v[22:23], 0, v[24:25]
	s_waitcnt lgkmcnt(0)
	v_lshl_add_u64 v[4:5], v[6:7], 0, v[4:5]
	global_store_dwordx2 v2, v[4:5], s[30:31]
.LBB120_95:
	s_or_b64 exec, exec, s[4:5]
	s_mov_b64 s[4:5], 0
.LBB120_96:
	s_and_b64 vcc, exec, s[4:5]
	s_cbranch_vccz .LBB120_131
; %bb.97:
	s_mov_b32 s49, 0
	s_lshl_b64 s[12:13], s[48:49], 3
	s_add_u32 s4, s36, s12
	v_mbcnt_hi_u32_b32 v1, -1, v1
	v_and_b32_e32 v2, 0x3c0, v0
	v_mov_b32_e32 v21, 0
	s_addc_u32 s5, s37, s13
	v_mul_u32_u24_e32 v4, 6, v2
	v_lshlrev_b32_e32 v2, 3, v1
	v_mov_b32_e32 v3, v21
	v_lshl_add_u64 v[6:7], s[4:5], 0, v[2:3]
	v_lshlrev_b32_e32 v4, 3, v4
	v_mov_b32_e32 v5, v21
	v_lshl_add_u64 v[22:23], v[6:7], 0, v[4:5]
	global_load_dwordx2 v[8:9], v[22:23], off
	s_load_dword s4, s[0:1], 0x5c
	s_load_dword s3, s[0:1], 0x50
	s_add_u32 s0, s0, 0x50
	s_addc_u32 s1, s1, 0
	v_and_b32_e32 v6, 0x3ff, v0
	s_waitcnt lgkmcnt(0)
	s_lshr_b32 s4, s4, 16
	s_cmp_lt_u32 s2, s3
	s_cselect_b32 s5, 12, 18
	s_add_u32 s0, s0, s5
	s_addc_u32 s1, s1, 0
	global_load_ushort v3, v21, s[0:1]
	global_load_dwordx2 v[18:19], v[22:23], off offset:512
	global_load_dwordx2 v[16:17], v[22:23], off offset:1024
	global_load_dwordx2 v[14:15], v[22:23], off offset:1536
	global_load_dwordx2 v[12:13], v[22:23], off offset:2048
	global_load_dwordx2 v[10:11], v[22:23], off offset:2560
	v_bfe_u32 v5, v0, 10, 10
	v_bfe_u32 v7, v0, 20, 10
	s_lshl_b32 s0, -1, s45
	v_lshlrev_b32_e32 v0, 3, v6
	v_mov_b32_e32 v20, v21
	v_mad_u32_u24 v5, v7, s4, v5
	ds_write_b64 v0, v[20:21] offset:64
	v_mov_b32_e32 v22, v21
	s_not_b32 s14, s0
	s_movk_i32 s15, 0x44
	v_mov_b32_e32 v24, v21
	v_mov_b32_e32 v26, v21
	;; [unrolled: 1-line block ×4, first 2 shown]
	s_waitcnt lgkmcnt(0)
	s_barrier
	s_waitcnt vmcnt(6)
	; wave barrier
	v_xor_b32_e32 v9, 0x80000000, v9
	v_lshrrev_b64 v[32:33], s44, v[8:9]
	v_bitop3_b32 v7, v32, s0, v32 bitop3:0x30
	v_and_b32_e32 v20, 1, v7
	v_lshlrev_b32_e32 v23, 30, v7
	v_lshlrev_b32_e32 v25, 29, v7
	v_lshl_add_u64 v[34:35], v[20:21], 0, -1
	v_cmp_ne_u32_e32 vcc, 0, v20
	v_lshlrev_b32_e32 v27, 28, v7
	v_mul_lo_u32 v36, v7, s15
	s_waitcnt vmcnt(5)
	v_mad_u64_u32 v[32:33], s[0:1], v5, v3, v[6:7]
	v_not_b32_e32 v3, v23
	v_cmp_gt_i64_e64 s[0:1], 0, v[22:23]
	v_not_b32_e32 v5, v25
	v_xor_b32_e32 v23, vcc_lo, v34
	v_ashrrev_i32_e32 v3, 31, v3
	v_lshlrev_b32_e32 v29, 27, v7
	v_lshlrev_b32_e32 v31, 26, v7
	v_cmp_gt_i64_e64 s[4:5], 0, v[24:25]
	v_not_b32_e32 v7, v27
	v_ashrrev_i32_e32 v24, 31, v5
	v_and_b32_e32 v23, exec_lo, v23
	v_xor_b32_e32 v25, s1, v3
	v_xor_b32_e32 v3, s0, v3
	v_cmp_gt_i64_e64 s[6:7], 0, v[26:27]
	v_not_b32_e32 v20, v29
	v_xor_b32_e32 v22, vcc_hi, v35
	v_ashrrev_i32_e32 v7, 31, v7
	v_xor_b32_e32 v26, s5, v24
	v_xor_b32_e32 v24, s4, v24
	v_and_b32_e32 v3, v23, v3
	v_cmp_gt_i64_e64 s[8:9], 0, v[28:29]
	v_ashrrev_i32_e32 v20, 31, v20
	v_and_b32_e32 v22, exec_hi, v22
	v_xor_b32_e32 v27, s7, v7
	v_xor_b32_e32 v7, s6, v7
	v_and_b32_e32 v3, v3, v24
	v_xor_b32_e32 v28, s9, v20
	v_xor_b32_e32 v20, s8, v20
	v_and_b32_e32 v22, v22, v25
	v_and_b32_e32 v3, v3, v7
	;; [unrolled: 1-line block ×4, first 2 shown]
	v_not_b32_e32 v20, v31
	v_cmp_gt_i64_e64 s[10:11], 0, v[30:31]
	v_and_b32_e32 v22, v22, v27
	v_ashrrev_i32_e32 v20, 31, v20
	v_and_b32_e32 v7, v22, v28
	v_xor_b32_e32 v22, s11, v20
	v_xor_b32_e32 v20, s10, v20
	v_and_b32_e32 v23, v7, v22
	v_and_b32_e32 v22, v3, v20
	v_mbcnt_lo_u32_b32 v3, v22, 0
	v_mbcnt_hi_u32_b32 v3, v23, v3
	v_lshrrev_b32_e32 v30, 6, v32
	v_cmp_eq_u32_e32 vcc, 0, v3
	v_cmp_ne_u64_e64 s[0:1], 0, v[22:23]
	v_lshl_add_u32 v5, v30, 2, v36
	s_and_b64 s[4:5], s[0:1], vcc
	s_and_saveexec_b64 s[0:1], s[4:5]
; %bb.98:
	v_bcnt_u32_b32 v7, v22, 0
	v_bcnt_u32_b32 v7, v23, v7
	ds_write_b32 v5, v7 offset:64
; %bb.99:
	s_or_b64 exec, exec, s[0:1]
	s_waitcnt vmcnt(4)
	v_xor_b32_e32 v19, 0x80000000, v19
	v_lshrrev_b64 v[22:23], s44, v[18:19]
	v_and_b32_e32 v25, s14, v22
	v_and_b32_e32 v20, 1, v25
	v_lshl_add_u64 v[22:23], v[20:21], 0, -1
	v_cmp_ne_u32_e32 vcc, 0, v20
	v_mul_lo_u32 v7, v25, s15
	v_lshl_add_u32 v24, v30, 2, v7
	v_xor_b32_e32 v22, vcc_lo, v22
	v_xor_b32_e32 v20, vcc_hi, v23
	v_and_b32_e32 v26, exec_lo, v22
	v_lshlrev_b32_e32 v23, 30, v25
	v_mov_b32_e32 v22, v21
	v_cmp_gt_i64_e32 vcc, 0, v[22:23]
	v_not_b32_e32 v22, v23
	v_ashrrev_i32_e32 v22, 31, v22
	v_and_b32_e32 v20, exec_hi, v20
	v_xor_b32_e32 v23, vcc_hi, v22
	v_xor_b32_e32 v22, vcc_lo, v22
	v_and_b32_e32 v20, v20, v23
	v_and_b32_e32 v26, v26, v22
	v_lshlrev_b32_e32 v23, 29, v25
	v_mov_b32_e32 v22, v21
	v_cmp_gt_i64_e32 vcc, 0, v[22:23]
	v_not_b32_e32 v22, v23
	v_ashrrev_i32_e32 v22, 31, v22
	v_xor_b32_e32 v23, vcc_hi, v22
	v_xor_b32_e32 v22, vcc_lo, v22
	v_and_b32_e32 v20, v20, v23
	v_and_b32_e32 v26, v26, v22
	v_lshlrev_b32_e32 v23, 28, v25
	v_mov_b32_e32 v22, v21
	v_cmp_gt_i64_e32 vcc, 0, v[22:23]
	v_not_b32_e32 v22, v23
	v_ashrrev_i32_e32 v22, 31, v22
	;; [unrolled: 9-line block ×3, first 2 shown]
	v_xor_b32_e32 v23, vcc_hi, v22
	v_xor_b32_e32 v22, vcc_lo, v22
	v_and_b32_e32 v20, v20, v23
	v_lshlrev_b32_e32 v23, 26, v25
	v_and_b32_e32 v26, v26, v22
	v_mov_b32_e32 v22, v21
	v_not_b32_e32 v21, v23
	v_cmp_gt_i64_e32 vcc, 0, v[22:23]
	v_ashrrev_i32_e32 v21, 31, v21
	s_nop 0
	v_xor_b32_e32 v22, vcc_hi, v21
	v_xor_b32_e32 v23, vcc_lo, v21
	; wave barrier
	ds_read_b32 v7, v24 offset:64
	v_and_b32_e32 v21, v20, v22
	v_and_b32_e32 v20, v26, v23
	v_mbcnt_lo_u32_b32 v22, v20, 0
	v_mbcnt_hi_u32_b32 v25, v21, v22
	v_cmp_eq_u32_e32 vcc, 0, v25
	v_cmp_ne_u64_e64 s[0:1], 0, v[20:21]
	s_and_b64 s[4:5], s[0:1], vcc
	; wave barrier
	s_and_saveexec_b64 s[0:1], s[4:5]
	s_cbranch_execz .LBB120_101
; %bb.100:
	v_bcnt_u32_b32 v20, v20, 0
	v_bcnt_u32_b32 v20, v21, v20
	s_waitcnt lgkmcnt(0)
	v_add_u32_e32 v20, v7, v20
	ds_write_b32 v24, v20 offset:64
.LBB120_101:
	s_or_b64 exec, exec, s[0:1]
	s_waitcnt vmcnt(3)
	v_xor_b32_e32 v17, 0x80000000, v17
	v_lshrrev_b64 v[20:21], s44, v[16:17]
	v_and_b32_e32 v28, s14, v20
	s_movk_i32 s4, 0x44
	v_mul_lo_u32 v20, v28, s4
	v_lshl_add_u32 v27, v30, 2, v20
	v_and_b32_e32 v20, 1, v28
	v_mov_b32_e32 v21, 0
	v_lshl_add_u64 v[22:23], v[20:21], 0, -1
	v_cmp_ne_u32_e32 vcc, 0, v20
	; wave barrier
	s_nop 1
	v_xor_b32_e32 v22, vcc_lo, v22
	v_xor_b32_e32 v20, vcc_hi, v23
	v_and_b32_e32 v29, exec_lo, v22
	v_lshlrev_b32_e32 v23, 30, v28
	v_mov_b32_e32 v22, v21
	v_cmp_gt_i64_e32 vcc, 0, v[22:23]
	v_not_b32_e32 v22, v23
	v_ashrrev_i32_e32 v22, 31, v22
	v_and_b32_e32 v20, exec_hi, v20
	v_xor_b32_e32 v23, vcc_hi, v22
	v_xor_b32_e32 v22, vcc_lo, v22
	v_and_b32_e32 v20, v20, v23
	v_and_b32_e32 v29, v29, v22
	v_lshlrev_b32_e32 v23, 29, v28
	v_mov_b32_e32 v22, v21
	v_cmp_gt_i64_e32 vcc, 0, v[22:23]
	v_not_b32_e32 v22, v23
	v_ashrrev_i32_e32 v22, 31, v22
	v_xor_b32_e32 v23, vcc_hi, v22
	v_xor_b32_e32 v22, vcc_lo, v22
	v_and_b32_e32 v20, v20, v23
	v_and_b32_e32 v29, v29, v22
	v_lshlrev_b32_e32 v23, 28, v28
	v_mov_b32_e32 v22, v21
	v_cmp_gt_i64_e32 vcc, 0, v[22:23]
	v_not_b32_e32 v22, v23
	v_ashrrev_i32_e32 v22, 31, v22
	;; [unrolled: 9-line block ×4, first 2 shown]
	v_xor_b32_e32 v23, vcc_hi, v22
	v_xor_b32_e32 v22, vcc_lo, v22
	ds_read_b32 v26, v27 offset:64
	v_and_b32_e32 v22, v29, v22
	v_and_b32_e32 v23, v20, v23
	v_mbcnt_lo_u32_b32 v20, v22, 0
	v_mbcnt_hi_u32_b32 v28, v23, v20
	v_cmp_eq_u32_e32 vcc, 0, v28
	v_cmp_ne_u64_e64 s[0:1], 0, v[22:23]
	s_and_b64 s[6:7], s[0:1], vcc
	; wave barrier
	s_and_saveexec_b64 s[0:1], s[6:7]
	s_cbranch_execz .LBB120_103
; %bb.102:
	v_bcnt_u32_b32 v20, v22, 0
	v_bcnt_u32_b32 v20, v23, v20
	s_waitcnt lgkmcnt(0)
	v_add_u32_e32 v20, v26, v20
	ds_write_b32 v27, v20 offset:64
.LBB120_103:
	s_or_b64 exec, exec, s[0:1]
	s_waitcnt vmcnt(2)
	v_xor_b32_e32 v15, 0x80000000, v15
	v_lshrrev_b64 v[22:23], s44, v[14:15]
	v_and_b32_e32 v32, s14, v22
	v_mul_lo_u32 v20, v32, s4
	v_lshl_add_u32 v31, v30, 2, v20
	v_and_b32_e32 v20, 1, v32
	v_lshl_add_u64 v[22:23], v[20:21], 0, -1
	v_cmp_ne_u32_e32 vcc, 0, v20
	; wave barrier
	s_nop 1
	v_xor_b32_e32 v22, vcc_lo, v22
	v_xor_b32_e32 v20, vcc_hi, v23
	v_and_b32_e32 v33, exec_lo, v22
	v_lshlrev_b32_e32 v23, 30, v32
	v_mov_b32_e32 v22, v21
	v_cmp_gt_i64_e32 vcc, 0, v[22:23]
	v_not_b32_e32 v22, v23
	v_ashrrev_i32_e32 v22, 31, v22
	v_and_b32_e32 v20, exec_hi, v20
	v_xor_b32_e32 v23, vcc_hi, v22
	v_xor_b32_e32 v22, vcc_lo, v22
	v_and_b32_e32 v20, v20, v23
	v_and_b32_e32 v33, v33, v22
	v_lshlrev_b32_e32 v23, 29, v32
	v_mov_b32_e32 v22, v21
	v_cmp_gt_i64_e32 vcc, 0, v[22:23]
	v_not_b32_e32 v22, v23
	v_ashrrev_i32_e32 v22, 31, v22
	v_xor_b32_e32 v23, vcc_hi, v22
	v_xor_b32_e32 v22, vcc_lo, v22
	v_and_b32_e32 v20, v20, v23
	v_and_b32_e32 v33, v33, v22
	v_lshlrev_b32_e32 v23, 28, v32
	v_mov_b32_e32 v22, v21
	v_cmp_gt_i64_e32 vcc, 0, v[22:23]
	v_not_b32_e32 v22, v23
	v_ashrrev_i32_e32 v22, 31, v22
	;; [unrolled: 9-line block ×3, first 2 shown]
	v_xor_b32_e32 v23, vcc_hi, v22
	v_xor_b32_e32 v22, vcc_lo, v22
	v_and_b32_e32 v20, v20, v23
	v_lshlrev_b32_e32 v23, 26, v32
	v_and_b32_e32 v33, v33, v22
	v_mov_b32_e32 v22, v21
	v_not_b32_e32 v21, v23
	v_cmp_gt_i64_e32 vcc, 0, v[22:23]
	v_ashrrev_i32_e32 v21, 31, v21
	ds_read_b32 v29, v31 offset:64
	v_xor_b32_e32 v22, vcc_hi, v21
	v_xor_b32_e32 v23, vcc_lo, v21
	v_and_b32_e32 v21, v20, v22
	v_and_b32_e32 v20, v33, v23
	v_mbcnt_lo_u32_b32 v22, v20, 0
	v_mbcnt_hi_u32_b32 v32, v21, v22
	v_cmp_eq_u32_e32 vcc, 0, v32
	v_cmp_ne_u64_e64 s[0:1], 0, v[20:21]
	s_and_b64 s[4:5], s[0:1], vcc
	; wave barrier
	s_and_saveexec_b64 s[0:1], s[4:5]
	s_cbranch_execz .LBB120_105
; %bb.104:
	v_bcnt_u32_b32 v20, v20, 0
	v_bcnt_u32_b32 v20, v21, v20
	s_waitcnt lgkmcnt(0)
	v_add_u32_e32 v20, v29, v20
	ds_write_b32 v31, v20 offset:64
.LBB120_105:
	s_or_b64 exec, exec, s[0:1]
	s_waitcnt vmcnt(1)
	v_xor_b32_e32 v13, 0x80000000, v13
	v_lshrrev_b64 v[20:21], s44, v[12:13]
	v_and_b32_e32 v35, s14, v20
	s_movk_i32 s4, 0x44
	v_mul_lo_u32 v20, v35, s4
	v_lshl_add_u32 v34, v30, 2, v20
	v_and_b32_e32 v20, 1, v35
	v_mov_b32_e32 v21, 0
	v_lshl_add_u64 v[22:23], v[20:21], 0, -1
	v_cmp_ne_u32_e32 vcc, 0, v20
	; wave barrier
	s_nop 1
	v_xor_b32_e32 v22, vcc_lo, v22
	v_xor_b32_e32 v20, vcc_hi, v23
	v_and_b32_e32 v36, exec_lo, v22
	v_lshlrev_b32_e32 v23, 30, v35
	v_mov_b32_e32 v22, v21
	v_cmp_gt_i64_e32 vcc, 0, v[22:23]
	v_not_b32_e32 v22, v23
	v_ashrrev_i32_e32 v22, 31, v22
	v_and_b32_e32 v20, exec_hi, v20
	v_xor_b32_e32 v23, vcc_hi, v22
	v_xor_b32_e32 v22, vcc_lo, v22
	v_and_b32_e32 v20, v20, v23
	v_and_b32_e32 v36, v36, v22
	v_lshlrev_b32_e32 v23, 29, v35
	v_mov_b32_e32 v22, v21
	v_cmp_gt_i64_e32 vcc, 0, v[22:23]
	v_not_b32_e32 v22, v23
	v_ashrrev_i32_e32 v22, 31, v22
	v_xor_b32_e32 v23, vcc_hi, v22
	v_xor_b32_e32 v22, vcc_lo, v22
	v_and_b32_e32 v20, v20, v23
	v_and_b32_e32 v36, v36, v22
	v_lshlrev_b32_e32 v23, 28, v35
	v_mov_b32_e32 v22, v21
	v_cmp_gt_i64_e32 vcc, 0, v[22:23]
	v_not_b32_e32 v22, v23
	v_ashrrev_i32_e32 v22, 31, v22
	;; [unrolled: 9-line block ×4, first 2 shown]
	v_xor_b32_e32 v23, vcc_hi, v22
	v_xor_b32_e32 v22, vcc_lo, v22
	ds_read_b32 v33, v34 offset:64
	v_and_b32_e32 v22, v36, v22
	v_and_b32_e32 v23, v20, v23
	v_mbcnt_lo_u32_b32 v20, v22, 0
	v_mbcnt_hi_u32_b32 v35, v23, v20
	v_cmp_eq_u32_e32 vcc, 0, v35
	v_cmp_ne_u64_e64 s[0:1], 0, v[22:23]
	s_and_b64 s[6:7], s[0:1], vcc
	; wave barrier
	s_and_saveexec_b64 s[0:1], s[6:7]
	s_cbranch_execz .LBB120_107
; %bb.106:
	v_bcnt_u32_b32 v20, v22, 0
	v_bcnt_u32_b32 v20, v23, v20
	s_waitcnt lgkmcnt(0)
	v_add_u32_e32 v20, v33, v20
	ds_write_b32 v34, v20 offset:64
.LBB120_107:
	s_or_b64 exec, exec, s[0:1]
	s_waitcnt vmcnt(0)
	v_xor_b32_e32 v11, 0x80000000, v11
	v_lshrrev_b64 v[22:23], s44, v[10:11]
	v_and_b32_e32 v23, s14, v22
	v_mul_lo_u32 v20, v23, s4
	v_lshl_add_u32 v22, v30, 2, v20
	v_and_b32_e32 v20, 1, v23
	v_lshl_add_u64 v[36:37], v[20:21], 0, -1
	v_cmp_ne_u32_e32 vcc, 0, v20
	; wave barrier
	s_nop 1
	v_xor_b32_e32 v36, vcc_lo, v36
	v_xor_b32_e32 v20, vcc_hi, v37
	v_and_b32_e32 v38, exec_lo, v36
	v_lshlrev_b32_e32 v37, 30, v23
	v_mov_b32_e32 v36, v21
	v_cmp_gt_i64_e32 vcc, 0, v[36:37]
	v_not_b32_e32 v36, v37
	v_ashrrev_i32_e32 v36, 31, v36
	v_and_b32_e32 v20, exec_hi, v20
	v_xor_b32_e32 v37, vcc_hi, v36
	v_xor_b32_e32 v36, vcc_lo, v36
	v_and_b32_e32 v20, v20, v37
	v_and_b32_e32 v38, v38, v36
	v_lshlrev_b32_e32 v37, 29, v23
	v_mov_b32_e32 v36, v21
	v_cmp_gt_i64_e32 vcc, 0, v[36:37]
	v_not_b32_e32 v36, v37
	v_ashrrev_i32_e32 v36, 31, v36
	v_xor_b32_e32 v37, vcc_hi, v36
	v_xor_b32_e32 v36, vcc_lo, v36
	v_and_b32_e32 v20, v20, v37
	v_and_b32_e32 v38, v38, v36
	v_lshlrev_b32_e32 v37, 28, v23
	v_mov_b32_e32 v36, v21
	v_cmp_gt_i64_e32 vcc, 0, v[36:37]
	v_not_b32_e32 v36, v37
	v_ashrrev_i32_e32 v36, 31, v36
	;; [unrolled: 9-line block ×3, first 2 shown]
	v_xor_b32_e32 v37, vcc_hi, v36
	v_xor_b32_e32 v36, vcc_lo, v36
	v_and_b32_e32 v20, v20, v37
	v_lshlrev_b32_e32 v37, 26, v23
	v_and_b32_e32 v38, v38, v36
	v_mov_b32_e32 v36, v21
	v_not_b32_e32 v21, v37
	v_cmp_gt_i64_e32 vcc, 0, v[36:37]
	v_ashrrev_i32_e32 v21, 31, v21
	ds_read_b32 v30, v22 offset:64
	v_xor_b32_e32 v23, vcc_hi, v21
	v_xor_b32_e32 v36, vcc_lo, v21
	v_and_b32_e32 v21, v20, v23
	v_and_b32_e32 v20, v38, v36
	v_mbcnt_lo_u32_b32 v23, v20, 0
	v_mbcnt_hi_u32_b32 v36, v21, v23
	v_cmp_eq_u32_e32 vcc, 0, v36
	v_cmp_ne_u64_e64 s[0:1], 0, v[20:21]
	s_and_b64 s[4:5], s[0:1], vcc
	; wave barrier
	s_and_saveexec_b64 s[0:1], s[4:5]
	s_cbranch_execz .LBB120_109
; %bb.108:
	v_bcnt_u32_b32 v20, v20, 0
	v_bcnt_u32_b32 v20, v21, v20
	s_waitcnt lgkmcnt(0)
	v_add_u32_e32 v20, v30, v20
	ds_write_b32 v22, v20 offset:64
.LBB120_109:
	s_or_b64 exec, exec, s[0:1]
	; wave barrier
	s_waitcnt lgkmcnt(0)
	s_barrier
	ds_read_b64 v[20:21], v0 offset:64
	v_and_b32_e32 v23, 15, v1
	v_cmp_eq_u32_e32 vcc, 0, v23
	v_cmp_lt_u32_e64 s[0:1], 1, v23
	v_cmp_lt_u32_e64 s[6:7], 3, v23
	s_waitcnt lgkmcnt(0)
	v_add_u32_e32 v21, v21, v20
	v_cmp_lt_u32_e64 s[4:5], 7, v23
	v_cmp_lt_u32_e64 s[8:9], 31, v1
	v_mov_b32_dpp v37, v21 row_shr:1 row_mask:0xf bank_mask:0xf
	v_cndmask_b32_e64 v37, v37, 0, vcc
	v_add_u32_e32 v21, v37, v21
	s_nop 1
	v_mov_b32_dpp v37, v21 row_shr:2 row_mask:0xf bank_mask:0xf
	v_cndmask_b32_e64 v37, 0, v37, s[0:1]
	v_add_u32_e32 v21, v21, v37
	s_nop 1
	v_mov_b32_dpp v37, v21 row_shr:4 row_mask:0xf bank_mask:0xf
	v_cndmask_b32_e64 v37, 0, v37, s[6:7]
	;; [unrolled: 4-line block ×3, first 2 shown]
	v_add_u32_e32 v21, v21, v23
	v_bfe_i32 v37, v1, 4, 1
	s_nop 0
	v_mov_b32_dpp v23, v21 row_bcast:15 row_mask:0xf bank_mask:0xf
	v_and_b32_e32 v23, v37, v23
	v_add_u32_e32 v21, v21, v23
	v_and_b32_e32 v37, 63, v6
	s_nop 0
	v_mov_b32_dpp v23, v21 row_bcast:31 row_mask:0xf bank_mask:0xf
	v_cndmask_b32_e64 v23, 0, v23, s[8:9]
	v_add_u32_e32 v21, v21, v23
	v_lshrrev_b32_e32 v23, 6, v6
	v_cmp_eq_u32_e64 s[8:9], 63, v37
	s_and_saveexec_b64 s[10:11], s[8:9]
; %bb.110:
	v_lshlrev_b32_e32 v37, 2, v23
	ds_write_b32 v37, v21
; %bb.111:
	s_or_b64 exec, exec, s[10:11]
	v_cmp_gt_u32_e64 s[8:9], 16, v6
	s_waitcnt lgkmcnt(0)
	s_barrier
	s_and_saveexec_b64 s[10:11], s[8:9]
	s_cbranch_execz .LBB120_113
; %bb.112:
	v_lshlrev_b32_e32 v37, 2, v6
	ds_read_b32 v38, v37
	s_waitcnt lgkmcnt(0)
	s_nop 0
	v_mov_b32_dpp v39, v38 row_shr:1 row_mask:0xf bank_mask:0xf
	v_cndmask_b32_e64 v39, v39, 0, vcc
	v_add_u32_e32 v38, v39, v38
	s_nop 1
	v_mov_b32_dpp v39, v38 row_shr:2 row_mask:0xf bank_mask:0xf
	v_cndmask_b32_e64 v39, 0, v39, s[0:1]
	v_add_u32_e32 v38, v38, v39
	s_nop 1
	v_mov_b32_dpp v39, v38 row_shr:4 row_mask:0xf bank_mask:0xf
	v_cndmask_b32_e64 v39, 0, v39, s[6:7]
	;; [unrolled: 4-line block ×3, first 2 shown]
	v_add_u32_e32 v38, v38, v39
	ds_write_b32 v37, v38
.LBB120_113:
	s_or_b64 exec, exec, s[10:11]
	v_cmp_gt_u32_e64 s[0:1], 64, v6
	v_cmp_lt_u32_e32 vcc, 63, v6
	v_mov_b32_e32 v37, 0
	s_waitcnt lgkmcnt(0)
	s_barrier
	s_and_saveexec_b64 s[4:5], vcc
; %bb.114:
	v_lshl_add_u32 v23, v23, 2, -4
	ds_read_b32 v37, v23
; %bb.115:
	s_or_b64 exec, exec, s[4:5]
	v_add_u32_e32 v23, -1, v1
	v_and_b32_e32 v38, 64, v1
	v_cmp_lt_i32_e64 s[4:5], v23, v38
	s_waitcnt lgkmcnt(0)
	v_add_u32_e32 v21, v37, v21
	v_cndmask_b32_e64 v23, v23, v1, s[4:5]
	v_lshlrev_b32_e32 v23, 2, v23
	ds_bpermute_b32 v21, v23, v21
	v_cmp_eq_u32_e64 s[4:5], 0, v1
	s_waitcnt lgkmcnt(0)
	s_nop 0
	v_cndmask_b32_e64 v1, v21, v37, s[4:5]
	v_cmp_ne_u32_e64 s[4:5], 0, v6
	s_nop 1
	v_cndmask_b32_e64 v38, 0, v1, s[4:5]
	v_add_u32_e32 v39, v38, v20
	ds_write_b64 v0, v[38:39] offset:64
	s_waitcnt lgkmcnt(0)
	s_barrier
	ds_read_b32 v23, v5 offset:64
	ds_read_b32 v37, v24 offset:64
	;; [unrolled: 1-line block ×6, first 2 shown]
	v_mov_b64_e32 v[20:21], 0
                                        ; implicit-def: $vgpr22
	s_and_saveexec_b64 s[6:7], s[0:1]
	s_cbranch_execz .LBB120_119
; %bb.116:
	v_mul_u32_u24_e32 v20, 0x44, v6
	ds_read_b32 v20, v20 offset:64
	v_add_u32_e32 v22, 1, v6
	v_cmp_ne_u32_e64 s[4:5], 64, v22
	v_mov_b32_e32 v21, 0x1800
	s_and_saveexec_b64 s[8:9], s[4:5]
; %bb.117:
	v_mul_u32_u24_e32 v21, 0x44, v22
	ds_read_b32 v21, v21 offset:64
; %bb.118:
	s_or_b64 exec, exec, s[8:9]
	s_waitcnt lgkmcnt(0)
	v_sub_u32_e32 v22, v21, v20
	v_mov_b32_e32 v21, 0
.LBB120_119:
	s_or_b64 exec, exec, s[6:7]
	v_lshlrev_b32_e32 v3, 3, v3
	s_waitcnt lgkmcnt(5)
	v_lshl_add_u32 v23, v23, 3, v3
	s_waitcnt lgkmcnt(0)
	s_barrier
	ds_write_b64 v23, v[8:9] offset:512
	v_lshlrev_b32_e32 v3, 3, v25
	v_lshlrev_b32_e32 v7, 3, v7
	v_lshlrev_b32_e32 v8, 3, v37
	v_add3_u32 v7, v3, v7, v8
	v_lshlrev_b32_e32 v3, 3, v28
	v_lshlrev_b32_e32 v8, 3, v26
	v_lshlrev_b32_e32 v9, 3, v27
	ds_write_b64 v7, v[18:19] offset:512
	v_add3_u32 v18, v3, v8, v9
	v_lshlrev_b32_e32 v3, 3, v32
	v_lshlrev_b32_e32 v8, 3, v29
	v_lshlrev_b32_e32 v9, 3, v24
	ds_write_b64 v18, v[16:17] offset:512
	;; [unrolled: 5-line block ×3, first 2 shown]
	v_add3_u32 v14, v3, v8, v5
	v_lshlrev_b32_e32 v3, 3, v36
	v_lshlrev_b32_e32 v5, 3, v30
	;; [unrolled: 1-line block ×3, first 2 shown]
	v_add3_u32 v15, v3, v5, v1
	v_mov_b32_e32 v9, 0
	ds_write_b64 v14, v[12:13] offset:512
	ds_write_b64 v15, v[10:11] offset:512
	s_waitcnt lgkmcnt(0)
	s_barrier
	s_and_saveexec_b64 s[4:5], s[0:1]
	s_cbranch_execz .LBB120_129
; %bb.120:
	v_lshl_add_u32 v8, s2, 6, v6
	v_lshl_add_u64 v[10:11], v[8:9], 2, s[34:35]
	v_or_b32_e32 v1, 2.0, v22
	global_store_dword v[10:11], v1, off sc1
	s_mov_b64 s[6:7], 0
	s_brev_b32 s15, -4
	s_mov_b32 s16, s2
	v_mov_b32_e32 v1, 0
                                        ; implicit-def: $sgpr0_sgpr1
	s_branch .LBB120_123
.LBB120_121:                            ;   in Loop: Header=BB120_123 Depth=1
	s_or_b64 exec, exec, s[10:11]
.LBB120_122:                            ;   in Loop: Header=BB120_123 Depth=1
	s_or_b64 exec, exec, s[8:9]
	v_and_b32_e32 v5, 0x3fffffff, v3
	v_add_u32_e32 v1, v5, v1
	v_cmp_gt_i32_e64 s[0:1], -2.0, v3
	s_and_b64 s[8:9], exec, s[0:1]
	s_or_b64 s[6:7], s[8:9], s[6:7]
	s_andn2_b64 exec, exec, s[6:7]
	s_cbranch_execz .LBB120_128
.LBB120_123:                            ; =>This Loop Header: Depth=1
                                        ;     Child Loop BB120_126 Depth 2
	s_or_b64 s[0:1], s[0:1], exec
	s_cmp_eq_u32 s16, 0
	s_cbranch_scc1 .LBB120_127
; %bb.124:                              ;   in Loop: Header=BB120_123 Depth=1
	s_add_i32 s16, s16, -1
	v_lshl_or_b32 v8, s16, 6, v6
	v_lshl_add_u64 v[12:13], v[8:9], 2, s[34:35]
	global_load_dword v3, v[12:13], off sc1
	s_waitcnt vmcnt(0)
	v_cmp_gt_u32_e64 s[0:1], 2.0, v3
	s_and_saveexec_b64 s[8:9], s[0:1]
	s_cbranch_execz .LBB120_122
; %bb.125:                              ;   in Loop: Header=BB120_123 Depth=1
	s_mov_b64 s[10:11], 0
.LBB120_126:                            ;   Parent Loop BB120_123 Depth=1
                                        ; =>  This Inner Loop Header: Depth=2
	global_load_dword v3, v[12:13], off sc1
	s_waitcnt vmcnt(0)
	v_cmp_lt_u32_e64 s[0:1], s15, v3
	s_or_b64 s[10:11], s[0:1], s[10:11]
	s_andn2_b64 exec, exec, s[10:11]
	s_cbranch_execnz .LBB120_126
	s_branch .LBB120_121
.LBB120_127:                            ;   in Loop: Header=BB120_123 Depth=1
                                        ; implicit-def: $sgpr16
	s_and_b64 s[8:9], exec, s[0:1]
	s_or_b64 s[6:7], s[8:9], s[6:7]
	s_andn2_b64 exec, exec, s[6:7]
	s_cbranch_execnz .LBB120_123
.LBB120_128:
	s_or_b64 exec, exec, s[6:7]
	v_add_u32_e32 v3, v1, v22
	v_or_b32_e32 v3, 0x80000000, v3
	global_store_dword v[10:11], v3, off sc1
	global_load_dwordx2 v[8:9], v0, s[28:29]
	v_sub_co_u32_e64 v10, s[0:1], v1, v20
	s_nop 1
	v_subb_co_u32_e64 v11, s[0:1], 0, v21, s[0:1]
	s_waitcnt vmcnt(0)
	v_lshl_add_u64 v[8:9], v[10:11], 0, v[8:9]
	ds_write_b64 v0, v[8:9]
.LBB120_129:
	s_or_b64 exec, exec, s[4:5]
	s_waitcnt lgkmcnt(0)
	s_barrier
	ds_read2st64_b64 v[8:11], v0 offset0:1 offset1:17
	s_add_u32 s0, s40, s12
	s_addc_u32 s1, s41, s13
	s_add_i32 s3, s3, -1
	s_cmp_eq_u32 s2, s3
	s_waitcnt lgkmcnt(0)
	v_lshrrev_b64 v[12:13], s44, v[8:9]
	v_and_b32_e32 v1, s14, v12
	v_lshlrev_b32_e32 v6, 3, v1
	ds_read2st64_b64 v[24:27], v0 offset0:33 offset1:49
	ds_read_b64 v[12:13], v6
	v_lshrrev_b64 v[28:29], s44, v[10:11]
	v_and_b32_e32 v1, s14, v28
	v_lshlrev_b32_e32 v17, 3, v1
	s_waitcnt lgkmcnt(1)
	v_lshrrev_b64 v[28:29], s44, v[24:25]
	v_and_b32_e32 v1, s14, v28
	v_lshrrev_b64 v[28:29], s44, v[26:27]
	v_lshlrev_b32_e32 v19, 3, v1
	v_and_b32_e32 v1, s14, v28
	v_lshlrev_b32_e32 v38, 3, v1
	ds_read_b64 v[28:29], v17
	ds_read_b64 v[30:31], v19
	;; [unrolled: 1-line block ×3, first 2 shown]
	s_waitcnt lgkmcnt(3)
	v_lshl_add_u64 v[12:13], v[12:13], 3, s[38:39]
	v_mov_b32_e32 v1, 0
	v_xor_b32_e32 v9, 0x80000000, v9
	v_lshl_add_u64 v[12:13], v[12:13], 0, v[0:1]
	global_store_dwordx2 v[12:13], v[8:9], off
	s_waitcnt lgkmcnt(2)
	v_lshl_add_u64 v[8:9], v[28:29], 3, s[38:39]
	v_or_b32_e32 v12, 0x2000, v0
	v_mov_b32_e32 v13, v1
	v_xor_b32_e32 v11, 0x80000000, v11
	v_lshl_add_u64 v[8:9], v[8:9], 0, v[12:13]
	global_store_dwordx2 v[8:9], v[10:11], off
	s_waitcnt lgkmcnt(1)
	v_lshl_add_u64 v[8:9], v[30:31], 3, s[38:39]
	v_or_b32_e32 v28, 0x4000, v0
	v_mov_b32_e32 v29, v1
	v_xor_b32_e32 v25, 0x80000000, v25
	v_lshl_add_u64 v[8:9], v[8:9], 0, v[28:29]
	global_store_dwordx2 v[8:9], v[24:25], off
	ds_read2st64_b64 v[8:11], v0 offset0:65 offset1:81
	s_waitcnt lgkmcnt(1)
	v_lshl_add_u64 v[24:25], v[32:33], 3, s[38:39]
	v_or_b32_e32 v30, 0x6000, v0
	v_mov_b32_e32 v31, v1
	v_xor_b32_e32 v27, 0x80000000, v27
	v_lshl_add_u64 v[24:25], v[24:25], 0, v[30:31]
	global_store_dwordx2 v[24:25], v[26:27], off
	s_waitcnt lgkmcnt(0)
	v_lshrrev_b64 v[24:25], s44, v[8:9]
	v_and_b32_e32 v3, s14, v24
	v_lshlrev_b32_e32 v39, 3, v3
	v_lshrrev_b64 v[26:27], s44, v[10:11]
	ds_read_b64 v[24:25], v39
	v_and_b32_e32 v3, s14, v26
	v_lshlrev_b32_e32 v40, 3, v3
	ds_read_b64 v[26:27], v40
	v_or_b32_e32 v32, 0x8000, v0
	s_waitcnt lgkmcnt(1)
	v_lshl_add_u64 v[24:25], v[24:25], 3, s[38:39]
	v_mov_b32_e32 v33, v1
	v_xor_b32_e32 v9, 0x80000000, v9
	v_lshl_add_u64 v[24:25], v[24:25], 0, v[32:33]
	global_store_dwordx2 v[24:25], v[8:9], off
	s_waitcnt lgkmcnt(0)
	v_lshl_add_u64 v[8:9], v[26:27], 3, s[38:39]
	v_or_b32_e32 v24, 0xa000, v0
	v_mov_b32_e32 v25, v1
	v_mov_b32_e32 v3, v1
	v_xor_b32_e32 v11, 0x80000000, v11
	v_lshl_add_u64 v[8:9], v[8:9], 0, v[24:25]
	v_lshl_add_u64 v[2:3], s[0:1], 0, v[2:3]
	v_mov_b32_e32 v5, v1
	global_store_dwordx2 v[8:9], v[10:11], off
	v_lshl_add_u64 v[2:3], v[2:3], 0, v[4:5]
	global_load_dwordx2 v[4:5], v[2:3], off
	global_load_dwordx2 v[8:9], v[2:3], off offset:512
	global_load_dwordx2 v[10:11], v[2:3], off offset:1024
	;; [unrolled: 1-line block ×5, first 2 shown]
	s_barrier
	s_cselect_b64 s[0:1], -1, 0
	s_xor_b64 s[2:3], vcc, -1
	s_and_b64 s[0:1], s[2:3], s[0:1]
	s_waitcnt vmcnt(5)
	ds_write_b64 v23, v[4:5] offset:512
	s_waitcnt vmcnt(4)
	ds_write_b64 v7, v[8:9] offset:512
	;; [unrolled: 2-line block ×6, first 2 shown]
	s_waitcnt lgkmcnt(0)
	s_barrier
	ds_read2st64_b64 v[2:5], v0 offset0:1 offset1:17
	ds_read_b64 v[10:11], v6
	ds_read_b64 v[14:15], v17
	;; [unrolled: 1-line block ×3, first 2 shown]
	ds_read2st64_b64 v[6:9], v0 offset0:33 offset1:49
	ds_read_b64 v[18:19], v38
	s_waitcnt lgkmcnt(4)
	v_lshl_add_u64 v[10:11], v[10:11], 3, s[42:43]
	s_waitcnt lgkmcnt(3)
	v_lshl_add_u64 v[14:15], v[14:15], 3, s[42:43]
	;; [unrolled: 2-line block ×3, first 2 shown]
	v_lshl_add_u64 v[10:11], v[10:11], 0, v[0:1]
	v_lshl_add_u64 v[12:13], v[14:15], 0, v[12:13]
	;; [unrolled: 1-line block ×3, first 2 shown]
	global_store_dwordx2 v[10:11], v[2:3], off
	global_store_dwordx2 v[12:13], v[4:5], off
	s_waitcnt lgkmcnt(1)
	global_store_dwordx2 v[14:15], v[6:7], off
	ds_read_b64 v[6:7], v39
	s_waitcnt lgkmcnt(1)
	v_lshl_add_u64 v[2:3], v[18:19], 3, s[42:43]
	v_lshl_add_u64 v[10:11], v[2:3], 0, v[30:31]
	ds_read2st64_b64 v[2:5], v0 offset0:65 offset1:81
	ds_read_b64 v[12:13], v40
	global_store_dwordx2 v[10:11], v[8:9], off
	s_waitcnt lgkmcnt(2)
	v_lshl_add_u64 v[6:7], v[6:7], 3, s[42:43]
	v_lshl_add_u64 v[6:7], v[6:7], 0, v[32:33]
	s_waitcnt lgkmcnt(1)
	global_store_dwordx2 v[6:7], v[2:3], off
	s_waitcnt lgkmcnt(0)
	v_lshl_add_u64 v[2:3], v[12:13], 3, s[42:43]
	v_lshl_add_u64 v[2:3], v[2:3], 0, v[24:25]
	global_store_dwordx2 v[2:3], v[4:5], off
	s_and_saveexec_b64 s[2:3], s[0:1]
	s_cbranch_execz .LBB120_131
; %bb.130:
	ds_read_b64 v[2:3], v0
	v_mov_b32_e32 v23, v1
	v_lshl_add_u64 v[4:5], v[20:21], 0, v[22:23]
	s_waitcnt lgkmcnt(0)
	v_lshl_add_u64 v[2:3], v[4:5], 0, v[2:3]
	global_store_dwordx2 v0, v[2:3], s[30:31]
.LBB120_131:
	s_endpgm
	.section	.rodata,"a",@progbits
	.p2align	6, 0x0
	.amdhsa_kernel _ZN7rocprim17ROCPRIM_304000_NS6detail25onesweep_iteration_kernelINS1_34wrapped_radix_sort_onesweep_configINS0_14default_configElN2at4cuda3cub6detail10OpaqueTypeILi8EEEEELb0EPKlPlPKSA_PSA_mNS0_19identity_decomposerEEEvT1_T2_T3_T4_jPT5_SO_PNS1_23onesweep_lookback_stateET6_jjj
		.amdhsa_group_segment_fixed_size 49664
		.amdhsa_private_segment_fixed_size 0
		.amdhsa_kernarg_size 336
		.amdhsa_user_sgpr_count 2
		.amdhsa_user_sgpr_dispatch_ptr 0
		.amdhsa_user_sgpr_queue_ptr 0
		.amdhsa_user_sgpr_kernarg_segment_ptr 1
		.amdhsa_user_sgpr_dispatch_id 0
		.amdhsa_user_sgpr_kernarg_preload_length 0
		.amdhsa_user_sgpr_kernarg_preload_offset 0
		.amdhsa_user_sgpr_private_segment_size 0
		.amdhsa_uses_dynamic_stack 0
		.amdhsa_enable_private_segment 0
		.amdhsa_system_sgpr_workgroup_id_x 1
		.amdhsa_system_sgpr_workgroup_id_y 0
		.amdhsa_system_sgpr_workgroup_id_z 0
		.amdhsa_system_sgpr_workgroup_info 0
		.amdhsa_system_vgpr_workitem_id 2
		.amdhsa_next_free_vgpr 42
		.amdhsa_next_free_sgpr 52
		.amdhsa_accum_offset 44
		.amdhsa_reserve_vcc 1
		.amdhsa_float_round_mode_32 0
		.amdhsa_float_round_mode_16_64 0
		.amdhsa_float_denorm_mode_32 3
		.amdhsa_float_denorm_mode_16_64 3
		.amdhsa_dx10_clamp 1
		.amdhsa_ieee_mode 1
		.amdhsa_fp16_overflow 0
		.amdhsa_tg_split 0
		.amdhsa_exception_fp_ieee_invalid_op 0
		.amdhsa_exception_fp_denorm_src 0
		.amdhsa_exception_fp_ieee_div_zero 0
		.amdhsa_exception_fp_ieee_overflow 0
		.amdhsa_exception_fp_ieee_underflow 0
		.amdhsa_exception_fp_ieee_inexact 0
		.amdhsa_exception_int_div_zero 0
	.end_amdhsa_kernel
	.section	.text._ZN7rocprim17ROCPRIM_304000_NS6detail25onesweep_iteration_kernelINS1_34wrapped_radix_sort_onesweep_configINS0_14default_configElN2at4cuda3cub6detail10OpaqueTypeILi8EEEEELb0EPKlPlPKSA_PSA_mNS0_19identity_decomposerEEEvT1_T2_T3_T4_jPT5_SO_PNS1_23onesweep_lookback_stateET6_jjj,"axG",@progbits,_ZN7rocprim17ROCPRIM_304000_NS6detail25onesweep_iteration_kernelINS1_34wrapped_radix_sort_onesweep_configINS0_14default_configElN2at4cuda3cub6detail10OpaqueTypeILi8EEEEELb0EPKlPlPKSA_PSA_mNS0_19identity_decomposerEEEvT1_T2_T3_T4_jPT5_SO_PNS1_23onesweep_lookback_stateET6_jjj,comdat
.Lfunc_end120:
	.size	_ZN7rocprim17ROCPRIM_304000_NS6detail25onesweep_iteration_kernelINS1_34wrapped_radix_sort_onesweep_configINS0_14default_configElN2at4cuda3cub6detail10OpaqueTypeILi8EEEEELb0EPKlPlPKSA_PSA_mNS0_19identity_decomposerEEEvT1_T2_T3_T4_jPT5_SO_PNS1_23onesweep_lookback_stateET6_jjj, .Lfunc_end120-_ZN7rocprim17ROCPRIM_304000_NS6detail25onesweep_iteration_kernelINS1_34wrapped_radix_sort_onesweep_configINS0_14default_configElN2at4cuda3cub6detail10OpaqueTypeILi8EEEEELb0EPKlPlPKSA_PSA_mNS0_19identity_decomposerEEEvT1_T2_T3_T4_jPT5_SO_PNS1_23onesweep_lookback_stateET6_jjj
                                        ; -- End function
	.set _ZN7rocprim17ROCPRIM_304000_NS6detail25onesweep_iteration_kernelINS1_34wrapped_radix_sort_onesweep_configINS0_14default_configElN2at4cuda3cub6detail10OpaqueTypeILi8EEEEELb0EPKlPlPKSA_PSA_mNS0_19identity_decomposerEEEvT1_T2_T3_T4_jPT5_SO_PNS1_23onesweep_lookback_stateET6_jjj.num_vgpr, 42
	.set _ZN7rocprim17ROCPRIM_304000_NS6detail25onesweep_iteration_kernelINS1_34wrapped_radix_sort_onesweep_configINS0_14default_configElN2at4cuda3cub6detail10OpaqueTypeILi8EEEEELb0EPKlPlPKSA_PSA_mNS0_19identity_decomposerEEEvT1_T2_T3_T4_jPT5_SO_PNS1_23onesweep_lookback_stateET6_jjj.num_agpr, 0
	.set _ZN7rocprim17ROCPRIM_304000_NS6detail25onesweep_iteration_kernelINS1_34wrapped_radix_sort_onesweep_configINS0_14default_configElN2at4cuda3cub6detail10OpaqueTypeILi8EEEEELb0EPKlPlPKSA_PSA_mNS0_19identity_decomposerEEEvT1_T2_T3_T4_jPT5_SO_PNS1_23onesweep_lookback_stateET6_jjj.numbered_sgpr, 52
	.set _ZN7rocprim17ROCPRIM_304000_NS6detail25onesweep_iteration_kernelINS1_34wrapped_radix_sort_onesweep_configINS0_14default_configElN2at4cuda3cub6detail10OpaqueTypeILi8EEEEELb0EPKlPlPKSA_PSA_mNS0_19identity_decomposerEEEvT1_T2_T3_T4_jPT5_SO_PNS1_23onesweep_lookback_stateET6_jjj.num_named_barrier, 0
	.set _ZN7rocprim17ROCPRIM_304000_NS6detail25onesweep_iteration_kernelINS1_34wrapped_radix_sort_onesweep_configINS0_14default_configElN2at4cuda3cub6detail10OpaqueTypeILi8EEEEELb0EPKlPlPKSA_PSA_mNS0_19identity_decomposerEEEvT1_T2_T3_T4_jPT5_SO_PNS1_23onesweep_lookback_stateET6_jjj.private_seg_size, 0
	.set _ZN7rocprim17ROCPRIM_304000_NS6detail25onesweep_iteration_kernelINS1_34wrapped_radix_sort_onesweep_configINS0_14default_configElN2at4cuda3cub6detail10OpaqueTypeILi8EEEEELb0EPKlPlPKSA_PSA_mNS0_19identity_decomposerEEEvT1_T2_T3_T4_jPT5_SO_PNS1_23onesweep_lookback_stateET6_jjj.uses_vcc, 1
	.set _ZN7rocprim17ROCPRIM_304000_NS6detail25onesweep_iteration_kernelINS1_34wrapped_radix_sort_onesweep_configINS0_14default_configElN2at4cuda3cub6detail10OpaqueTypeILi8EEEEELb0EPKlPlPKSA_PSA_mNS0_19identity_decomposerEEEvT1_T2_T3_T4_jPT5_SO_PNS1_23onesweep_lookback_stateET6_jjj.uses_flat_scratch, 0
	.set _ZN7rocprim17ROCPRIM_304000_NS6detail25onesweep_iteration_kernelINS1_34wrapped_radix_sort_onesweep_configINS0_14default_configElN2at4cuda3cub6detail10OpaqueTypeILi8EEEEELb0EPKlPlPKSA_PSA_mNS0_19identity_decomposerEEEvT1_T2_T3_T4_jPT5_SO_PNS1_23onesweep_lookback_stateET6_jjj.has_dyn_sized_stack, 0
	.set _ZN7rocprim17ROCPRIM_304000_NS6detail25onesweep_iteration_kernelINS1_34wrapped_radix_sort_onesweep_configINS0_14default_configElN2at4cuda3cub6detail10OpaqueTypeILi8EEEEELb0EPKlPlPKSA_PSA_mNS0_19identity_decomposerEEEvT1_T2_T3_T4_jPT5_SO_PNS1_23onesweep_lookback_stateET6_jjj.has_recursion, 0
	.set _ZN7rocprim17ROCPRIM_304000_NS6detail25onesweep_iteration_kernelINS1_34wrapped_radix_sort_onesweep_configINS0_14default_configElN2at4cuda3cub6detail10OpaqueTypeILi8EEEEELb0EPKlPlPKSA_PSA_mNS0_19identity_decomposerEEEvT1_T2_T3_T4_jPT5_SO_PNS1_23onesweep_lookback_stateET6_jjj.has_indirect_call, 0
	.section	.AMDGPU.csdata,"",@progbits
; Kernel info:
; codeLenInByte = 10016
; TotalNumSgprs: 58
; NumVgprs: 42
; NumAgprs: 0
; TotalNumVgprs: 42
; ScratchSize: 0
; MemoryBound: 1
; FloatMode: 240
; IeeeMode: 1
; LDSByteSize: 49664 bytes/workgroup (compile time only)
; SGPRBlocks: 7
; VGPRBlocks: 5
; NumSGPRsForWavesPerEU: 58
; NumVGPRsForWavesPerEU: 42
; AccumOffset: 44
; Occupancy: 8
; WaveLimiterHint : 1
; COMPUTE_PGM_RSRC2:SCRATCH_EN: 0
; COMPUTE_PGM_RSRC2:USER_SGPR: 2
; COMPUTE_PGM_RSRC2:TRAP_HANDLER: 0
; COMPUTE_PGM_RSRC2:TGID_X_EN: 1
; COMPUTE_PGM_RSRC2:TGID_Y_EN: 0
; COMPUTE_PGM_RSRC2:TGID_Z_EN: 0
; COMPUTE_PGM_RSRC2:TIDIG_COMP_CNT: 2
; COMPUTE_PGM_RSRC3_GFX90A:ACCUM_OFFSET: 10
; COMPUTE_PGM_RSRC3_GFX90A:TG_SPLIT: 0
	.section	.text._ZN7rocprim17ROCPRIM_304000_NS6detail25onesweep_iteration_kernelINS1_34wrapped_radix_sort_onesweep_configINS0_14default_configElN2at4cuda3cub6detail10OpaqueTypeILi8EEEEELb0EPlSC_PSA_SD_mNS0_19identity_decomposerEEEvT1_T2_T3_T4_jPT5_SK_PNS1_23onesweep_lookback_stateET6_jjj,"axG",@progbits,_ZN7rocprim17ROCPRIM_304000_NS6detail25onesweep_iteration_kernelINS1_34wrapped_radix_sort_onesweep_configINS0_14default_configElN2at4cuda3cub6detail10OpaqueTypeILi8EEEEELb0EPlSC_PSA_SD_mNS0_19identity_decomposerEEEvT1_T2_T3_T4_jPT5_SK_PNS1_23onesweep_lookback_stateET6_jjj,comdat
	.protected	_ZN7rocprim17ROCPRIM_304000_NS6detail25onesweep_iteration_kernelINS1_34wrapped_radix_sort_onesweep_configINS0_14default_configElN2at4cuda3cub6detail10OpaqueTypeILi8EEEEELb0EPlSC_PSA_SD_mNS0_19identity_decomposerEEEvT1_T2_T3_T4_jPT5_SK_PNS1_23onesweep_lookback_stateET6_jjj ; -- Begin function _ZN7rocprim17ROCPRIM_304000_NS6detail25onesweep_iteration_kernelINS1_34wrapped_radix_sort_onesweep_configINS0_14default_configElN2at4cuda3cub6detail10OpaqueTypeILi8EEEEELb0EPlSC_PSA_SD_mNS0_19identity_decomposerEEEvT1_T2_T3_T4_jPT5_SK_PNS1_23onesweep_lookback_stateET6_jjj
	.globl	_ZN7rocprim17ROCPRIM_304000_NS6detail25onesweep_iteration_kernelINS1_34wrapped_radix_sort_onesweep_configINS0_14default_configElN2at4cuda3cub6detail10OpaqueTypeILi8EEEEELb0EPlSC_PSA_SD_mNS0_19identity_decomposerEEEvT1_T2_T3_T4_jPT5_SK_PNS1_23onesweep_lookback_stateET6_jjj
	.p2align	8
	.type	_ZN7rocprim17ROCPRIM_304000_NS6detail25onesweep_iteration_kernelINS1_34wrapped_radix_sort_onesweep_configINS0_14default_configElN2at4cuda3cub6detail10OpaqueTypeILi8EEEEELb0EPlSC_PSA_SD_mNS0_19identity_decomposerEEEvT1_T2_T3_T4_jPT5_SK_PNS1_23onesweep_lookback_stateET6_jjj,@function
_ZN7rocprim17ROCPRIM_304000_NS6detail25onesweep_iteration_kernelINS1_34wrapped_radix_sort_onesweep_configINS0_14default_configElN2at4cuda3cub6detail10OpaqueTypeILi8EEEEELb0EPlSC_PSA_SD_mNS0_19identity_decomposerEEEvT1_T2_T3_T4_jPT5_SK_PNS1_23onesweep_lookback_stateET6_jjj: ; @_ZN7rocprim17ROCPRIM_304000_NS6detail25onesweep_iteration_kernelINS1_34wrapped_radix_sort_onesweep_configINS0_14default_configElN2at4cuda3cub6detail10OpaqueTypeILi8EEEEELb0EPlSC_PSA_SD_mNS0_19identity_decomposerEEEvT1_T2_T3_T4_jPT5_SK_PNS1_23onesweep_lookback_stateET6_jjj
; %bb.0:
	s_load_dwordx4 s[44:47], s[0:1], 0x44
	s_load_dwordx8 s[36:43], s[0:1], 0x0
	s_load_dwordx4 s[28:31], s[0:1], 0x28
	s_load_dwordx2 s[34:35], s[0:1], 0x38
	s_mov_b64 s[4:5], -1
	s_waitcnt lgkmcnt(0)
	s_cmp_ge_u32 s2, s46
	s_mul_i32 s48, s2, 0x1800
	v_mbcnt_lo_u32_b32 v1, -1, 0
	s_cbranch_scc0 .LBB121_96
; %bb.1:
	s_load_dword s3, s[0:1], 0x20
	s_mul_i32 s4, s46, 0xffffe800
	s_mov_b32 s49, 0
	s_lshl_b64 s[46:47], s[48:49], 3
	v_mbcnt_hi_u32_b32 v9, -1, v1
	s_waitcnt lgkmcnt(0)
	s_add_i32 s49, s4, s3
	s_add_u32 s4, s36, s46
	v_and_b32_e32 v2, 0x3c0, v0
	s_addc_u32 s5, s37, s47
	v_mul_u32_u24_e32 v8, 6, v2
	v_mov_b32_e32 v5, 0
	v_lshlrev_b32_e32 v4, 3, v9
	v_lshl_add_u64 v[2:3], s[4:5], 0, v[4:5]
	v_lshlrev_b32_e32 v6, 3, v8
	v_mov_b32_e32 v7, v5
	v_or_b32_e32 v5, v9, v8
	v_lshl_add_u64 v[2:3], v[2:3], 0, v[6:7]
	v_cmp_gt_u32_e32 vcc, s49, v5
	v_mov_b64_e32 v[10:11], -1
	v_mov_b64_e32 v[12:13], -1
	s_and_saveexec_b64 s[4:5], vcc
	s_cbranch_execz .LBB121_3
; %bb.2:
	global_load_dwordx2 v[12:13], v[2:3], off
	s_waitcnt vmcnt(0)
	v_xor_b32_e32 v13, 0x80000000, v13
.LBB121_3:
	s_or_b64 exec, exec, s[4:5]
	v_add_u32_e32 v7, 64, v5
	v_cmp_gt_u32_e64 s[26:27], s49, v7
	s_and_saveexec_b64 s[4:5], s[26:27]
	s_cbranch_execz .LBB121_5
; %bb.4:
	global_load_dwordx2 v[10:11], v[2:3], off offset:512
	s_waitcnt vmcnt(0)
	v_xor_b32_e32 v11, 0x80000000, v11
.LBB121_5:
	s_or_b64 exec, exec, s[4:5]
	v_add_u32_e32 v7, 0x80, v5
	v_cmp_gt_u32_e64 s[4:5], s49, v7
	v_mov_b64_e32 v[14:15], -1
	v_mov_b64_e32 v[16:17], -1
	s_and_saveexec_b64 s[6:7], s[4:5]
	s_cbranch_execz .LBB121_7
; %bb.6:
	global_load_dwordx2 v[16:17], v[2:3], off offset:1024
	s_waitcnt vmcnt(0)
	v_xor_b32_e32 v17, 0x80000000, v17
.LBB121_7:
	s_or_b64 exec, exec, s[6:7]
	v_add_u32_e32 v7, 0xc0, v5
	v_cmp_gt_u32_e64 s[6:7], s49, v7
	s_and_saveexec_b64 s[8:9], s[6:7]
	s_cbranch_execz .LBB121_9
; %bb.8:
	global_load_dwordx2 v[14:15], v[2:3], off offset:1536
	s_waitcnt vmcnt(0)
	v_xor_b32_e32 v15, 0x80000000, v15
.LBB121_9:
	s_or_b64 exec, exec, s[8:9]
	v_add_u32_e32 v7, 0x100, v5
	v_cmp_gt_u32_e64 s[8:9], s49, v7
	v_mov_b64_e32 v[18:19], -1
	v_mov_b64_e32 v[20:21], -1
	s_and_saveexec_b64 s[10:11], s[8:9]
	s_cbranch_execz .LBB121_11
; %bb.10:
	global_load_dwordx2 v[20:21], v[2:3], off offset:2048
	s_waitcnt vmcnt(0)
	v_xor_b32_e32 v21, 0x80000000, v21
.LBB121_11:
	s_or_b64 exec, exec, s[10:11]
	v_add_u32_e32 v5, 0x140, v5
	v_and_b32_e32 v8, 0x3ff, v0
	v_cmp_gt_u32_e64 s[10:11], s49, v5
	s_and_saveexec_b64 s[12:13], s[10:11]
	s_cbranch_execz .LBB121_13
; %bb.12:
	global_load_dwordx2 v[18:19], v[2:3], off offset:2560
	s_waitcnt vmcnt(0)
	v_xor_b32_e32 v19, 0x80000000, v19
.LBB121_13:
	s_or_b64 exec, exec, s[12:13]
	s_load_dword s12, s[0:1], 0x5c
	s_load_dword s3, s[0:1], 0x50
	s_add_u32 s13, s0, 0x50
	s_addc_u32 s14, s1, 0
	v_mov_b32_e32 v22, 0
	s_waitcnt lgkmcnt(0)
	s_lshr_b32 s15, s12, 16
	s_cmp_lt_u32 s2, s3
	s_cselect_b32 s12, 12, 18
	s_add_u32 s12, s13, s12
	s_addc_u32 s13, s14, 0
	global_load_ushort v5, v22, s[12:13]
	v_bfe_u32 v3, v0, 10, 10
	v_bfe_u32 v7, v0, 20, 10
	v_lshrrev_b64 v[24:25], s44, v[12:13]
	s_lshl_b32 s12, -1, s45
	v_lshlrev_b32_e32 v2, 3, v8
	v_mov_b32_e32 v23, v22
	v_mad_u32_u24 v7, v7, s15, v3
	v_bitop3_b32 v3, v24, s12, v24 bitop3:0x30
	v_mov_b32_e32 v25, v22
	ds_write_b64 v2, v[22:23] offset:64
	v_and_b32_e32 v24, 1, v3
	v_lshlrev_b32_e32 v23, 30, v3
	s_not_b32 s33, s12
	v_lshl_add_u64 v[26:27], v[24:25], 0, -1
	v_cmp_ne_u32_e64 s[12:13], 0, v24
	v_cmp_gt_i64_e64 s[14:15], 0, v[22:23]
	v_not_b32_e32 v24, v23
	v_lshlrev_b32_e32 v23, 29, v3
	v_xor_b32_e32 v25, s13, v27
	v_xor_b32_e32 v26, s12, v26
	v_ashrrev_i32_e32 v24, 31, v24
	v_cmp_gt_i64_e64 s[12:13], 0, v[22:23]
	v_not_b32_e32 v27, v23
	v_lshlrev_b32_e32 v23, 28, v3
	v_and_b32_e32 v25, exec_hi, v25
	v_and_b32_e32 v26, exec_lo, v26
	v_xor_b32_e32 v29, s15, v24
	v_xor_b32_e32 v24, s14, v24
	v_ashrrev_i32_e32 v27, 31, v27
	v_cmp_gt_i64_e64 s[14:15], 0, v[22:23]
	v_not_b32_e32 v30, v23
	v_lshlrev_b32_e32 v23, 27, v3
	s_movk_i32 s16, 0x44
	v_and_b32_e32 v25, v25, v29
	v_and_b32_e32 v24, v26, v24
	v_xor_b32_e32 v26, s13, v27
	v_xor_b32_e32 v27, s12, v27
	v_ashrrev_i32_e32 v29, 31, v30
	v_cmp_gt_i64_e64 s[12:13], 0, v[22:23]
	v_not_b32_e32 v30, v23
	v_lshlrev_b32_e32 v23, 26, v3
	v_mul_lo_u32 v28, v3, s16
	v_and_b32_e32 v3, v25, v26
	v_and_b32_e32 v24, v24, v27
	v_xor_b32_e32 v25, s15, v29
	v_xor_b32_e32 v26, s14, v29
	v_ashrrev_i32_e32 v27, 31, v30
	v_cmp_gt_i64_e64 s[14:15], 0, v[22:23]
	v_not_b32_e32 v23, v23
	v_and_b32_e32 v3, v3, v25
	v_and_b32_e32 v24, v24, v26
	v_xor_b32_e32 v25, s13, v27
	v_xor_b32_e32 v26, s12, v27
	v_ashrrev_i32_e32 v23, 31, v23
	v_and_b32_e32 v3, v3, v25
	v_and_b32_e32 v24, v24, v26
	v_xor_b32_e32 v25, s15, v23
	v_xor_b32_e32 v23, s14, v23
	v_and_b32_e32 v24, v24, v23
	v_and_b32_e32 v25, v3, v25
	v_mbcnt_lo_u32_b32 v3, v24, 0
	v_mbcnt_hi_u32_b32 v3, v25, v3
	v_cmp_ne_u64_e64 s[12:13], 0, v[24:25]
	v_cmp_eq_u32_e64 s[14:15], 0, v3
	s_and_b64 s[14:15], s[12:13], s[14:15]
	s_waitcnt lgkmcnt(0)
	s_barrier
	s_waitcnt vmcnt(0)
	; wave barrier
	v_mad_u64_u32 v[26:27], s[18:19], v7, v5, v[8:9]
	v_lshrrev_b32_e32 v32, 6, v26
	v_lshl_add_u32 v7, v32, 2, v28
	s_and_saveexec_b64 s[12:13], s[14:15]
; %bb.14:
	v_bcnt_u32_b32 v5, v24, 0
	v_bcnt_u32_b32 v5, v25, v5
	ds_write_b32 v7, v5 offset:64
; %bb.15:
	s_or_b64 exec, exec, s[12:13]
	v_lshrrev_b64 v[24:25], s44, v[10:11]
	v_and_b32_e32 v27, s33, v24
	v_and_b32_e32 v24, 1, v27
	v_mov_b32_e32 v25, v22
	v_lshl_add_u64 v[28:29], v[24:25], 0, -1
	v_cmp_ne_u32_e64 s[12:13], 0, v24
	v_mul_lo_u32 v5, v27, s16
	v_lshl_add_u32 v26, v32, 2, v5
	v_xor_b32_e32 v23, s13, v29
	v_and_b32_e32 v25, exec_hi, v23
	v_lshlrev_b32_e32 v23, 30, v27
	v_xor_b32_e32 v24, s12, v28
	v_cmp_gt_i64_e64 s[12:13], 0, v[22:23]
	v_not_b32_e32 v23, v23
	v_ashrrev_i32_e32 v23, 31, v23
	v_and_b32_e32 v24, exec_lo, v24
	v_xor_b32_e32 v28, s13, v23
	v_xor_b32_e32 v23, s12, v23
	v_and_b32_e32 v24, v24, v23
	v_lshlrev_b32_e32 v23, 29, v27
	v_cmp_gt_i64_e64 s[12:13], 0, v[22:23]
	v_not_b32_e32 v23, v23
	v_ashrrev_i32_e32 v23, 31, v23
	v_and_b32_e32 v25, v25, v28
	v_xor_b32_e32 v28, s13, v23
	v_xor_b32_e32 v23, s12, v23
	v_and_b32_e32 v24, v24, v23
	v_lshlrev_b32_e32 v23, 28, v27
	v_cmp_gt_i64_e64 s[12:13], 0, v[22:23]
	v_not_b32_e32 v23, v23
	v_ashrrev_i32_e32 v23, 31, v23
	v_and_b32_e32 v25, v25, v28
	;; [unrolled: 8-line block ×3, first 2 shown]
	v_xor_b32_e32 v28, s13, v23
	v_xor_b32_e32 v23, s12, v23
	v_and_b32_e32 v24, v24, v23
	v_lshlrev_b32_e32 v23, 26, v27
	v_cmp_gt_i64_e64 s[12:13], 0, v[22:23]
	v_not_b32_e32 v22, v23
	v_ashrrev_i32_e32 v22, 31, v22
	v_xor_b32_e32 v23, s13, v22
	v_xor_b32_e32 v22, s12, v22
	; wave barrier
	ds_read_b32 v5, v26 offset:64
	v_and_b32_e32 v25, v25, v28
	v_and_b32_e32 v22, v24, v22
	;; [unrolled: 1-line block ×3, first 2 shown]
	v_mbcnt_lo_u32_b32 v24, v22, 0
	v_mbcnt_hi_u32_b32 v27, v23, v24
	v_cmp_eq_u32_e64 s[12:13], 0, v27
	v_cmp_ne_u64_e64 s[14:15], 0, v[22:23]
	s_and_b64 s[14:15], s[14:15], s[12:13]
	; wave barrier
	s_and_saveexec_b64 s[12:13], s[14:15]
	s_cbranch_execz .LBB121_17
; %bb.16:
	v_bcnt_u32_b32 v22, v22, 0
	v_bcnt_u32_b32 v22, v23, v22
	s_waitcnt lgkmcnt(0)
	v_add_u32_e32 v22, v5, v22
	ds_write_b32 v26, v22 offset:64
.LBB121_17:
	s_or_b64 exec, exec, s[12:13]
	v_lshrrev_b64 v[22:23], s44, v[16:17]
	v_and_b32_e32 v30, s33, v22
	v_mul_lo_u32 v22, v30, s16
	v_lshl_add_u32 v29, v32, 2, v22
	v_and_b32_e32 v22, 1, v30
	v_mov_b32_e32 v23, 0
	v_lshl_add_u64 v[24:25], v[22:23], 0, -1
	v_cmp_ne_u32_e64 s[12:13], 0, v22
	; wave barrier
	s_nop 1
	v_xor_b32_e32 v24, s12, v24
	v_xor_b32_e32 v22, s13, v25
	v_and_b32_e32 v31, exec_lo, v24
	v_lshlrev_b32_e32 v25, 30, v30
	v_mov_b32_e32 v24, v23
	v_cmp_gt_i64_e64 s[12:13], 0, v[24:25]
	v_not_b32_e32 v24, v25
	v_ashrrev_i32_e32 v24, 31, v24
	v_and_b32_e32 v22, exec_hi, v22
	v_xor_b32_e32 v25, s13, v24
	v_xor_b32_e32 v24, s12, v24
	v_and_b32_e32 v22, v22, v25
	v_and_b32_e32 v31, v31, v24
	v_lshlrev_b32_e32 v25, 29, v30
	v_mov_b32_e32 v24, v23
	v_cmp_gt_i64_e64 s[12:13], 0, v[24:25]
	v_not_b32_e32 v24, v25
	v_ashrrev_i32_e32 v24, 31, v24
	v_xor_b32_e32 v25, s13, v24
	v_xor_b32_e32 v24, s12, v24
	v_and_b32_e32 v22, v22, v25
	v_and_b32_e32 v31, v31, v24
	v_lshlrev_b32_e32 v25, 28, v30
	v_mov_b32_e32 v24, v23
	v_cmp_gt_i64_e64 s[12:13], 0, v[24:25]
	v_not_b32_e32 v24, v25
	v_ashrrev_i32_e32 v24, 31, v24
	;; [unrolled: 9-line block ×4, first 2 shown]
	v_xor_b32_e32 v25, s13, v24
	v_xor_b32_e32 v24, s12, v24
	ds_read_b32 v28, v29 offset:64
	v_and_b32_e32 v24, v31, v24
	v_and_b32_e32 v25, v22, v25
	v_mbcnt_lo_u32_b32 v22, v24, 0
	v_mbcnt_hi_u32_b32 v30, v25, v22
	v_cmp_eq_u32_e64 s[12:13], 0, v30
	v_cmp_ne_u64_e64 s[14:15], 0, v[24:25]
	s_and_b64 s[14:15], s[14:15], s[12:13]
	; wave barrier
	s_and_saveexec_b64 s[12:13], s[14:15]
	s_cbranch_execz .LBB121_19
; %bb.18:
	v_bcnt_u32_b32 v22, v24, 0
	v_bcnt_u32_b32 v22, v25, v22
	s_waitcnt lgkmcnt(0)
	v_add_u32_e32 v22, v28, v22
	ds_write_b32 v29, v22 offset:64
.LBB121_19:
	s_or_b64 exec, exec, s[12:13]
	v_lshrrev_b64 v[24:25], s44, v[14:15]
	v_and_b32_e32 v34, s33, v24
	v_mul_lo_u32 v22, v34, s16
	v_lshl_add_u32 v33, v32, 2, v22
	v_and_b32_e32 v22, 1, v34
	v_lshl_add_u64 v[24:25], v[22:23], 0, -1
	v_cmp_ne_u32_e64 s[12:13], 0, v22
	; wave barrier
	s_nop 1
	v_xor_b32_e32 v24, s12, v24
	v_xor_b32_e32 v22, s13, v25
	v_and_b32_e32 v35, exec_lo, v24
	v_lshlrev_b32_e32 v25, 30, v34
	v_mov_b32_e32 v24, v23
	v_cmp_gt_i64_e64 s[12:13], 0, v[24:25]
	v_not_b32_e32 v24, v25
	v_ashrrev_i32_e32 v24, 31, v24
	v_and_b32_e32 v22, exec_hi, v22
	v_xor_b32_e32 v25, s13, v24
	v_xor_b32_e32 v24, s12, v24
	v_and_b32_e32 v22, v22, v25
	v_and_b32_e32 v35, v35, v24
	v_lshlrev_b32_e32 v25, 29, v34
	v_mov_b32_e32 v24, v23
	v_cmp_gt_i64_e64 s[12:13], 0, v[24:25]
	v_not_b32_e32 v24, v25
	v_ashrrev_i32_e32 v24, 31, v24
	v_xor_b32_e32 v25, s13, v24
	v_xor_b32_e32 v24, s12, v24
	v_and_b32_e32 v22, v22, v25
	v_and_b32_e32 v35, v35, v24
	v_lshlrev_b32_e32 v25, 28, v34
	v_mov_b32_e32 v24, v23
	v_cmp_gt_i64_e64 s[12:13], 0, v[24:25]
	v_not_b32_e32 v24, v25
	v_ashrrev_i32_e32 v24, 31, v24
	;; [unrolled: 9-line block ×3, first 2 shown]
	v_xor_b32_e32 v25, s13, v24
	v_xor_b32_e32 v24, s12, v24
	v_and_b32_e32 v22, v22, v25
	v_lshlrev_b32_e32 v25, 26, v34
	v_and_b32_e32 v35, v35, v24
	v_mov_b32_e32 v24, v23
	v_not_b32_e32 v23, v25
	v_cmp_gt_i64_e64 s[12:13], 0, v[24:25]
	v_ashrrev_i32_e32 v23, 31, v23
	ds_read_b32 v31, v33 offset:64
	v_xor_b32_e32 v24, s13, v23
	v_xor_b32_e32 v25, s12, v23
	v_and_b32_e32 v23, v22, v24
	v_and_b32_e32 v22, v35, v25
	v_mbcnt_lo_u32_b32 v24, v22, 0
	v_mbcnt_hi_u32_b32 v34, v23, v24
	v_cmp_eq_u32_e64 s[12:13], 0, v34
	v_cmp_ne_u64_e64 s[14:15], 0, v[22:23]
	s_and_b64 s[14:15], s[14:15], s[12:13]
	; wave barrier
	s_and_saveexec_b64 s[12:13], s[14:15]
	s_cbranch_execz .LBB121_21
; %bb.20:
	v_bcnt_u32_b32 v22, v22, 0
	v_bcnt_u32_b32 v22, v23, v22
	s_waitcnt lgkmcnt(0)
	v_add_u32_e32 v22, v31, v22
	ds_write_b32 v33, v22 offset:64
.LBB121_21:
	s_or_b64 exec, exec, s[12:13]
	v_lshrrev_b64 v[22:23], s44, v[20:21]
	v_and_b32_e32 v37, s33, v22
	v_mul_lo_u32 v22, v37, s16
	v_lshl_add_u32 v36, v32, 2, v22
	v_and_b32_e32 v22, 1, v37
	v_mov_b32_e32 v23, 0
	v_lshl_add_u64 v[24:25], v[22:23], 0, -1
	v_cmp_ne_u32_e64 s[12:13], 0, v22
	; wave barrier
	s_nop 1
	v_xor_b32_e32 v24, s12, v24
	v_xor_b32_e32 v22, s13, v25
	v_and_b32_e32 v38, exec_lo, v24
	v_lshlrev_b32_e32 v25, 30, v37
	v_mov_b32_e32 v24, v23
	v_cmp_gt_i64_e64 s[12:13], 0, v[24:25]
	v_not_b32_e32 v24, v25
	v_ashrrev_i32_e32 v24, 31, v24
	v_and_b32_e32 v22, exec_hi, v22
	v_xor_b32_e32 v25, s13, v24
	v_xor_b32_e32 v24, s12, v24
	v_and_b32_e32 v22, v22, v25
	v_and_b32_e32 v38, v38, v24
	v_lshlrev_b32_e32 v25, 29, v37
	v_mov_b32_e32 v24, v23
	v_cmp_gt_i64_e64 s[12:13], 0, v[24:25]
	v_not_b32_e32 v24, v25
	v_ashrrev_i32_e32 v24, 31, v24
	v_xor_b32_e32 v25, s13, v24
	v_xor_b32_e32 v24, s12, v24
	v_and_b32_e32 v22, v22, v25
	v_and_b32_e32 v38, v38, v24
	v_lshlrev_b32_e32 v25, 28, v37
	v_mov_b32_e32 v24, v23
	v_cmp_gt_i64_e64 s[12:13], 0, v[24:25]
	v_not_b32_e32 v24, v25
	v_ashrrev_i32_e32 v24, 31, v24
	;; [unrolled: 9-line block ×4, first 2 shown]
	v_xor_b32_e32 v25, s13, v24
	v_xor_b32_e32 v24, s12, v24
	ds_read_b32 v35, v36 offset:64
	v_and_b32_e32 v24, v38, v24
	v_and_b32_e32 v25, v22, v25
	v_mbcnt_lo_u32_b32 v22, v24, 0
	v_mbcnt_hi_u32_b32 v37, v25, v22
	v_cmp_eq_u32_e64 s[12:13], 0, v37
	v_cmp_ne_u64_e64 s[14:15], 0, v[24:25]
	s_and_b64 s[14:15], s[14:15], s[12:13]
	; wave barrier
	s_and_saveexec_b64 s[12:13], s[14:15]
	s_cbranch_execz .LBB121_23
; %bb.22:
	v_bcnt_u32_b32 v22, v24, 0
	v_bcnt_u32_b32 v22, v25, v22
	s_waitcnt lgkmcnt(0)
	v_add_u32_e32 v22, v35, v22
	ds_write_b32 v36, v22 offset:64
.LBB121_23:
	s_or_b64 exec, exec, s[12:13]
	v_lshrrev_b64 v[24:25], s44, v[18:19]
	v_and_b32_e32 v25, s33, v24
	v_mul_lo_u32 v22, v25, s16
	v_lshl_add_u32 v24, v32, 2, v22
	v_and_b32_e32 v22, 1, v25
	v_lshl_add_u64 v[40:41], v[22:23], 0, -1
	v_cmp_ne_u32_e64 s[12:13], 0, v22
	; wave barrier
	s_nop 1
	v_xor_b32_e32 v22, s13, v41
	v_lshlrev_b32_e32 v41, 30, v25
	v_xor_b32_e32 v32, s12, v40
	v_mov_b32_e32 v40, v23
	v_not_b32_e32 v39, v41
	v_cmp_gt_i64_e64 s[12:13], 0, v[40:41]
	v_ashrrev_i32_e32 v39, 31, v39
	v_and_b32_e32 v22, exec_hi, v22
	v_and_b32_e32 v32, exec_lo, v32
	v_xor_b32_e32 v40, s13, v39
	v_xor_b32_e32 v39, s12, v39
	v_lshlrev_b32_e32 v41, 29, v25
	v_and_b32_e32 v22, v22, v40
	v_and_b32_e32 v32, v32, v39
	v_mov_b32_e32 v40, v23
	v_not_b32_e32 v39, v41
	v_cmp_gt_i64_e64 s[12:13], 0, v[40:41]
	v_ashrrev_i32_e32 v39, 31, v39
	v_lshlrev_b32_e32 v41, 28, v25
	v_xor_b32_e32 v40, s13, v39
	v_xor_b32_e32 v39, s12, v39
	v_and_b32_e32 v22, v22, v40
	v_and_b32_e32 v32, v32, v39
	v_mov_b32_e32 v40, v23
	v_not_b32_e32 v39, v41
	v_cmp_gt_i64_e64 s[12:13], 0, v[40:41]
	v_ashrrev_i32_e32 v39, 31, v39
	v_lshlrev_b32_e32 v41, 27, v25
	v_xor_b32_e32 v40, s13, v39
	v_xor_b32_e32 v39, s12, v39
	v_and_b32_e32 v22, v22, v40
	v_and_b32_e32 v32, v32, v39
	v_mov_b32_e32 v40, v23
	v_not_b32_e32 v39, v41
	v_cmp_gt_i64_e64 s[12:13], 0, v[40:41]
	v_ashrrev_i32_e32 v39, 31, v39
	v_lshlrev_b32_e32 v41, 26, v25
	v_xor_b32_e32 v40, s13, v39
	v_and_b32_e32 v22, v22, v40
	v_mov_b32_e32 v40, v23
	v_not_b32_e32 v23, v41
	v_xor_b32_e32 v39, s12, v39
	v_cmp_gt_i64_e64 s[12:13], 0, v[40:41]
	v_ashrrev_i32_e32 v23, 31, v23
	v_and_b32_e32 v32, v32, v39
	v_xor_b32_e32 v25, s13, v23
	v_xor_b32_e32 v39, s12, v23
	ds_read_b32 v38, v24 offset:64
	v_and_b32_e32 v23, v22, v25
	v_and_b32_e32 v22, v32, v39
	v_mbcnt_lo_u32_b32 v25, v22, 0
	v_mbcnt_hi_u32_b32 v39, v23, v25
	v_cmp_eq_u32_e64 s[12:13], 0, v39
	v_cmp_ne_u64_e64 s[14:15], 0, v[22:23]
	s_and_b64 s[14:15], s[14:15], s[12:13]
	; wave barrier
	s_and_saveexec_b64 s[12:13], s[14:15]
	s_cbranch_execz .LBB121_25
; %bb.24:
	v_bcnt_u32_b32 v22, v22, 0
	v_bcnt_u32_b32 v22, v23, v22
	s_waitcnt lgkmcnt(0)
	v_add_u32_e32 v22, v38, v22
	ds_write_b32 v24, v22 offset:64
.LBB121_25:
	s_or_b64 exec, exec, s[12:13]
	; wave barrier
	s_waitcnt lgkmcnt(0)
	s_barrier
	ds_read_b64 v[22:23], v2 offset:64
	v_and_b32_e32 v25, 15, v9
	v_cmp_eq_u32_e64 s[12:13], 0, v25
	v_cmp_lt_u32_e64 s[14:15], 1, v25
	v_cmp_lt_u32_e64 s[16:17], 3, v25
	s_waitcnt lgkmcnt(0)
	v_add_u32_e32 v23, v23, v22
	v_cmp_lt_u32_e64 s[18:19], 7, v25
	v_cmp_lt_u32_e64 s[20:21], 31, v9
	v_mov_b32_dpp v32, v23 row_shr:1 row_mask:0xf bank_mask:0xf
	v_cndmask_b32_e64 v32, v32, 0, s[12:13]
	v_add_u32_e32 v23, v32, v23
	s_nop 1
	v_mov_b32_dpp v32, v23 row_shr:2 row_mask:0xf bank_mask:0xf
	v_cndmask_b32_e64 v32, 0, v32, s[14:15]
	v_add_u32_e32 v23, v23, v32
	s_nop 1
	;; [unrolled: 4-line block ×3, first 2 shown]
	v_mov_b32_dpp v32, v23 row_shr:8 row_mask:0xf bank_mask:0xf
	v_cndmask_b32_e64 v25, 0, v32, s[18:19]
	v_add_u32_e32 v23, v23, v25
	v_bfe_i32 v32, v9, 4, 1
	s_nop 0
	v_mov_b32_dpp v25, v23 row_bcast:15 row_mask:0xf bank_mask:0xf
	v_and_b32_e32 v25, v32, v25
	v_add_u32_e32 v23, v23, v25
	v_and_b32_e32 v32, 63, v8
	s_nop 0
	v_mov_b32_dpp v25, v23 row_bcast:31 row_mask:0xf bank_mask:0xf
	v_cndmask_b32_e64 v25, 0, v25, s[20:21]
	v_add_u32_e32 v23, v23, v25
	v_lshrrev_b32_e32 v25, 6, v8
	v_cmp_eq_u32_e64 s[20:21], 63, v32
	s_and_saveexec_b64 s[22:23], s[20:21]
; %bb.26:
	v_lshlrev_b32_e32 v32, 2, v25
	ds_write_b32 v32, v23
; %bb.27:
	s_or_b64 exec, exec, s[22:23]
	v_cmp_gt_u32_e64 s[20:21], 16, v8
	s_waitcnt lgkmcnt(0)
	s_barrier
	s_and_saveexec_b64 s[22:23], s[20:21]
	s_cbranch_execz .LBB121_29
; %bb.28:
	v_lshlrev_b32_e32 v32, 2, v8
	ds_read_b32 v40, v32
	s_waitcnt lgkmcnt(0)
	s_nop 0
	v_mov_b32_dpp v41, v40 row_shr:1 row_mask:0xf bank_mask:0xf
	v_cndmask_b32_e64 v41, v41, 0, s[12:13]
	v_add_u32_e32 v40, v41, v40
	s_nop 1
	v_mov_b32_dpp v41, v40 row_shr:2 row_mask:0xf bank_mask:0xf
	v_cndmask_b32_e64 v41, 0, v41, s[14:15]
	v_add_u32_e32 v40, v40, v41
	;; [unrolled: 4-line block ×4, first 2 shown]
	ds_write_b32 v32, v40
.LBB121_29:
	s_or_b64 exec, exec, s[22:23]
	v_cmp_gt_u32_e64 s[14:15], 64, v8
	v_cmp_lt_u32_e64 s[12:13], 63, v8
	v_mov_b32_e32 v32, 0
	s_waitcnt lgkmcnt(0)
	s_barrier
	s_and_saveexec_b64 s[16:17], s[12:13]
; %bb.30:
	v_lshl_add_u32 v25, v25, 2, -4
	ds_read_b32 v32, v25
; %bb.31:
	s_or_b64 exec, exec, s[16:17]
	v_add_u32_e32 v25, -1, v9
	v_and_b32_e32 v40, 64, v9
	v_cmp_lt_i32_e64 s[16:17], v25, v40
	s_waitcnt lgkmcnt(0)
	v_add_u32_e32 v23, v32, v23
	v_cndmask_b32_e64 v25, v25, v9, s[16:17]
	v_lshlrev_b32_e32 v25, 2, v25
	ds_bpermute_b32 v23, v25, v23
	v_cmp_eq_u32_e64 s[16:17], 0, v9
	s_waitcnt lgkmcnt(0)
	s_nop 0
	v_cndmask_b32_e64 v9, v23, v32, s[16:17]
	v_cmp_ne_u32_e64 s[16:17], 0, v8
	s_nop 1
	v_cndmask_b32_e64 v40, 0, v9, s[16:17]
	v_add_u32_e32 v41, v40, v22
	ds_write_b64 v2, v[40:41] offset:64
	s_waitcnt lgkmcnt(0)
	s_barrier
	ds_read_b32 v25, v7 offset:64
	ds_read_b32 v32, v26 offset:64
	;; [unrolled: 1-line block ×6, first 2 shown]
	v_mov_b64_e32 v[22:23], 0
                                        ; implicit-def: $vgpr24
	s_and_saveexec_b64 s[18:19], s[14:15]
	s_cbranch_execz .LBB121_35
; %bb.32:
	v_mul_u32_u24_e32 v22, 0x44, v8
	ds_read_b32 v22, v22 offset:64
	v_add_u32_e32 v24, 1, v8
	v_cmp_ne_u32_e64 s[16:17], 64, v24
	v_mov_b32_e32 v23, 0x1800
	s_and_saveexec_b64 s[20:21], s[16:17]
; %bb.33:
	v_mul_u32_u24_e32 v23, 0x44, v24
	ds_read_b32 v23, v23 offset:64
; %bb.34:
	s_or_b64 exec, exec, s[20:21]
	s_waitcnt lgkmcnt(0)
	v_sub_u32_e32 v24, v23, v22
	v_mov_b32_e32 v23, 0
.LBB121_35:
	s_or_b64 exec, exec, s[18:19]
	v_lshlrev_b32_e32 v3, 3, v3
	s_waitcnt lgkmcnt(5)
	v_lshl_add_u32 v25, v25, 3, v3
	s_waitcnt lgkmcnt(0)
	s_barrier
	ds_write_b64 v25, v[12:13] offset:512
	v_lshlrev_b32_e32 v3, 3, v32
	v_lshlrev_b32_e32 v12, 3, v27
	;; [unrolled: 1-line block ×3, first 2 shown]
	v_add3_u32 v32, v3, v12, v5
	ds_write_b64 v32, v[10:11] offset:512
	v_lshlrev_b32_e32 v3, 3, v29
	v_lshlrev_b32_e32 v5, 3, v30
	v_lshlrev_b32_e32 v10, 3, v28
	v_add3_u32 v33, v3, v5, v10
	v_lshlrev_b32_e32 v3, 3, v26
	v_lshlrev_b32_e32 v5, 3, v34
	v_lshlrev_b32_e32 v10, 3, v31
	v_add3_u32 v34, v3, v5, v10
	;; [unrolled: 4-line block ×4, first 2 shown]
	v_mov_b32_e32 v11, 0
	ds_write_b64 v33, v[16:17] offset:512
	ds_write_b64 v34, v[14:15] offset:512
	;; [unrolled: 1-line block ×4, first 2 shown]
	s_waitcnt lgkmcnt(0)
	s_barrier
	s_and_saveexec_b64 s[16:17], s[14:15]
	s_cbranch_execz .LBB121_45
; %bb.36:
	v_lshl_add_u32 v10, s2, 6, v8
	v_lshl_add_u64 v[12:13], v[10:11], 2, s[34:35]
	v_or_b32_e32 v3, 2.0, v24
	global_store_dword v[12:13], v3, off sc1
	s_mov_b64 s[18:19], 0
	s_brev_b32 s24, -4
	s_mov_b32 s25, s2
	v_mov_b32_e32 v3, 0
                                        ; implicit-def: $sgpr14_sgpr15
	s_branch .LBB121_39
.LBB121_37:                             ;   in Loop: Header=BB121_39 Depth=1
	s_or_b64 exec, exec, s[22:23]
.LBB121_38:                             ;   in Loop: Header=BB121_39 Depth=1
	s_or_b64 exec, exec, s[20:21]
	v_and_b32_e32 v7, 0x3fffffff, v5
	v_add_u32_e32 v3, v7, v3
	v_cmp_gt_i32_e64 s[14:15], -2.0, v5
	s_and_b64 s[20:21], exec, s[14:15]
	s_or_b64 s[18:19], s[20:21], s[18:19]
	s_andn2_b64 exec, exec, s[18:19]
	s_cbranch_execz .LBB121_44
.LBB121_39:                             ; =>This Loop Header: Depth=1
                                        ;     Child Loop BB121_42 Depth 2
	s_or_b64 s[14:15], s[14:15], exec
	s_cmp_eq_u32 s25, 0
	s_cbranch_scc1 .LBB121_43
; %bb.40:                               ;   in Loop: Header=BB121_39 Depth=1
	s_add_i32 s25, s25, -1
	v_lshl_or_b32 v10, s25, 6, v8
	v_lshl_add_u64 v[14:15], v[10:11], 2, s[34:35]
	global_load_dword v5, v[14:15], off sc1
	s_waitcnt vmcnt(0)
	v_cmp_gt_u32_e64 s[14:15], 2.0, v5
	s_and_saveexec_b64 s[20:21], s[14:15]
	s_cbranch_execz .LBB121_38
; %bb.41:                               ;   in Loop: Header=BB121_39 Depth=1
	s_mov_b64 s[22:23], 0
.LBB121_42:                             ;   Parent Loop BB121_39 Depth=1
                                        ; =>  This Inner Loop Header: Depth=2
	global_load_dword v5, v[14:15], off sc1
	s_waitcnt vmcnt(0)
	v_cmp_lt_u32_e64 s[14:15], s24, v5
	s_or_b64 s[22:23], s[14:15], s[22:23]
	s_andn2_b64 exec, exec, s[22:23]
	s_cbranch_execnz .LBB121_42
	s_branch .LBB121_37
.LBB121_43:                             ;   in Loop: Header=BB121_39 Depth=1
                                        ; implicit-def: $sgpr25
	s_and_b64 s[20:21], exec, s[14:15]
	s_or_b64 s[18:19], s[20:21], s[18:19]
	s_andn2_b64 exec, exec, s[18:19]
	s_cbranch_execnz .LBB121_39
.LBB121_44:
	s_or_b64 exec, exec, s[18:19]
	v_add_u32_e32 v5, v3, v24
	v_or_b32_e32 v5, 0x80000000, v5
	global_store_dword v[12:13], v5, off sc1
	global_load_dwordx2 v[10:11], v2, s[28:29]
	v_sub_co_u32_e64 v12, s[14:15], v3, v22
	s_nop 1
	v_subb_co_u32_e64 v13, s[14:15], 0, v23, s[14:15]
	s_waitcnt vmcnt(0)
	v_lshl_add_u64 v[10:11], v[12:13], 0, v[10:11]
	ds_write_b64 v2, v[10:11]
.LBB121_45:
	s_or_b64 exec, exec, s[16:17]
	v_cmp_gt_u32_e64 s[14:15], s49, v8
	s_waitcnt lgkmcnt(0)
	s_barrier
	s_and_saveexec_b64 s[16:17], s[14:15]
	s_cbranch_execz .LBB121_47
; %bb.46:
	ds_read_b64 v[10:11], v2 offset:512
	s_waitcnt lgkmcnt(0)
	v_lshrrev_b64 v[12:13], s44, v[10:11]
	v_and_b32_e32 v3, s33, v12
	v_lshlrev_b32_e32 v3, 3, v3
	ds_read_b64 v[12:13], v3
	v_mov_b32_e32 v3, 0
	v_xor_b32_e32 v11, 0x80000000, v11
	s_waitcnt lgkmcnt(0)
	v_lshl_add_u64 v[12:13], v[12:13], 3, s[38:39]
	v_lshl_add_u64 v[12:13], v[12:13], 0, v[2:3]
	global_store_dwordx2 v[12:13], v[10:11], off
.LBB121_47:
	s_or_b64 exec, exec, s[16:17]
	v_or_b32_e32 v3, 0x400, v8
	v_cmp_gt_u32_e64 s[16:17], s49, v3
	v_lshlrev_b32_e32 v10, 3, v3
	s_and_saveexec_b64 s[18:19], s[16:17]
	s_cbranch_execz .LBB121_49
; %bb.48:
	ds_read_b64 v[12:13], v2 offset:8704
	v_mov_b32_e32 v11, 0
	s_waitcnt lgkmcnt(0)
	v_lshrrev_b64 v[14:15], s44, v[12:13]
	v_and_b32_e32 v3, s33, v14
	v_lshlrev_b32_e32 v3, 3, v3
	ds_read_b64 v[14:15], v3
	v_xor_b32_e32 v13, 0x80000000, v13
	s_waitcnt lgkmcnt(0)
	v_lshl_add_u64 v[14:15], v[14:15], 3, s[38:39]
	v_lshl_add_u64 v[14:15], v[14:15], 0, v[10:11]
	global_store_dwordx2 v[14:15], v[12:13], off
.LBB121_49:
	s_or_b64 exec, exec, s[18:19]
	v_or_b32_e32 v3, 0x800, v8
	v_cmp_gt_u32_e64 s[18:19], s49, v3
	v_lshlrev_b32_e32 v12, 3, v3
	s_and_saveexec_b64 s[20:21], s[18:19]
	s_cbranch_execz .LBB121_51
; %bb.50:
	ds_read_b64 v[14:15], v2 offset:16896
	v_mov_b32_e32 v13, 0
	s_waitcnt lgkmcnt(0)
	v_lshrrev_b64 v[16:17], s44, v[14:15]
	v_and_b32_e32 v3, s33, v16
	v_lshlrev_b32_e32 v3, 3, v3
	ds_read_b64 v[16:17], v3
	v_xor_b32_e32 v15, 0x80000000, v15
	s_waitcnt lgkmcnt(0)
	v_lshl_add_u64 v[16:17], v[16:17], 3, s[38:39]
	v_lshl_add_u64 v[16:17], v[16:17], 0, v[12:13]
	global_store_dwordx2 v[16:17], v[14:15], off
.LBB121_51:
	;; [unrolled: 20-line block ×5, first 2 shown]
	s_or_b64 exec, exec, s[50:51]
	s_add_u32 s46, s40, s46
	s_addc_u32 s47, s41, s47
	v_mov_b32_e32 v5, 0
	v_lshl_add_u64 v[18:19], s[46:47], 0, v[4:5]
	v_mov_b32_e32 v7, v5
	v_lshl_add_u64 v[30:31], v[18:19], 0, v[6:7]
                                        ; implicit-def: $vgpr4_vgpr5
	s_and_saveexec_b64 s[46:47], vcc
	s_xor_b64 s[46:47], exec, s[46:47]
	s_cbranch_execz .LBB121_63
; %bb.58:
	global_load_dwordx2 v[4:5], v[30:31], off
	s_or_b64 exec, exec, s[46:47]
                                        ; implicit-def: $vgpr6_vgpr7
	s_and_saveexec_b64 s[46:47], s[26:27]
	s_cbranch_execnz .LBB121_64
.LBB121_59:
	s_or_b64 exec, exec, s[46:47]
                                        ; implicit-def: $vgpr18_vgpr19
	s_and_saveexec_b64 s[26:27], s[4:5]
	s_cbranch_execz .LBB121_65
.LBB121_60:
	global_load_dwordx2 v[18:19], v[30:31], off offset:1024
	s_or_b64 exec, exec, s[26:27]
                                        ; implicit-def: $vgpr20_vgpr21
	s_and_saveexec_b64 s[4:5], s[6:7]
	s_cbranch_execnz .LBB121_66
.LBB121_61:
	s_or_b64 exec, exec, s[4:5]
                                        ; implicit-def: $vgpr26_vgpr27
	s_and_saveexec_b64 s[4:5], s[8:9]
	s_cbranch_execz .LBB121_67
.LBB121_62:
	global_load_dwordx2 v[26:27], v[30:31], off offset:2048
	s_or_b64 exec, exec, s[4:5]
                                        ; implicit-def: $vgpr28_vgpr29
	s_and_saveexec_b64 s[4:5], s[10:11]
	s_cbranch_execnz .LBB121_68
	s_branch .LBB121_69
.LBB121_63:
	s_or_b64 exec, exec, s[46:47]
                                        ; implicit-def: $vgpr6_vgpr7
	s_and_saveexec_b64 s[46:47], s[26:27]
	s_cbranch_execz .LBB121_59
.LBB121_64:
	global_load_dwordx2 v[6:7], v[30:31], off offset:512
	s_or_b64 exec, exec, s[46:47]
                                        ; implicit-def: $vgpr18_vgpr19
	s_and_saveexec_b64 s[26:27], s[4:5]
	s_cbranch_execnz .LBB121_60
.LBB121_65:
	s_or_b64 exec, exec, s[26:27]
                                        ; implicit-def: $vgpr20_vgpr21
	s_and_saveexec_b64 s[4:5], s[6:7]
	s_cbranch_execz .LBB121_61
.LBB121_66:
	global_load_dwordx2 v[20:21], v[30:31], off offset:1536
	s_or_b64 exec, exec, s[4:5]
                                        ; implicit-def: $vgpr26_vgpr27
	s_and_saveexec_b64 s[4:5], s[8:9]
	s_cbranch_execnz .LBB121_62
.LBB121_67:
	s_or_b64 exec, exec, s[4:5]
                                        ; implicit-def: $vgpr28_vgpr29
	s_and_saveexec_b64 s[4:5], s[10:11]
	s_cbranch_execz .LBB121_69
.LBB121_68:
	global_load_dwordx2 v[28:29], v[30:31], off offset:2560
.LBB121_69:
	s_or_b64 exec, exec, s[4:5]
	v_mov_b32_e32 v11, 0
	v_mov_b32_e32 v3, 0
	s_and_saveexec_b64 s[4:5], s[14:15]
	s_cbranch_execz .LBB121_71
; %bb.70:
	ds_read_b64 v[30:31], v2 offset:512
	s_waitcnt lgkmcnt(0)
	v_lshrrev_b64 v[30:31], s44, v[30:31]
	v_and_b32_e32 v3, s33, v30
.LBB121_71:
	s_or_b64 exec, exec, s[4:5]
	s_and_saveexec_b64 s[4:5], s[16:17]
	s_cbranch_execz .LBB121_73
; %bb.72:
	ds_read_b64 v[30:31], v2 offset:8704
	s_waitcnt lgkmcnt(0)
	v_lshrrev_b64 v[30:31], s44, v[30:31]
	v_and_b32_e32 v11, s33, v30
.LBB121_73:
	s_or_b64 exec, exec, s[4:5]
	v_mov_b32_e32 v15, 0
	v_mov_b32_e32 v13, 0
	s_and_saveexec_b64 s[4:5], s[18:19]
	s_cbranch_execz .LBB121_75
; %bb.74:
	ds_read_b64 v[30:31], v2 offset:16896
	s_waitcnt lgkmcnt(0)
	v_lshrrev_b64 v[30:31], s44, v[30:31]
	v_and_b32_e32 v13, s33, v30
.LBB121_75:
	s_or_b64 exec, exec, s[4:5]
	s_and_saveexec_b64 s[4:5], s[20:21]
	s_cbranch_execz .LBB121_77
; %bb.76:
	ds_read_b64 v[30:31], v2 offset:25088
	s_waitcnt lgkmcnt(0)
	v_lshrrev_b64 v[30:31], s44, v[30:31]
	v_and_b32_e32 v15, s33, v30
.LBB121_77:
	;; [unrolled: 20-line block ×3, first 2 shown]
	s_or_b64 exec, exec, s[4:5]
	s_barrier
	s_waitcnt vmcnt(0)
	ds_write_b64 v25, v[4:5] offset:512
	ds_write_b64 v32, v[6:7] offset:512
	;; [unrolled: 1-line block ×6, first 2 shown]
	s_waitcnt lgkmcnt(0)
	s_barrier
	s_and_saveexec_b64 s[4:5], s[14:15]
	s_cbranch_execz .LBB121_87
; %bb.82:
	v_lshlrev_b32_e32 v3, 3, v3
	ds_read_b64 v[4:5], v3
	ds_read_b64 v[6:7], v2 offset:512
	v_mov_b32_e32 v3, 0
	s_waitcnt lgkmcnt(1)
	v_lshl_add_u64 v[4:5], v[4:5], 3, s[42:43]
	v_lshl_add_u64 v[4:5], v[4:5], 0, v[2:3]
	s_waitcnt lgkmcnt(0)
	global_store_dwordx2 v[4:5], v[6:7], off
	s_or_b64 exec, exec, s[4:5]
	s_and_saveexec_b64 s[4:5], s[16:17]
	s_cbranch_execnz .LBB121_88
.LBB121_83:
	s_or_b64 exec, exec, s[4:5]
	s_and_saveexec_b64 s[4:5], s[18:19]
	s_cbranch_execz .LBB121_89
.LBB121_84:
	v_lshlrev_b32_e32 v3, 3, v13
	ds_read_b64 v[4:5], v3
	ds_read_b64 v[6:7], v2 offset:16896
	v_mov_b32_e32 v13, 0
	s_waitcnt lgkmcnt(1)
	v_lshl_add_u64 v[4:5], v[4:5], 3, s[42:43]
	v_lshl_add_u64 v[4:5], v[4:5], 0, v[12:13]
	s_waitcnt lgkmcnt(0)
	global_store_dwordx2 v[4:5], v[6:7], off
	s_or_b64 exec, exec, s[4:5]
	s_and_saveexec_b64 s[4:5], s[20:21]
	s_cbranch_execnz .LBB121_90
.LBB121_85:
	s_or_b64 exec, exec, s[4:5]
	s_and_saveexec_b64 s[4:5], s[22:23]
	s_cbranch_execz .LBB121_91
.LBB121_86:
	v_lshlrev_b32_e32 v3, 3, v17
	ds_read_b64 v[4:5], v3
	ds_read_b64 v[6:7], v2 offset:33280
	v_mov_b32_e32 v17, 0
	s_waitcnt lgkmcnt(1)
	v_lshl_add_u64 v[4:5], v[4:5], 3, s[42:43]
	v_lshl_add_u64 v[4:5], v[4:5], 0, v[16:17]
	s_waitcnt lgkmcnt(0)
	global_store_dwordx2 v[4:5], v[6:7], off
	s_or_b64 exec, exec, s[4:5]
	s_and_saveexec_b64 s[4:5], s[24:25]
	s_cbranch_execnz .LBB121_92
	s_branch .LBB121_93
.LBB121_87:
	s_or_b64 exec, exec, s[4:5]
	s_and_saveexec_b64 s[4:5], s[16:17]
	s_cbranch_execz .LBB121_83
.LBB121_88:
	v_lshlrev_b32_e32 v3, 3, v11
	ds_read_b64 v[4:5], v3
	ds_read_b64 v[6:7], v2 offset:8704
	v_mov_b32_e32 v11, 0
	s_waitcnt lgkmcnt(1)
	v_lshl_add_u64 v[4:5], v[4:5], 3, s[42:43]
	v_lshl_add_u64 v[4:5], v[4:5], 0, v[10:11]
	s_waitcnt lgkmcnt(0)
	global_store_dwordx2 v[4:5], v[6:7], off
	s_or_b64 exec, exec, s[4:5]
	s_and_saveexec_b64 s[4:5], s[18:19]
	s_cbranch_execnz .LBB121_84
.LBB121_89:
	s_or_b64 exec, exec, s[4:5]
	s_and_saveexec_b64 s[4:5], s[20:21]
	s_cbranch_execz .LBB121_85
.LBB121_90:
	v_lshlrev_b32_e32 v3, 3, v15
	ds_read_b64 v[4:5], v3
	ds_read_b64 v[6:7], v2 offset:25088
	v_mov_b32_e32 v15, 0
	s_waitcnt lgkmcnt(1)
	v_lshl_add_u64 v[4:5], v[4:5], 3, s[42:43]
	v_lshl_add_u64 v[4:5], v[4:5], 0, v[14:15]
	s_waitcnt lgkmcnt(0)
	global_store_dwordx2 v[4:5], v[6:7], off
	s_or_b64 exec, exec, s[4:5]
	s_and_saveexec_b64 s[4:5], s[22:23]
	s_cbranch_execnz .LBB121_86
.LBB121_91:
	s_or_b64 exec, exec, s[4:5]
	s_and_saveexec_b64 s[4:5], s[24:25]
	s_cbranch_execz .LBB121_93
.LBB121_92:
	v_lshlrev_b32_e32 v3, 3, v9
	ds_read_b64 v[4:5], v3
	ds_read_b64 v[6:7], v2 offset:41472
	v_mov_b32_e32 v9, 0
	s_waitcnt lgkmcnt(1)
	v_lshl_add_u64 v[4:5], v[4:5], 3, s[42:43]
	v_lshl_add_u64 v[4:5], v[4:5], 0, v[8:9]
	s_waitcnt lgkmcnt(0)
	global_store_dwordx2 v[4:5], v[6:7], off
.LBB121_93:
	s_or_b64 exec, exec, s[4:5]
	s_add_i32 s3, s3, -1
	s_cmp_eq_u32 s2, s3
	s_cselect_b64 s[4:5], -1, 0
	s_xor_b64 s[6:7], s[12:13], -1
	s_and_b64 s[6:7], s[6:7], s[4:5]
	s_and_saveexec_b64 s[4:5], s[6:7]
	s_cbranch_execz .LBB121_95
; %bb.94:
	ds_read_b64 v[4:5], v2
	v_mov_b32_e32 v25, 0
	v_lshl_add_u64 v[6:7], v[22:23], 0, v[24:25]
	s_waitcnt lgkmcnt(0)
	v_lshl_add_u64 v[4:5], v[6:7], 0, v[4:5]
	global_store_dwordx2 v2, v[4:5], s[30:31]
.LBB121_95:
	s_or_b64 exec, exec, s[4:5]
	s_mov_b64 s[4:5], 0
.LBB121_96:
	s_and_b64 vcc, exec, s[4:5]
	s_cbranch_vccz .LBB121_131
; %bb.97:
	s_mov_b32 s49, 0
	s_lshl_b64 s[12:13], s[48:49], 3
	s_add_u32 s4, s36, s12
	v_mbcnt_hi_u32_b32 v1, -1, v1
	v_and_b32_e32 v2, 0x3c0, v0
	v_mov_b32_e32 v21, 0
	s_addc_u32 s5, s37, s13
	v_mul_u32_u24_e32 v4, 6, v2
	v_lshlrev_b32_e32 v2, 3, v1
	v_mov_b32_e32 v3, v21
	v_lshl_add_u64 v[6:7], s[4:5], 0, v[2:3]
	v_lshlrev_b32_e32 v4, 3, v4
	v_mov_b32_e32 v5, v21
	v_lshl_add_u64 v[22:23], v[6:7], 0, v[4:5]
	global_load_dwordx2 v[8:9], v[22:23], off
	s_load_dword s4, s[0:1], 0x5c
	s_load_dword s3, s[0:1], 0x50
	s_add_u32 s0, s0, 0x50
	s_addc_u32 s1, s1, 0
	v_and_b32_e32 v6, 0x3ff, v0
	s_waitcnt lgkmcnt(0)
	s_lshr_b32 s4, s4, 16
	s_cmp_lt_u32 s2, s3
	s_cselect_b32 s5, 12, 18
	s_add_u32 s0, s0, s5
	s_addc_u32 s1, s1, 0
	global_load_ushort v3, v21, s[0:1]
	global_load_dwordx2 v[18:19], v[22:23], off offset:512
	global_load_dwordx2 v[16:17], v[22:23], off offset:1024
	;; [unrolled: 1-line block ×5, first 2 shown]
	v_bfe_u32 v5, v0, 10, 10
	v_bfe_u32 v7, v0, 20, 10
	s_lshl_b32 s0, -1, s45
	v_lshlrev_b32_e32 v0, 3, v6
	v_mov_b32_e32 v20, v21
	v_mad_u32_u24 v5, v7, s4, v5
	ds_write_b64 v0, v[20:21] offset:64
	v_mov_b32_e32 v22, v21
	s_not_b32 s14, s0
	s_movk_i32 s15, 0x44
	v_mov_b32_e32 v24, v21
	v_mov_b32_e32 v26, v21
	;; [unrolled: 1-line block ×4, first 2 shown]
	s_waitcnt lgkmcnt(0)
	s_barrier
	s_waitcnt vmcnt(6)
	; wave barrier
	v_xor_b32_e32 v9, 0x80000000, v9
	v_lshrrev_b64 v[32:33], s44, v[8:9]
	v_bitop3_b32 v7, v32, s0, v32 bitop3:0x30
	v_and_b32_e32 v20, 1, v7
	v_lshlrev_b32_e32 v23, 30, v7
	v_lshlrev_b32_e32 v25, 29, v7
	v_lshl_add_u64 v[34:35], v[20:21], 0, -1
	v_cmp_ne_u32_e32 vcc, 0, v20
	v_lshlrev_b32_e32 v27, 28, v7
	v_mul_lo_u32 v36, v7, s15
	s_waitcnt vmcnt(5)
	v_mad_u64_u32 v[32:33], s[0:1], v5, v3, v[6:7]
	v_not_b32_e32 v3, v23
	v_cmp_gt_i64_e64 s[0:1], 0, v[22:23]
	v_not_b32_e32 v5, v25
	v_xor_b32_e32 v23, vcc_lo, v34
	v_ashrrev_i32_e32 v3, 31, v3
	v_lshlrev_b32_e32 v29, 27, v7
	v_lshlrev_b32_e32 v31, 26, v7
	v_cmp_gt_i64_e64 s[4:5], 0, v[24:25]
	v_not_b32_e32 v7, v27
	v_ashrrev_i32_e32 v24, 31, v5
	v_and_b32_e32 v23, exec_lo, v23
	v_xor_b32_e32 v25, s1, v3
	v_xor_b32_e32 v3, s0, v3
	v_cmp_gt_i64_e64 s[6:7], 0, v[26:27]
	v_not_b32_e32 v20, v29
	v_xor_b32_e32 v22, vcc_hi, v35
	v_ashrrev_i32_e32 v7, 31, v7
	v_xor_b32_e32 v26, s5, v24
	v_xor_b32_e32 v24, s4, v24
	v_and_b32_e32 v3, v23, v3
	v_cmp_gt_i64_e64 s[8:9], 0, v[28:29]
	v_ashrrev_i32_e32 v20, 31, v20
	v_and_b32_e32 v22, exec_hi, v22
	v_xor_b32_e32 v27, s7, v7
	v_xor_b32_e32 v7, s6, v7
	v_and_b32_e32 v3, v3, v24
	v_xor_b32_e32 v28, s9, v20
	v_xor_b32_e32 v20, s8, v20
	v_and_b32_e32 v22, v22, v25
	v_and_b32_e32 v3, v3, v7
	;; [unrolled: 1-line block ×4, first 2 shown]
	v_not_b32_e32 v20, v31
	v_cmp_gt_i64_e64 s[10:11], 0, v[30:31]
	v_and_b32_e32 v22, v22, v27
	v_ashrrev_i32_e32 v20, 31, v20
	v_and_b32_e32 v7, v22, v28
	v_xor_b32_e32 v22, s11, v20
	v_xor_b32_e32 v20, s10, v20
	v_and_b32_e32 v23, v7, v22
	v_and_b32_e32 v22, v3, v20
	v_mbcnt_lo_u32_b32 v3, v22, 0
	v_mbcnt_hi_u32_b32 v3, v23, v3
	v_lshrrev_b32_e32 v30, 6, v32
	v_cmp_eq_u32_e32 vcc, 0, v3
	v_cmp_ne_u64_e64 s[0:1], 0, v[22:23]
	v_lshl_add_u32 v5, v30, 2, v36
	s_and_b64 s[4:5], s[0:1], vcc
	s_and_saveexec_b64 s[0:1], s[4:5]
; %bb.98:
	v_bcnt_u32_b32 v7, v22, 0
	v_bcnt_u32_b32 v7, v23, v7
	ds_write_b32 v5, v7 offset:64
; %bb.99:
	s_or_b64 exec, exec, s[0:1]
	s_waitcnt vmcnt(4)
	v_xor_b32_e32 v19, 0x80000000, v19
	v_lshrrev_b64 v[22:23], s44, v[18:19]
	v_and_b32_e32 v25, s14, v22
	v_and_b32_e32 v20, 1, v25
	v_lshl_add_u64 v[22:23], v[20:21], 0, -1
	v_cmp_ne_u32_e32 vcc, 0, v20
	v_mul_lo_u32 v7, v25, s15
	v_lshl_add_u32 v24, v30, 2, v7
	v_xor_b32_e32 v22, vcc_lo, v22
	v_xor_b32_e32 v20, vcc_hi, v23
	v_and_b32_e32 v26, exec_lo, v22
	v_lshlrev_b32_e32 v23, 30, v25
	v_mov_b32_e32 v22, v21
	v_cmp_gt_i64_e32 vcc, 0, v[22:23]
	v_not_b32_e32 v22, v23
	v_ashrrev_i32_e32 v22, 31, v22
	v_and_b32_e32 v20, exec_hi, v20
	v_xor_b32_e32 v23, vcc_hi, v22
	v_xor_b32_e32 v22, vcc_lo, v22
	v_and_b32_e32 v20, v20, v23
	v_and_b32_e32 v26, v26, v22
	v_lshlrev_b32_e32 v23, 29, v25
	v_mov_b32_e32 v22, v21
	v_cmp_gt_i64_e32 vcc, 0, v[22:23]
	v_not_b32_e32 v22, v23
	v_ashrrev_i32_e32 v22, 31, v22
	v_xor_b32_e32 v23, vcc_hi, v22
	v_xor_b32_e32 v22, vcc_lo, v22
	v_and_b32_e32 v20, v20, v23
	v_and_b32_e32 v26, v26, v22
	v_lshlrev_b32_e32 v23, 28, v25
	v_mov_b32_e32 v22, v21
	v_cmp_gt_i64_e32 vcc, 0, v[22:23]
	v_not_b32_e32 v22, v23
	v_ashrrev_i32_e32 v22, 31, v22
	;; [unrolled: 9-line block ×3, first 2 shown]
	v_xor_b32_e32 v23, vcc_hi, v22
	v_xor_b32_e32 v22, vcc_lo, v22
	v_and_b32_e32 v20, v20, v23
	v_lshlrev_b32_e32 v23, 26, v25
	v_and_b32_e32 v26, v26, v22
	v_mov_b32_e32 v22, v21
	v_not_b32_e32 v21, v23
	v_cmp_gt_i64_e32 vcc, 0, v[22:23]
	v_ashrrev_i32_e32 v21, 31, v21
	s_nop 0
	v_xor_b32_e32 v22, vcc_hi, v21
	v_xor_b32_e32 v23, vcc_lo, v21
	; wave barrier
	ds_read_b32 v7, v24 offset:64
	v_and_b32_e32 v21, v20, v22
	v_and_b32_e32 v20, v26, v23
	v_mbcnt_lo_u32_b32 v22, v20, 0
	v_mbcnt_hi_u32_b32 v25, v21, v22
	v_cmp_eq_u32_e32 vcc, 0, v25
	v_cmp_ne_u64_e64 s[0:1], 0, v[20:21]
	s_and_b64 s[4:5], s[0:1], vcc
	; wave barrier
	s_and_saveexec_b64 s[0:1], s[4:5]
	s_cbranch_execz .LBB121_101
; %bb.100:
	v_bcnt_u32_b32 v20, v20, 0
	v_bcnt_u32_b32 v20, v21, v20
	s_waitcnt lgkmcnt(0)
	v_add_u32_e32 v20, v7, v20
	ds_write_b32 v24, v20 offset:64
.LBB121_101:
	s_or_b64 exec, exec, s[0:1]
	s_waitcnt vmcnt(3)
	v_xor_b32_e32 v17, 0x80000000, v17
	v_lshrrev_b64 v[20:21], s44, v[16:17]
	v_and_b32_e32 v28, s14, v20
	s_movk_i32 s4, 0x44
	v_mul_lo_u32 v20, v28, s4
	v_lshl_add_u32 v27, v30, 2, v20
	v_and_b32_e32 v20, 1, v28
	v_mov_b32_e32 v21, 0
	v_lshl_add_u64 v[22:23], v[20:21], 0, -1
	v_cmp_ne_u32_e32 vcc, 0, v20
	; wave barrier
	s_nop 1
	v_xor_b32_e32 v22, vcc_lo, v22
	v_xor_b32_e32 v20, vcc_hi, v23
	v_and_b32_e32 v29, exec_lo, v22
	v_lshlrev_b32_e32 v23, 30, v28
	v_mov_b32_e32 v22, v21
	v_cmp_gt_i64_e32 vcc, 0, v[22:23]
	v_not_b32_e32 v22, v23
	v_ashrrev_i32_e32 v22, 31, v22
	v_and_b32_e32 v20, exec_hi, v20
	v_xor_b32_e32 v23, vcc_hi, v22
	v_xor_b32_e32 v22, vcc_lo, v22
	v_and_b32_e32 v20, v20, v23
	v_and_b32_e32 v29, v29, v22
	v_lshlrev_b32_e32 v23, 29, v28
	v_mov_b32_e32 v22, v21
	v_cmp_gt_i64_e32 vcc, 0, v[22:23]
	v_not_b32_e32 v22, v23
	v_ashrrev_i32_e32 v22, 31, v22
	v_xor_b32_e32 v23, vcc_hi, v22
	v_xor_b32_e32 v22, vcc_lo, v22
	v_and_b32_e32 v20, v20, v23
	v_and_b32_e32 v29, v29, v22
	v_lshlrev_b32_e32 v23, 28, v28
	v_mov_b32_e32 v22, v21
	v_cmp_gt_i64_e32 vcc, 0, v[22:23]
	v_not_b32_e32 v22, v23
	v_ashrrev_i32_e32 v22, 31, v22
	;; [unrolled: 9-line block ×4, first 2 shown]
	v_xor_b32_e32 v23, vcc_hi, v22
	v_xor_b32_e32 v22, vcc_lo, v22
	ds_read_b32 v26, v27 offset:64
	v_and_b32_e32 v22, v29, v22
	v_and_b32_e32 v23, v20, v23
	v_mbcnt_lo_u32_b32 v20, v22, 0
	v_mbcnt_hi_u32_b32 v28, v23, v20
	v_cmp_eq_u32_e32 vcc, 0, v28
	v_cmp_ne_u64_e64 s[0:1], 0, v[22:23]
	s_and_b64 s[6:7], s[0:1], vcc
	; wave barrier
	s_and_saveexec_b64 s[0:1], s[6:7]
	s_cbranch_execz .LBB121_103
; %bb.102:
	v_bcnt_u32_b32 v20, v22, 0
	v_bcnt_u32_b32 v20, v23, v20
	s_waitcnt lgkmcnt(0)
	v_add_u32_e32 v20, v26, v20
	ds_write_b32 v27, v20 offset:64
.LBB121_103:
	s_or_b64 exec, exec, s[0:1]
	s_waitcnt vmcnt(2)
	v_xor_b32_e32 v15, 0x80000000, v15
	v_lshrrev_b64 v[22:23], s44, v[14:15]
	v_and_b32_e32 v32, s14, v22
	v_mul_lo_u32 v20, v32, s4
	v_lshl_add_u32 v31, v30, 2, v20
	v_and_b32_e32 v20, 1, v32
	v_lshl_add_u64 v[22:23], v[20:21], 0, -1
	v_cmp_ne_u32_e32 vcc, 0, v20
	; wave barrier
	s_nop 1
	v_xor_b32_e32 v22, vcc_lo, v22
	v_xor_b32_e32 v20, vcc_hi, v23
	v_and_b32_e32 v33, exec_lo, v22
	v_lshlrev_b32_e32 v23, 30, v32
	v_mov_b32_e32 v22, v21
	v_cmp_gt_i64_e32 vcc, 0, v[22:23]
	v_not_b32_e32 v22, v23
	v_ashrrev_i32_e32 v22, 31, v22
	v_and_b32_e32 v20, exec_hi, v20
	v_xor_b32_e32 v23, vcc_hi, v22
	v_xor_b32_e32 v22, vcc_lo, v22
	v_and_b32_e32 v20, v20, v23
	v_and_b32_e32 v33, v33, v22
	v_lshlrev_b32_e32 v23, 29, v32
	v_mov_b32_e32 v22, v21
	v_cmp_gt_i64_e32 vcc, 0, v[22:23]
	v_not_b32_e32 v22, v23
	v_ashrrev_i32_e32 v22, 31, v22
	v_xor_b32_e32 v23, vcc_hi, v22
	v_xor_b32_e32 v22, vcc_lo, v22
	v_and_b32_e32 v20, v20, v23
	v_and_b32_e32 v33, v33, v22
	v_lshlrev_b32_e32 v23, 28, v32
	v_mov_b32_e32 v22, v21
	v_cmp_gt_i64_e32 vcc, 0, v[22:23]
	v_not_b32_e32 v22, v23
	v_ashrrev_i32_e32 v22, 31, v22
	;; [unrolled: 9-line block ×3, first 2 shown]
	v_xor_b32_e32 v23, vcc_hi, v22
	v_xor_b32_e32 v22, vcc_lo, v22
	v_and_b32_e32 v20, v20, v23
	v_lshlrev_b32_e32 v23, 26, v32
	v_and_b32_e32 v33, v33, v22
	v_mov_b32_e32 v22, v21
	v_not_b32_e32 v21, v23
	v_cmp_gt_i64_e32 vcc, 0, v[22:23]
	v_ashrrev_i32_e32 v21, 31, v21
	ds_read_b32 v29, v31 offset:64
	v_xor_b32_e32 v22, vcc_hi, v21
	v_xor_b32_e32 v23, vcc_lo, v21
	v_and_b32_e32 v21, v20, v22
	v_and_b32_e32 v20, v33, v23
	v_mbcnt_lo_u32_b32 v22, v20, 0
	v_mbcnt_hi_u32_b32 v32, v21, v22
	v_cmp_eq_u32_e32 vcc, 0, v32
	v_cmp_ne_u64_e64 s[0:1], 0, v[20:21]
	s_and_b64 s[4:5], s[0:1], vcc
	; wave barrier
	s_and_saveexec_b64 s[0:1], s[4:5]
	s_cbranch_execz .LBB121_105
; %bb.104:
	v_bcnt_u32_b32 v20, v20, 0
	v_bcnt_u32_b32 v20, v21, v20
	s_waitcnt lgkmcnt(0)
	v_add_u32_e32 v20, v29, v20
	ds_write_b32 v31, v20 offset:64
.LBB121_105:
	s_or_b64 exec, exec, s[0:1]
	s_waitcnt vmcnt(1)
	v_xor_b32_e32 v13, 0x80000000, v13
	v_lshrrev_b64 v[20:21], s44, v[12:13]
	v_and_b32_e32 v35, s14, v20
	s_movk_i32 s4, 0x44
	v_mul_lo_u32 v20, v35, s4
	v_lshl_add_u32 v34, v30, 2, v20
	v_and_b32_e32 v20, 1, v35
	v_mov_b32_e32 v21, 0
	v_lshl_add_u64 v[22:23], v[20:21], 0, -1
	v_cmp_ne_u32_e32 vcc, 0, v20
	; wave barrier
	s_nop 1
	v_xor_b32_e32 v22, vcc_lo, v22
	v_xor_b32_e32 v20, vcc_hi, v23
	v_and_b32_e32 v36, exec_lo, v22
	v_lshlrev_b32_e32 v23, 30, v35
	v_mov_b32_e32 v22, v21
	v_cmp_gt_i64_e32 vcc, 0, v[22:23]
	v_not_b32_e32 v22, v23
	v_ashrrev_i32_e32 v22, 31, v22
	v_and_b32_e32 v20, exec_hi, v20
	v_xor_b32_e32 v23, vcc_hi, v22
	v_xor_b32_e32 v22, vcc_lo, v22
	v_and_b32_e32 v20, v20, v23
	v_and_b32_e32 v36, v36, v22
	v_lshlrev_b32_e32 v23, 29, v35
	v_mov_b32_e32 v22, v21
	v_cmp_gt_i64_e32 vcc, 0, v[22:23]
	v_not_b32_e32 v22, v23
	v_ashrrev_i32_e32 v22, 31, v22
	v_xor_b32_e32 v23, vcc_hi, v22
	v_xor_b32_e32 v22, vcc_lo, v22
	v_and_b32_e32 v20, v20, v23
	v_and_b32_e32 v36, v36, v22
	v_lshlrev_b32_e32 v23, 28, v35
	v_mov_b32_e32 v22, v21
	v_cmp_gt_i64_e32 vcc, 0, v[22:23]
	v_not_b32_e32 v22, v23
	v_ashrrev_i32_e32 v22, 31, v22
	;; [unrolled: 9-line block ×4, first 2 shown]
	v_xor_b32_e32 v23, vcc_hi, v22
	v_xor_b32_e32 v22, vcc_lo, v22
	ds_read_b32 v33, v34 offset:64
	v_and_b32_e32 v22, v36, v22
	v_and_b32_e32 v23, v20, v23
	v_mbcnt_lo_u32_b32 v20, v22, 0
	v_mbcnt_hi_u32_b32 v35, v23, v20
	v_cmp_eq_u32_e32 vcc, 0, v35
	v_cmp_ne_u64_e64 s[0:1], 0, v[22:23]
	s_and_b64 s[6:7], s[0:1], vcc
	; wave barrier
	s_and_saveexec_b64 s[0:1], s[6:7]
	s_cbranch_execz .LBB121_107
; %bb.106:
	v_bcnt_u32_b32 v20, v22, 0
	v_bcnt_u32_b32 v20, v23, v20
	s_waitcnt lgkmcnt(0)
	v_add_u32_e32 v20, v33, v20
	ds_write_b32 v34, v20 offset:64
.LBB121_107:
	s_or_b64 exec, exec, s[0:1]
	s_waitcnt vmcnt(0)
	v_xor_b32_e32 v11, 0x80000000, v11
	v_lshrrev_b64 v[22:23], s44, v[10:11]
	v_and_b32_e32 v23, s14, v22
	v_mul_lo_u32 v20, v23, s4
	v_lshl_add_u32 v22, v30, 2, v20
	v_and_b32_e32 v20, 1, v23
	v_lshl_add_u64 v[36:37], v[20:21], 0, -1
	v_cmp_ne_u32_e32 vcc, 0, v20
	; wave barrier
	s_nop 1
	v_xor_b32_e32 v36, vcc_lo, v36
	v_xor_b32_e32 v20, vcc_hi, v37
	v_and_b32_e32 v38, exec_lo, v36
	v_lshlrev_b32_e32 v37, 30, v23
	v_mov_b32_e32 v36, v21
	v_cmp_gt_i64_e32 vcc, 0, v[36:37]
	v_not_b32_e32 v36, v37
	v_ashrrev_i32_e32 v36, 31, v36
	v_and_b32_e32 v20, exec_hi, v20
	v_xor_b32_e32 v37, vcc_hi, v36
	v_xor_b32_e32 v36, vcc_lo, v36
	v_and_b32_e32 v20, v20, v37
	v_and_b32_e32 v38, v38, v36
	v_lshlrev_b32_e32 v37, 29, v23
	v_mov_b32_e32 v36, v21
	v_cmp_gt_i64_e32 vcc, 0, v[36:37]
	v_not_b32_e32 v36, v37
	v_ashrrev_i32_e32 v36, 31, v36
	v_xor_b32_e32 v37, vcc_hi, v36
	v_xor_b32_e32 v36, vcc_lo, v36
	v_and_b32_e32 v20, v20, v37
	v_and_b32_e32 v38, v38, v36
	v_lshlrev_b32_e32 v37, 28, v23
	v_mov_b32_e32 v36, v21
	v_cmp_gt_i64_e32 vcc, 0, v[36:37]
	v_not_b32_e32 v36, v37
	v_ashrrev_i32_e32 v36, 31, v36
	;; [unrolled: 9-line block ×3, first 2 shown]
	v_xor_b32_e32 v37, vcc_hi, v36
	v_xor_b32_e32 v36, vcc_lo, v36
	v_and_b32_e32 v20, v20, v37
	v_lshlrev_b32_e32 v37, 26, v23
	v_and_b32_e32 v38, v38, v36
	v_mov_b32_e32 v36, v21
	v_not_b32_e32 v21, v37
	v_cmp_gt_i64_e32 vcc, 0, v[36:37]
	v_ashrrev_i32_e32 v21, 31, v21
	ds_read_b32 v30, v22 offset:64
	v_xor_b32_e32 v23, vcc_hi, v21
	v_xor_b32_e32 v36, vcc_lo, v21
	v_and_b32_e32 v21, v20, v23
	v_and_b32_e32 v20, v38, v36
	v_mbcnt_lo_u32_b32 v23, v20, 0
	v_mbcnt_hi_u32_b32 v36, v21, v23
	v_cmp_eq_u32_e32 vcc, 0, v36
	v_cmp_ne_u64_e64 s[0:1], 0, v[20:21]
	s_and_b64 s[4:5], s[0:1], vcc
	; wave barrier
	s_and_saveexec_b64 s[0:1], s[4:5]
	s_cbranch_execz .LBB121_109
; %bb.108:
	v_bcnt_u32_b32 v20, v20, 0
	v_bcnt_u32_b32 v20, v21, v20
	s_waitcnt lgkmcnt(0)
	v_add_u32_e32 v20, v30, v20
	ds_write_b32 v22, v20 offset:64
.LBB121_109:
	s_or_b64 exec, exec, s[0:1]
	; wave barrier
	s_waitcnt lgkmcnt(0)
	s_barrier
	ds_read_b64 v[20:21], v0 offset:64
	v_and_b32_e32 v23, 15, v1
	v_cmp_eq_u32_e32 vcc, 0, v23
	v_cmp_lt_u32_e64 s[0:1], 1, v23
	v_cmp_lt_u32_e64 s[6:7], 3, v23
	s_waitcnt lgkmcnt(0)
	v_add_u32_e32 v21, v21, v20
	v_cmp_lt_u32_e64 s[4:5], 7, v23
	v_cmp_lt_u32_e64 s[8:9], 31, v1
	v_mov_b32_dpp v37, v21 row_shr:1 row_mask:0xf bank_mask:0xf
	v_cndmask_b32_e64 v37, v37, 0, vcc
	v_add_u32_e32 v21, v37, v21
	s_nop 1
	v_mov_b32_dpp v37, v21 row_shr:2 row_mask:0xf bank_mask:0xf
	v_cndmask_b32_e64 v37, 0, v37, s[0:1]
	v_add_u32_e32 v21, v21, v37
	s_nop 1
	v_mov_b32_dpp v37, v21 row_shr:4 row_mask:0xf bank_mask:0xf
	v_cndmask_b32_e64 v37, 0, v37, s[6:7]
	;; [unrolled: 4-line block ×3, first 2 shown]
	v_add_u32_e32 v21, v21, v23
	v_bfe_i32 v37, v1, 4, 1
	s_nop 0
	v_mov_b32_dpp v23, v21 row_bcast:15 row_mask:0xf bank_mask:0xf
	v_and_b32_e32 v23, v37, v23
	v_add_u32_e32 v21, v21, v23
	v_and_b32_e32 v37, 63, v6
	s_nop 0
	v_mov_b32_dpp v23, v21 row_bcast:31 row_mask:0xf bank_mask:0xf
	v_cndmask_b32_e64 v23, 0, v23, s[8:9]
	v_add_u32_e32 v21, v21, v23
	v_lshrrev_b32_e32 v23, 6, v6
	v_cmp_eq_u32_e64 s[8:9], 63, v37
	s_and_saveexec_b64 s[10:11], s[8:9]
; %bb.110:
	v_lshlrev_b32_e32 v37, 2, v23
	ds_write_b32 v37, v21
; %bb.111:
	s_or_b64 exec, exec, s[10:11]
	v_cmp_gt_u32_e64 s[8:9], 16, v6
	s_waitcnt lgkmcnt(0)
	s_barrier
	s_and_saveexec_b64 s[10:11], s[8:9]
	s_cbranch_execz .LBB121_113
; %bb.112:
	v_lshlrev_b32_e32 v37, 2, v6
	ds_read_b32 v38, v37
	s_waitcnt lgkmcnt(0)
	s_nop 0
	v_mov_b32_dpp v39, v38 row_shr:1 row_mask:0xf bank_mask:0xf
	v_cndmask_b32_e64 v39, v39, 0, vcc
	v_add_u32_e32 v38, v39, v38
	s_nop 1
	v_mov_b32_dpp v39, v38 row_shr:2 row_mask:0xf bank_mask:0xf
	v_cndmask_b32_e64 v39, 0, v39, s[0:1]
	v_add_u32_e32 v38, v38, v39
	s_nop 1
	v_mov_b32_dpp v39, v38 row_shr:4 row_mask:0xf bank_mask:0xf
	v_cndmask_b32_e64 v39, 0, v39, s[6:7]
	;; [unrolled: 4-line block ×3, first 2 shown]
	v_add_u32_e32 v38, v38, v39
	ds_write_b32 v37, v38
.LBB121_113:
	s_or_b64 exec, exec, s[10:11]
	v_cmp_gt_u32_e64 s[0:1], 64, v6
	v_cmp_lt_u32_e32 vcc, 63, v6
	v_mov_b32_e32 v37, 0
	s_waitcnt lgkmcnt(0)
	s_barrier
	s_and_saveexec_b64 s[4:5], vcc
; %bb.114:
	v_lshl_add_u32 v23, v23, 2, -4
	ds_read_b32 v37, v23
; %bb.115:
	s_or_b64 exec, exec, s[4:5]
	v_add_u32_e32 v23, -1, v1
	v_and_b32_e32 v38, 64, v1
	v_cmp_lt_i32_e64 s[4:5], v23, v38
	s_waitcnt lgkmcnt(0)
	v_add_u32_e32 v21, v37, v21
	v_cndmask_b32_e64 v23, v23, v1, s[4:5]
	v_lshlrev_b32_e32 v23, 2, v23
	ds_bpermute_b32 v21, v23, v21
	v_cmp_eq_u32_e64 s[4:5], 0, v1
	s_waitcnt lgkmcnt(0)
	s_nop 0
	v_cndmask_b32_e64 v1, v21, v37, s[4:5]
	v_cmp_ne_u32_e64 s[4:5], 0, v6
	s_nop 1
	v_cndmask_b32_e64 v38, 0, v1, s[4:5]
	v_add_u32_e32 v39, v38, v20
	ds_write_b64 v0, v[38:39] offset:64
	s_waitcnt lgkmcnt(0)
	s_barrier
	ds_read_b32 v23, v5 offset:64
	ds_read_b32 v37, v24 offset:64
	;; [unrolled: 1-line block ×6, first 2 shown]
	v_mov_b64_e32 v[20:21], 0
                                        ; implicit-def: $vgpr22
	s_and_saveexec_b64 s[6:7], s[0:1]
	s_cbranch_execz .LBB121_119
; %bb.116:
	v_mul_u32_u24_e32 v20, 0x44, v6
	ds_read_b32 v20, v20 offset:64
	v_add_u32_e32 v22, 1, v6
	v_cmp_ne_u32_e64 s[4:5], 64, v22
	v_mov_b32_e32 v21, 0x1800
	s_and_saveexec_b64 s[8:9], s[4:5]
; %bb.117:
	v_mul_u32_u24_e32 v21, 0x44, v22
	ds_read_b32 v21, v21 offset:64
; %bb.118:
	s_or_b64 exec, exec, s[8:9]
	s_waitcnt lgkmcnt(0)
	v_sub_u32_e32 v22, v21, v20
	v_mov_b32_e32 v21, 0
.LBB121_119:
	s_or_b64 exec, exec, s[6:7]
	v_lshlrev_b32_e32 v3, 3, v3
	s_waitcnt lgkmcnt(5)
	v_lshl_add_u32 v23, v23, 3, v3
	s_waitcnt lgkmcnt(0)
	s_barrier
	ds_write_b64 v23, v[8:9] offset:512
	v_lshlrev_b32_e32 v3, 3, v25
	v_lshlrev_b32_e32 v7, 3, v7
	;; [unrolled: 1-line block ×3, first 2 shown]
	v_add3_u32 v7, v3, v7, v8
	v_lshlrev_b32_e32 v3, 3, v28
	v_lshlrev_b32_e32 v8, 3, v26
	v_lshlrev_b32_e32 v9, 3, v27
	ds_write_b64 v7, v[18:19] offset:512
	v_add3_u32 v18, v3, v8, v9
	v_lshlrev_b32_e32 v3, 3, v32
	v_lshlrev_b32_e32 v8, 3, v29
	v_lshlrev_b32_e32 v9, 3, v24
	ds_write_b64 v18, v[16:17] offset:512
	;; [unrolled: 5-line block ×3, first 2 shown]
	v_add3_u32 v14, v3, v8, v5
	v_lshlrev_b32_e32 v3, 3, v36
	v_lshlrev_b32_e32 v5, 3, v30
	;; [unrolled: 1-line block ×3, first 2 shown]
	v_add3_u32 v15, v3, v5, v1
	v_mov_b32_e32 v9, 0
	ds_write_b64 v14, v[12:13] offset:512
	ds_write_b64 v15, v[10:11] offset:512
	s_waitcnt lgkmcnt(0)
	s_barrier
	s_and_saveexec_b64 s[4:5], s[0:1]
	s_cbranch_execz .LBB121_129
; %bb.120:
	v_lshl_add_u32 v8, s2, 6, v6
	v_lshl_add_u64 v[10:11], v[8:9], 2, s[34:35]
	v_or_b32_e32 v1, 2.0, v22
	global_store_dword v[10:11], v1, off sc1
	s_mov_b64 s[6:7], 0
	s_brev_b32 s15, -4
	s_mov_b32 s16, s2
	v_mov_b32_e32 v1, 0
                                        ; implicit-def: $sgpr0_sgpr1
	s_branch .LBB121_123
.LBB121_121:                            ;   in Loop: Header=BB121_123 Depth=1
	s_or_b64 exec, exec, s[10:11]
.LBB121_122:                            ;   in Loop: Header=BB121_123 Depth=1
	s_or_b64 exec, exec, s[8:9]
	v_and_b32_e32 v5, 0x3fffffff, v3
	v_add_u32_e32 v1, v5, v1
	v_cmp_gt_i32_e64 s[0:1], -2.0, v3
	s_and_b64 s[8:9], exec, s[0:1]
	s_or_b64 s[6:7], s[8:9], s[6:7]
	s_andn2_b64 exec, exec, s[6:7]
	s_cbranch_execz .LBB121_128
.LBB121_123:                            ; =>This Loop Header: Depth=1
                                        ;     Child Loop BB121_126 Depth 2
	s_or_b64 s[0:1], s[0:1], exec
	s_cmp_eq_u32 s16, 0
	s_cbranch_scc1 .LBB121_127
; %bb.124:                              ;   in Loop: Header=BB121_123 Depth=1
	s_add_i32 s16, s16, -1
	v_lshl_or_b32 v8, s16, 6, v6
	v_lshl_add_u64 v[12:13], v[8:9], 2, s[34:35]
	global_load_dword v3, v[12:13], off sc1
	s_waitcnt vmcnt(0)
	v_cmp_gt_u32_e64 s[0:1], 2.0, v3
	s_and_saveexec_b64 s[8:9], s[0:1]
	s_cbranch_execz .LBB121_122
; %bb.125:                              ;   in Loop: Header=BB121_123 Depth=1
	s_mov_b64 s[10:11], 0
.LBB121_126:                            ;   Parent Loop BB121_123 Depth=1
                                        ; =>  This Inner Loop Header: Depth=2
	global_load_dword v3, v[12:13], off sc1
	s_waitcnt vmcnt(0)
	v_cmp_lt_u32_e64 s[0:1], s15, v3
	s_or_b64 s[10:11], s[0:1], s[10:11]
	s_andn2_b64 exec, exec, s[10:11]
	s_cbranch_execnz .LBB121_126
	s_branch .LBB121_121
.LBB121_127:                            ;   in Loop: Header=BB121_123 Depth=1
                                        ; implicit-def: $sgpr16
	s_and_b64 s[8:9], exec, s[0:1]
	s_or_b64 s[6:7], s[8:9], s[6:7]
	s_andn2_b64 exec, exec, s[6:7]
	s_cbranch_execnz .LBB121_123
.LBB121_128:
	s_or_b64 exec, exec, s[6:7]
	v_add_u32_e32 v3, v1, v22
	v_or_b32_e32 v3, 0x80000000, v3
	global_store_dword v[10:11], v3, off sc1
	global_load_dwordx2 v[8:9], v0, s[28:29]
	v_sub_co_u32_e64 v10, s[0:1], v1, v20
	s_nop 1
	v_subb_co_u32_e64 v11, s[0:1], 0, v21, s[0:1]
	s_waitcnt vmcnt(0)
	v_lshl_add_u64 v[8:9], v[10:11], 0, v[8:9]
	ds_write_b64 v0, v[8:9]
.LBB121_129:
	s_or_b64 exec, exec, s[4:5]
	s_waitcnt lgkmcnt(0)
	s_barrier
	ds_read2st64_b64 v[8:11], v0 offset0:1 offset1:17
	s_add_u32 s0, s40, s12
	s_addc_u32 s1, s41, s13
	s_add_i32 s3, s3, -1
	s_cmp_eq_u32 s2, s3
	s_waitcnt lgkmcnt(0)
	v_lshrrev_b64 v[12:13], s44, v[8:9]
	v_and_b32_e32 v1, s14, v12
	v_lshlrev_b32_e32 v6, 3, v1
	ds_read2st64_b64 v[24:27], v0 offset0:33 offset1:49
	ds_read_b64 v[12:13], v6
	v_lshrrev_b64 v[28:29], s44, v[10:11]
	v_and_b32_e32 v1, s14, v28
	v_lshlrev_b32_e32 v17, 3, v1
	s_waitcnt lgkmcnt(1)
	v_lshrrev_b64 v[28:29], s44, v[24:25]
	v_and_b32_e32 v1, s14, v28
	v_lshrrev_b64 v[28:29], s44, v[26:27]
	v_lshlrev_b32_e32 v19, 3, v1
	v_and_b32_e32 v1, s14, v28
	v_lshlrev_b32_e32 v38, 3, v1
	ds_read_b64 v[28:29], v17
	ds_read_b64 v[30:31], v19
	;; [unrolled: 1-line block ×3, first 2 shown]
	s_waitcnt lgkmcnt(3)
	v_lshl_add_u64 v[12:13], v[12:13], 3, s[38:39]
	v_mov_b32_e32 v1, 0
	v_xor_b32_e32 v9, 0x80000000, v9
	v_lshl_add_u64 v[12:13], v[12:13], 0, v[0:1]
	global_store_dwordx2 v[12:13], v[8:9], off
	s_waitcnt lgkmcnt(2)
	v_lshl_add_u64 v[8:9], v[28:29], 3, s[38:39]
	v_or_b32_e32 v12, 0x2000, v0
	v_mov_b32_e32 v13, v1
	v_xor_b32_e32 v11, 0x80000000, v11
	v_lshl_add_u64 v[8:9], v[8:9], 0, v[12:13]
	global_store_dwordx2 v[8:9], v[10:11], off
	s_waitcnt lgkmcnt(1)
	v_lshl_add_u64 v[8:9], v[30:31], 3, s[38:39]
	v_or_b32_e32 v28, 0x4000, v0
	v_mov_b32_e32 v29, v1
	v_xor_b32_e32 v25, 0x80000000, v25
	v_lshl_add_u64 v[8:9], v[8:9], 0, v[28:29]
	global_store_dwordx2 v[8:9], v[24:25], off
	ds_read2st64_b64 v[8:11], v0 offset0:65 offset1:81
	s_waitcnt lgkmcnt(1)
	v_lshl_add_u64 v[24:25], v[32:33], 3, s[38:39]
	v_or_b32_e32 v30, 0x6000, v0
	v_mov_b32_e32 v31, v1
	v_xor_b32_e32 v27, 0x80000000, v27
	v_lshl_add_u64 v[24:25], v[24:25], 0, v[30:31]
	global_store_dwordx2 v[24:25], v[26:27], off
	s_waitcnt lgkmcnt(0)
	v_lshrrev_b64 v[24:25], s44, v[8:9]
	v_and_b32_e32 v3, s14, v24
	v_lshlrev_b32_e32 v39, 3, v3
	v_lshrrev_b64 v[26:27], s44, v[10:11]
	ds_read_b64 v[24:25], v39
	v_and_b32_e32 v3, s14, v26
	v_lshlrev_b32_e32 v40, 3, v3
	ds_read_b64 v[26:27], v40
	v_or_b32_e32 v32, 0x8000, v0
	s_waitcnt lgkmcnt(1)
	v_lshl_add_u64 v[24:25], v[24:25], 3, s[38:39]
	v_mov_b32_e32 v33, v1
	v_xor_b32_e32 v9, 0x80000000, v9
	v_lshl_add_u64 v[24:25], v[24:25], 0, v[32:33]
	global_store_dwordx2 v[24:25], v[8:9], off
	s_waitcnt lgkmcnt(0)
	v_lshl_add_u64 v[8:9], v[26:27], 3, s[38:39]
	v_or_b32_e32 v24, 0xa000, v0
	v_mov_b32_e32 v25, v1
	v_mov_b32_e32 v3, v1
	v_xor_b32_e32 v11, 0x80000000, v11
	v_lshl_add_u64 v[8:9], v[8:9], 0, v[24:25]
	v_lshl_add_u64 v[2:3], s[0:1], 0, v[2:3]
	v_mov_b32_e32 v5, v1
	global_store_dwordx2 v[8:9], v[10:11], off
	v_lshl_add_u64 v[2:3], v[2:3], 0, v[4:5]
	global_load_dwordx2 v[4:5], v[2:3], off
	global_load_dwordx2 v[8:9], v[2:3], off offset:512
	global_load_dwordx2 v[10:11], v[2:3], off offset:1024
	;; [unrolled: 1-line block ×5, first 2 shown]
	s_barrier
	s_cselect_b64 s[0:1], -1, 0
	s_xor_b64 s[2:3], vcc, -1
	s_and_b64 s[0:1], s[2:3], s[0:1]
	s_waitcnt vmcnt(5)
	ds_write_b64 v23, v[4:5] offset:512
	s_waitcnt vmcnt(4)
	ds_write_b64 v7, v[8:9] offset:512
	;; [unrolled: 2-line block ×6, first 2 shown]
	s_waitcnt lgkmcnt(0)
	s_barrier
	ds_read2st64_b64 v[2:5], v0 offset0:1 offset1:17
	ds_read_b64 v[10:11], v6
	ds_read_b64 v[14:15], v17
	;; [unrolled: 1-line block ×3, first 2 shown]
	ds_read2st64_b64 v[6:9], v0 offset0:33 offset1:49
	ds_read_b64 v[18:19], v38
	s_waitcnt lgkmcnt(4)
	v_lshl_add_u64 v[10:11], v[10:11], 3, s[42:43]
	s_waitcnt lgkmcnt(3)
	v_lshl_add_u64 v[14:15], v[14:15], 3, s[42:43]
	;; [unrolled: 2-line block ×3, first 2 shown]
	v_lshl_add_u64 v[10:11], v[10:11], 0, v[0:1]
	v_lshl_add_u64 v[12:13], v[14:15], 0, v[12:13]
	;; [unrolled: 1-line block ×3, first 2 shown]
	global_store_dwordx2 v[10:11], v[2:3], off
	global_store_dwordx2 v[12:13], v[4:5], off
	s_waitcnt lgkmcnt(1)
	global_store_dwordx2 v[14:15], v[6:7], off
	ds_read_b64 v[6:7], v39
	s_waitcnt lgkmcnt(1)
	v_lshl_add_u64 v[2:3], v[18:19], 3, s[42:43]
	v_lshl_add_u64 v[10:11], v[2:3], 0, v[30:31]
	ds_read2st64_b64 v[2:5], v0 offset0:65 offset1:81
	ds_read_b64 v[12:13], v40
	global_store_dwordx2 v[10:11], v[8:9], off
	s_waitcnt lgkmcnt(2)
	v_lshl_add_u64 v[6:7], v[6:7], 3, s[42:43]
	v_lshl_add_u64 v[6:7], v[6:7], 0, v[32:33]
	s_waitcnt lgkmcnt(1)
	global_store_dwordx2 v[6:7], v[2:3], off
	s_waitcnt lgkmcnt(0)
	v_lshl_add_u64 v[2:3], v[12:13], 3, s[42:43]
	v_lshl_add_u64 v[2:3], v[2:3], 0, v[24:25]
	global_store_dwordx2 v[2:3], v[4:5], off
	s_and_saveexec_b64 s[2:3], s[0:1]
	s_cbranch_execz .LBB121_131
; %bb.130:
	ds_read_b64 v[2:3], v0
	v_mov_b32_e32 v23, v1
	v_lshl_add_u64 v[4:5], v[20:21], 0, v[22:23]
	s_waitcnt lgkmcnt(0)
	v_lshl_add_u64 v[2:3], v[4:5], 0, v[2:3]
	global_store_dwordx2 v0, v[2:3], s[30:31]
.LBB121_131:
	s_endpgm
	.section	.rodata,"a",@progbits
	.p2align	6, 0x0
	.amdhsa_kernel _ZN7rocprim17ROCPRIM_304000_NS6detail25onesweep_iteration_kernelINS1_34wrapped_radix_sort_onesweep_configINS0_14default_configElN2at4cuda3cub6detail10OpaqueTypeILi8EEEEELb0EPlSC_PSA_SD_mNS0_19identity_decomposerEEEvT1_T2_T3_T4_jPT5_SK_PNS1_23onesweep_lookback_stateET6_jjj
		.amdhsa_group_segment_fixed_size 49664
		.amdhsa_private_segment_fixed_size 0
		.amdhsa_kernarg_size 336
		.amdhsa_user_sgpr_count 2
		.amdhsa_user_sgpr_dispatch_ptr 0
		.amdhsa_user_sgpr_queue_ptr 0
		.amdhsa_user_sgpr_kernarg_segment_ptr 1
		.amdhsa_user_sgpr_dispatch_id 0
		.amdhsa_user_sgpr_kernarg_preload_length 0
		.amdhsa_user_sgpr_kernarg_preload_offset 0
		.amdhsa_user_sgpr_private_segment_size 0
		.amdhsa_uses_dynamic_stack 0
		.amdhsa_enable_private_segment 0
		.amdhsa_system_sgpr_workgroup_id_x 1
		.amdhsa_system_sgpr_workgroup_id_y 0
		.amdhsa_system_sgpr_workgroup_id_z 0
		.amdhsa_system_sgpr_workgroup_info 0
		.amdhsa_system_vgpr_workitem_id 2
		.amdhsa_next_free_vgpr 42
		.amdhsa_next_free_sgpr 52
		.amdhsa_accum_offset 44
		.amdhsa_reserve_vcc 1
		.amdhsa_float_round_mode_32 0
		.amdhsa_float_round_mode_16_64 0
		.amdhsa_float_denorm_mode_32 3
		.amdhsa_float_denorm_mode_16_64 3
		.amdhsa_dx10_clamp 1
		.amdhsa_ieee_mode 1
		.amdhsa_fp16_overflow 0
		.amdhsa_tg_split 0
		.amdhsa_exception_fp_ieee_invalid_op 0
		.amdhsa_exception_fp_denorm_src 0
		.amdhsa_exception_fp_ieee_div_zero 0
		.amdhsa_exception_fp_ieee_overflow 0
		.amdhsa_exception_fp_ieee_underflow 0
		.amdhsa_exception_fp_ieee_inexact 0
		.amdhsa_exception_int_div_zero 0
	.end_amdhsa_kernel
	.section	.text._ZN7rocprim17ROCPRIM_304000_NS6detail25onesweep_iteration_kernelINS1_34wrapped_radix_sort_onesweep_configINS0_14default_configElN2at4cuda3cub6detail10OpaqueTypeILi8EEEEELb0EPlSC_PSA_SD_mNS0_19identity_decomposerEEEvT1_T2_T3_T4_jPT5_SK_PNS1_23onesweep_lookback_stateET6_jjj,"axG",@progbits,_ZN7rocprim17ROCPRIM_304000_NS6detail25onesweep_iteration_kernelINS1_34wrapped_radix_sort_onesweep_configINS0_14default_configElN2at4cuda3cub6detail10OpaqueTypeILi8EEEEELb0EPlSC_PSA_SD_mNS0_19identity_decomposerEEEvT1_T2_T3_T4_jPT5_SK_PNS1_23onesweep_lookback_stateET6_jjj,comdat
.Lfunc_end121:
	.size	_ZN7rocprim17ROCPRIM_304000_NS6detail25onesweep_iteration_kernelINS1_34wrapped_radix_sort_onesweep_configINS0_14default_configElN2at4cuda3cub6detail10OpaqueTypeILi8EEEEELb0EPlSC_PSA_SD_mNS0_19identity_decomposerEEEvT1_T2_T3_T4_jPT5_SK_PNS1_23onesweep_lookback_stateET6_jjj, .Lfunc_end121-_ZN7rocprim17ROCPRIM_304000_NS6detail25onesweep_iteration_kernelINS1_34wrapped_radix_sort_onesweep_configINS0_14default_configElN2at4cuda3cub6detail10OpaqueTypeILi8EEEEELb0EPlSC_PSA_SD_mNS0_19identity_decomposerEEEvT1_T2_T3_T4_jPT5_SK_PNS1_23onesweep_lookback_stateET6_jjj
                                        ; -- End function
	.set _ZN7rocprim17ROCPRIM_304000_NS6detail25onesweep_iteration_kernelINS1_34wrapped_radix_sort_onesweep_configINS0_14default_configElN2at4cuda3cub6detail10OpaqueTypeILi8EEEEELb0EPlSC_PSA_SD_mNS0_19identity_decomposerEEEvT1_T2_T3_T4_jPT5_SK_PNS1_23onesweep_lookback_stateET6_jjj.num_vgpr, 42
	.set _ZN7rocprim17ROCPRIM_304000_NS6detail25onesweep_iteration_kernelINS1_34wrapped_radix_sort_onesweep_configINS0_14default_configElN2at4cuda3cub6detail10OpaqueTypeILi8EEEEELb0EPlSC_PSA_SD_mNS0_19identity_decomposerEEEvT1_T2_T3_T4_jPT5_SK_PNS1_23onesweep_lookback_stateET6_jjj.num_agpr, 0
	.set _ZN7rocprim17ROCPRIM_304000_NS6detail25onesweep_iteration_kernelINS1_34wrapped_radix_sort_onesweep_configINS0_14default_configElN2at4cuda3cub6detail10OpaqueTypeILi8EEEEELb0EPlSC_PSA_SD_mNS0_19identity_decomposerEEEvT1_T2_T3_T4_jPT5_SK_PNS1_23onesweep_lookback_stateET6_jjj.numbered_sgpr, 52
	.set _ZN7rocprim17ROCPRIM_304000_NS6detail25onesweep_iteration_kernelINS1_34wrapped_radix_sort_onesweep_configINS0_14default_configElN2at4cuda3cub6detail10OpaqueTypeILi8EEEEELb0EPlSC_PSA_SD_mNS0_19identity_decomposerEEEvT1_T2_T3_T4_jPT5_SK_PNS1_23onesweep_lookback_stateET6_jjj.num_named_barrier, 0
	.set _ZN7rocprim17ROCPRIM_304000_NS6detail25onesweep_iteration_kernelINS1_34wrapped_radix_sort_onesweep_configINS0_14default_configElN2at4cuda3cub6detail10OpaqueTypeILi8EEEEELb0EPlSC_PSA_SD_mNS0_19identity_decomposerEEEvT1_T2_T3_T4_jPT5_SK_PNS1_23onesweep_lookback_stateET6_jjj.private_seg_size, 0
	.set _ZN7rocprim17ROCPRIM_304000_NS6detail25onesweep_iteration_kernelINS1_34wrapped_radix_sort_onesweep_configINS0_14default_configElN2at4cuda3cub6detail10OpaqueTypeILi8EEEEELb0EPlSC_PSA_SD_mNS0_19identity_decomposerEEEvT1_T2_T3_T4_jPT5_SK_PNS1_23onesweep_lookback_stateET6_jjj.uses_vcc, 1
	.set _ZN7rocprim17ROCPRIM_304000_NS6detail25onesweep_iteration_kernelINS1_34wrapped_radix_sort_onesweep_configINS0_14default_configElN2at4cuda3cub6detail10OpaqueTypeILi8EEEEELb0EPlSC_PSA_SD_mNS0_19identity_decomposerEEEvT1_T2_T3_T4_jPT5_SK_PNS1_23onesweep_lookback_stateET6_jjj.uses_flat_scratch, 0
	.set _ZN7rocprim17ROCPRIM_304000_NS6detail25onesweep_iteration_kernelINS1_34wrapped_radix_sort_onesweep_configINS0_14default_configElN2at4cuda3cub6detail10OpaqueTypeILi8EEEEELb0EPlSC_PSA_SD_mNS0_19identity_decomposerEEEvT1_T2_T3_T4_jPT5_SK_PNS1_23onesweep_lookback_stateET6_jjj.has_dyn_sized_stack, 0
	.set _ZN7rocprim17ROCPRIM_304000_NS6detail25onesweep_iteration_kernelINS1_34wrapped_radix_sort_onesweep_configINS0_14default_configElN2at4cuda3cub6detail10OpaqueTypeILi8EEEEELb0EPlSC_PSA_SD_mNS0_19identity_decomposerEEEvT1_T2_T3_T4_jPT5_SK_PNS1_23onesweep_lookback_stateET6_jjj.has_recursion, 0
	.set _ZN7rocprim17ROCPRIM_304000_NS6detail25onesweep_iteration_kernelINS1_34wrapped_radix_sort_onesweep_configINS0_14default_configElN2at4cuda3cub6detail10OpaqueTypeILi8EEEEELb0EPlSC_PSA_SD_mNS0_19identity_decomposerEEEvT1_T2_T3_T4_jPT5_SK_PNS1_23onesweep_lookback_stateET6_jjj.has_indirect_call, 0
	.section	.AMDGPU.csdata,"",@progbits
; Kernel info:
; codeLenInByte = 10016
; TotalNumSgprs: 58
; NumVgprs: 42
; NumAgprs: 0
; TotalNumVgprs: 42
; ScratchSize: 0
; MemoryBound: 1
; FloatMode: 240
; IeeeMode: 1
; LDSByteSize: 49664 bytes/workgroup (compile time only)
; SGPRBlocks: 7
; VGPRBlocks: 5
; NumSGPRsForWavesPerEU: 58
; NumVGPRsForWavesPerEU: 42
; AccumOffset: 44
; Occupancy: 8
; WaveLimiterHint : 1
; COMPUTE_PGM_RSRC2:SCRATCH_EN: 0
; COMPUTE_PGM_RSRC2:USER_SGPR: 2
; COMPUTE_PGM_RSRC2:TRAP_HANDLER: 0
; COMPUTE_PGM_RSRC2:TGID_X_EN: 1
; COMPUTE_PGM_RSRC2:TGID_Y_EN: 0
; COMPUTE_PGM_RSRC2:TGID_Z_EN: 0
; COMPUTE_PGM_RSRC2:TIDIG_COMP_CNT: 2
; COMPUTE_PGM_RSRC3_GFX90A:ACCUM_OFFSET: 10
; COMPUTE_PGM_RSRC3_GFX90A:TG_SPLIT: 0
	.section	.text._ZN7rocprim17ROCPRIM_304000_NS6detail28radix_sort_block_sort_kernelINS1_36wrapped_radix_sort_block_sort_configINS0_13kernel_configILj256ELj4ELj4294967295EEEfN2at4cuda3cub6detail10OpaqueTypeILi8EEEEELb1EPKfPfPKSB_PSB_NS0_19identity_decomposerEEEvT1_T2_T3_T4_jT5_jj,"axG",@progbits,_ZN7rocprim17ROCPRIM_304000_NS6detail28radix_sort_block_sort_kernelINS1_36wrapped_radix_sort_block_sort_configINS0_13kernel_configILj256ELj4ELj4294967295EEEfN2at4cuda3cub6detail10OpaqueTypeILi8EEEEELb1EPKfPfPKSB_PSB_NS0_19identity_decomposerEEEvT1_T2_T3_T4_jT5_jj,comdat
	.protected	_ZN7rocprim17ROCPRIM_304000_NS6detail28radix_sort_block_sort_kernelINS1_36wrapped_radix_sort_block_sort_configINS0_13kernel_configILj256ELj4ELj4294967295EEEfN2at4cuda3cub6detail10OpaqueTypeILi8EEEEELb1EPKfPfPKSB_PSB_NS0_19identity_decomposerEEEvT1_T2_T3_T4_jT5_jj ; -- Begin function _ZN7rocprim17ROCPRIM_304000_NS6detail28radix_sort_block_sort_kernelINS1_36wrapped_radix_sort_block_sort_configINS0_13kernel_configILj256ELj4ELj4294967295EEEfN2at4cuda3cub6detail10OpaqueTypeILi8EEEEELb1EPKfPfPKSB_PSB_NS0_19identity_decomposerEEEvT1_T2_T3_T4_jT5_jj
	.globl	_ZN7rocprim17ROCPRIM_304000_NS6detail28radix_sort_block_sort_kernelINS1_36wrapped_radix_sort_block_sort_configINS0_13kernel_configILj256ELj4ELj4294967295EEEfN2at4cuda3cub6detail10OpaqueTypeILi8EEEEELb1EPKfPfPKSB_PSB_NS0_19identity_decomposerEEEvT1_T2_T3_T4_jT5_jj
	.p2align	8
	.type	_ZN7rocprim17ROCPRIM_304000_NS6detail28radix_sort_block_sort_kernelINS1_36wrapped_radix_sort_block_sort_configINS0_13kernel_configILj256ELj4ELj4294967295EEEfN2at4cuda3cub6detail10OpaqueTypeILi8EEEEELb1EPKfPfPKSB_PSB_NS0_19identity_decomposerEEEvT1_T2_T3_T4_jT5_jj,@function
_ZN7rocprim17ROCPRIM_304000_NS6detail28radix_sort_block_sort_kernelINS1_36wrapped_radix_sort_block_sort_configINS0_13kernel_configILj256ELj4ELj4294967295EEEfN2at4cuda3cub6detail10OpaqueTypeILi8EEEEELb1EPKfPfPKSB_PSB_NS0_19identity_decomposerEEEvT1_T2_T3_T4_jT5_jj: ; @_ZN7rocprim17ROCPRIM_304000_NS6detail28radix_sort_block_sort_kernelINS1_36wrapped_radix_sort_block_sort_configINS0_13kernel_configILj256ELj4ELj4294967295EEEfN2at4cuda3cub6detail10OpaqueTypeILi8EEEEELb1EPKfPfPKSB_PSB_NS0_19identity_decomposerEEEvT1_T2_T3_T4_jT5_jj
; %bb.0:
	s_load_dword s4, s[0:1], 0x20
	s_load_dwordx8 s[36:43], s[0:1], 0x0
	s_lshl_b32 s28, s2, 10
	s_mov_b32 s29, 0
	v_and_b32_e32 v8, 0x3ff, v0
	s_waitcnt lgkmcnt(0)
	s_lshr_b32 s3, s4, 10
	s_cmp_lg_u32 s2, s3
	s_cselect_b64 s[30:31], -1, 0
	s_lshl_b64 s[34:35], s[28:29], 2
	v_mbcnt_lo_u32_b32 v1, -1, 0
	s_add_u32 s6, s36, s34
	v_mbcnt_hi_u32_b32 v1, -1, v1
	v_lshlrev_b32_e32 v10, 2, v8
	s_addc_u32 s7, s37, s35
	v_and_b32_e32 v11, 0x300, v10
	v_mov_b32_e32 v7, 0
	v_lshlrev_b32_e32 v6, 2, v1
	v_lshl_add_u64 v[2:3], s[6:7], 0, v[6:7]
	v_lshlrev_b32_e32 v6, 2, v11
	s_cmp_eq_u32 s2, s3
	v_lshl_add_u64 v[14:15], v[2:3], 0, v[6:7]
	v_lshlrev_b32_e32 v6, 3, v1
	v_lshlrev_b32_e32 v12, 3, v11
	v_add_u32_e32 v9, v1, v11
	s_cbranch_scc1 .LBB122_2
; %bb.1:
	s_lshl_b64 s[2:3], s[28:29], 3
	s_add_u32 s2, s40, s2
	s_addc_u32 s3, s41, s3
	v_lshl_add_u64 v[16:17], s[2:3], 0, v[6:7]
	v_mov_b32_e32 v13, v7
	v_lshl_add_u64 v[16:17], v[16:17], 0, v[12:13]
	global_load_dword v2, v[14:15], off
	global_load_dword v3, v[14:15], off offset:256
	global_load_dword v4, v[14:15], off offset:512
	;; [unrolled: 1-line block ×3, first 2 shown]
	global_load_dwordx2 v[46:47], v[16:17], off
	global_load_dwordx2 v[48:49], v[16:17], off offset:512
	global_load_dwordx2 v[50:51], v[16:17], off offset:1024
	;; [unrolled: 1-line block ×3, first 2 shown]
	v_add_u32_e32 v7, v1, v11
	v_add_u32_e32 v16, 64, v7
	;; [unrolled: 1-line block ×4, first 2 shown]
	s_sub_i32 s33, s4, s28
	s_cbranch_execz .LBB122_3
	s_branch .LBB122_17
.LBB122_2:
                                        ; implicit-def: $vgpr2_vgpr3_vgpr4_vgpr5
                                        ; implicit-def: $vgpr46_vgpr47
                                        ; implicit-def: $vgpr48_vgpr49
                                        ; implicit-def: $vgpr50_vgpr51
                                        ; implicit-def: $vgpr52_vgpr53
                                        ; implicit-def: $vgpr7
                                        ; implicit-def: $vgpr16
                                        ; implicit-def: $vgpr17
                                        ; implicit-def: $vgpr18
	s_sub_i32 s33, s4, s28
.LBB122_3:
	s_waitcnt vmcnt(7)
	v_mov_b32_e32 v2, -1
	v_cmp_gt_u32_e32 vcc, s33, v9
	s_waitcnt vmcnt(6)
	v_mov_b32_e32 v3, v2
	s_waitcnt vmcnt(5)
	v_mov_b32_e32 v4, v2
	;; [unrolled: 2-line block ×3, first 2 shown]
	s_and_saveexec_b64 s[2:3], vcc
	s_cbranch_execz .LBB122_5
; %bb.4:
	global_load_dword v16, v[14:15], off
	v_mov_b32_e32 v17, v2
	v_mov_b32_e32 v18, v2
	;; [unrolled: 1-line block ×3, first 2 shown]
	s_waitcnt vmcnt(0)
	v_mov_b64_e32 v[2:3], v[16:17]
	v_mov_b64_e32 v[4:5], v[18:19]
.LBB122_5:
	s_or_b64 exec, exec, s[2:3]
	v_add_u32_e32 v16, 64, v9
	v_cmp_gt_u32_e64 s[2:3], s33, v16
	s_and_saveexec_b64 s[4:5], s[2:3]
	s_cbranch_execz .LBB122_7
; %bb.6:
	global_load_dword v3, v[14:15], off offset:256
.LBB122_7:
	s_or_b64 exec, exec, s[4:5]
	v_add_u32_e32 v17, 0x80, v9
	v_cmp_gt_u32_e64 s[4:5], s33, v17
	s_and_saveexec_b64 s[6:7], s[4:5]
	s_cbranch_execz .LBB122_9
; %bb.8:
	global_load_dword v4, v[14:15], off offset:512
.LBB122_9:
	;; [unrolled: 8-line block ×3, first 2 shown]
	s_or_b64 exec, exec, s[8:9]
	s_lshl_b64 s[8:9], s[28:29], 3
	s_add_u32 s8, s40, s8
	s_addc_u32 s9, s41, s9
	v_mov_b32_e32 v7, 0
	v_lshl_add_u64 v[14:15], s[8:9], 0, v[6:7]
	v_mov_b32_e32 v13, v7
	v_lshl_add_u64 v[6:7], v[14:15], 0, v[12:13]
                                        ; implicit-def: $vgpr46_vgpr47
	s_and_saveexec_b64 s[8:9], vcc
	s_cbranch_execnz .LBB122_54
; %bb.12:
	s_or_b64 exec, exec, s[8:9]
                                        ; implicit-def: $vgpr48_vgpr49
	s_and_saveexec_b64 s[8:9], s[2:3]
	s_cbranch_execnz .LBB122_55
.LBB122_13:
	s_or_b64 exec, exec, s[8:9]
                                        ; implicit-def: $vgpr50_vgpr51
	s_and_saveexec_b64 s[2:3], s[4:5]
	s_cbranch_execnz .LBB122_56
.LBB122_14:
	s_or_b64 exec, exec, s[2:3]
                                        ; implicit-def: $vgpr52_vgpr53
	s_and_saveexec_b64 s[2:3], s[6:7]
	s_cbranch_execz .LBB122_16
.LBB122_15:
	global_load_dwordx2 v[52:53], v[6:7], off offset:1536
.LBB122_16:
	s_or_b64 exec, exec, s[2:3]
	v_mov_b32_e32 v7, v9
.LBB122_17:
	s_load_dwordx2 s[36:37], s[0:1], 0x28
	v_bfrev_b32_e32 v9, -2
	s_load_dword s0, s[0:1], 0x3c
	s_waitcnt vmcnt(7)
	v_cmp_gt_i32_e32 vcc, 0, v2
	s_mov_b32 s26, 0
	v_lshlrev_b32_e32 v27, 2, v7
	v_cndmask_b32_e64 v6, v9, 0, vcc
	s_waitcnt vmcnt(0)
	v_cmp_gt_i32_e32 vcc, 0, v3
	v_xor_b32_e32 v2, v6, v2
	s_waitcnt lgkmcnt(0)
	s_lshr_b32 s1, s0, 16
	v_cndmask_b32_e64 v6, v9, 0, vcc
	v_cmp_gt_i32_e32 vcc, 0, v4
	v_xor_b32_e32 v3, v6, v3
	s_and_b32 s0, s0, 0xffff
	v_cndmask_b32_e64 v6, v9, 0, vcc
	v_cmp_gt_i32_e32 vcc, 0, v5
	v_xor_b32_e32 v12, v6, v4
	v_lshlrev_b32_e32 v28, 2, v16
	v_cndmask_b32_e64 v4, v9, 0, vcc
	v_xor_b32_e32 v39, v4, v5
	v_bfe_u32 v4, v0, 10, 10
	v_bfe_u32 v0, v0, 20, 10
	v_mad_u32_u24 v0, v0, s1, v4
	v_mad_u64_u32 v[4:5], s[0:1], v0, s0, v[8:9]
	v_lshrrev_b32_e32 v0, 4, v4
	v_and_b32_e32 v22, 0xffffffc, v0
	v_and_b32_e32 v0, 15, v1
	v_cmp_eq_u32_e64 s[0:1], 0, v0
	v_cmp_lt_u32_e64 s[2:3], 1, v0
	v_cmp_lt_u32_e64 s[4:5], 3, v0
	;; [unrolled: 1-line block ×3, first 2 shown]
	v_and_b32_e32 v0, 16, v1
	v_cmp_eq_u32_e64 s[8:9], 0, v0
	v_and_b32_e32 v0, 0x3c0, v8
	v_min_u32_e32 v0, 0xc0, v0
	v_or_b32_e32 v0, 63, v0
	v_cmp_eq_u32_e64 s[12:13], v8, v0
	v_subrev_co_u32_e64 v0, s[18:19], 1, v1
	v_and_b32_e32 v4, 64, v1
	v_cmp_lt_i32_e32 vcc, v0, v4
	v_lshlrev_b32_e32 v29, 2, v17
	v_lshlrev_b32_e32 v30, 2, v18
	v_cndmask_b32_e32 v0, v0, v1, vcc
	v_lshlrev_b32_e32 v24, 2, v0
	v_lshrrev_b32_e32 v0, 4, v8
	v_and_b32_e32 v25, 60, v0
	v_and_b32_e32 v0, 3, v1
	s_mov_b32 s27, s26
	s_mov_b32 s44, s26
	;; [unrolled: 1-line block ×3, first 2 shown]
	s_add_i32 s40, s37, s36
	v_lshlrev_b32_e32 v11, 2, v10
	v_cmp_lt_u32_e64 s[10:11], 31, v1
	v_cmp_gt_u32_e64 s[14:15], 4, v8
	v_cmp_lt_u32_e64 s[16:17], 63, v8
	v_cmp_eq_u32_e64 s[20:21], 0, v8
	v_mul_i32_i24_e32 v23, -12, v8
	v_cmp_eq_u32_e64 s[22:23], 0, v0
	v_cmp_lt_u32_e64 s[24:25], 1, v0
	v_add_u32_e32 v26, -4, v25
	v_mov_b64_e32 v[4:5], s[26:27]
	v_mov_b64_e32 v[6:7], s[44:45]
	s_brev_b32 s41, 1
	v_mov_b32_e32 v13, 0
	v_add_u32_e32 v31, v27, v27
	v_add_u32_e32 v32, v28, v28
	;; [unrolled: 1-line block ×4, first 2 shown]
	s_branch .LBB122_19
.LBB122_18:                             ;   in Loop: Header=BB122_19 Depth=1
	s_andn2_b64 vcc, exec, s[26:27]
	s_cbranch_vccz .LBB122_35
.LBB122_19:                             ; =>This Inner Loop Header: Depth=1
	v_mov_b32_e32 v38, v2
	v_cmp_ne_u32_e32 vcc, s41, v38
	s_min_u32 s26, s37, 8
	s_lshl_b32 s44, -1, s26
	v_cndmask_b32_e32 v0, v9, v38, vcc
	v_lshrrev_b32_e32 v0, s36, v0
	v_bitop3_b32 v2, v0, s44, v0 bitop3:0x30
	v_mov_b32_e32 v36, v12
	v_and_b32_e32 v12, 1, v2
	v_lshl_add_u64 v[0:1], v[12:13], 0, -1
	v_cmp_ne_u32_e32 vcc, 0, v12
	v_mov_b32_e32 v35, v39
	v_mov_b32_e32 v37, v3
	v_xor_b32_e32 v1, vcc_hi, v1
	v_xor_b32_e32 v0, vcc_lo, v0
	v_and_b32_e32 v12, exec_hi, v1
	v_and_b32_e32 v39, exec_lo, v0
	v_lshlrev_b32_e32 v1, 30, v2
	v_mov_b32_e32 v0, v13
	v_cmp_gt_i64_e32 vcc, 0, v[0:1]
	v_not_b32_e32 v0, v1
	v_ashrrev_i32_e32 v0, 31, v0
	v_xor_b32_e32 v1, vcc_hi, v0
	v_xor_b32_e32 v0, vcc_lo, v0
	v_and_b32_e32 v12, v12, v1
	v_and_b32_e32 v39, v39, v0
	v_lshlrev_b32_e32 v1, 29, v2
	v_mov_b32_e32 v0, v13
	v_cmp_gt_i64_e32 vcc, 0, v[0:1]
	v_not_b32_e32 v0, v1
	v_ashrrev_i32_e32 v0, 31, v0
	v_xor_b32_e32 v1, vcc_hi, v0
	v_xor_b32_e32 v0, vcc_lo, v0
	v_and_b32_e32 v12, v12, v1
	v_and_b32_e32 v39, v39, v0
	;; [unrolled: 9-line block ×6, first 2 shown]
	v_lshlrev_b32_e32 v1, 24, v2
	v_mov_b32_e32 v0, v13
	v_cmp_gt_i64_e32 vcc, 0, v[0:1]
	v_not_b32_e32 v0, v1
	v_ashrrev_i32_e32 v0, 31, v0
	v_xor_b32_e32 v1, vcc_hi, v0
	v_xor_b32_e32 v0, vcc_lo, v0
	v_and_b32_e32 v0, v39, v0
	v_lshlrev_b32_e32 v3, 4, v2
	v_and_b32_e32 v1, v12, v1
	v_mbcnt_lo_u32_b32 v2, v0, 0
	v_mbcnt_hi_u32_b32 v39, v1, v2
	v_cmp_eq_u32_e32 vcc, 0, v39
	v_cmp_ne_u64_e64 s[26:27], 0, v[0:1]
	v_mov_b64_e32 v[20:21], v[46:47]
	v_mov_b64_e32 v[18:19], v[48:49]
	;; [unrolled: 1-line block ×4, first 2 shown]
	s_and_b64 s[46:47], s[26:27], vcc
	v_add_u32_e32 v40, v22, v3
	ds_write2_b64 v11, v[4:5], v[6:7] offset0:2 offset1:3
	s_waitcnt lgkmcnt(0)
	s_barrier
	; wave barrier
	s_and_saveexec_b64 s[26:27], s[46:47]
; %bb.20:                               ;   in Loop: Header=BB122_19 Depth=1
	v_bcnt_u32_b32 v0, v0, 0
	v_bcnt_u32_b32 v0, v1, v0
	ds_write_b32 v40, v0 offset:16
; %bb.21:                               ;   in Loop: Header=BB122_19 Depth=1
	s_or_b64 exec, exec, s[26:27]
	v_cmp_ne_u32_e32 vcc, s41, v37
	s_not_b32 s44, s44
	s_nop 0
	v_cndmask_b32_e32 v0, v9, v37, vcc
	v_lshrrev_b32_e32 v0, s36, v0
	v_and_b32_e32 v2, s44, v0
	v_lshlrev_b32_e32 v0, 4, v2
	v_and_b32_e32 v12, 1, v2
	v_add_u32_e32 v42, v22, v0
	v_lshl_add_u64 v[0:1], v[12:13], 0, -1
	v_cmp_ne_u32_e32 vcc, 0, v12
	; wave barrier
	ds_read_b32 v41, v42 offset:16
	s_nop 0
	v_xor_b32_e32 v1, vcc_hi, v1
	v_xor_b32_e32 v0, vcc_lo, v0
	v_and_b32_e32 v3, exec_hi, v1
	v_and_b32_e32 v12, exec_lo, v0
	v_lshlrev_b32_e32 v1, 30, v2
	v_mov_b32_e32 v0, v13
	v_cmp_gt_i64_e32 vcc, 0, v[0:1]
	v_not_b32_e32 v0, v1
	v_ashrrev_i32_e32 v0, 31, v0
	v_xor_b32_e32 v1, vcc_hi, v0
	v_xor_b32_e32 v0, vcc_lo, v0
	v_and_b32_e32 v3, v3, v1
	v_and_b32_e32 v12, v12, v0
	v_lshlrev_b32_e32 v1, 29, v2
	v_mov_b32_e32 v0, v13
	v_cmp_gt_i64_e32 vcc, 0, v[0:1]
	v_not_b32_e32 v0, v1
	v_ashrrev_i32_e32 v0, 31, v0
	v_xor_b32_e32 v1, vcc_hi, v0
	v_xor_b32_e32 v0, vcc_lo, v0
	v_and_b32_e32 v3, v3, v1
	v_and_b32_e32 v12, v12, v0
	;; [unrolled: 9-line block ×7, first 2 shown]
	v_mbcnt_lo_u32_b32 v2, v0, 0
	v_mbcnt_hi_u32_b32 v43, v1, v2
	v_cmp_eq_u32_e32 vcc, 0, v43
	v_cmp_ne_u64_e64 s[26:27], 0, v[0:1]
	s_and_b64 s[46:47], s[26:27], vcc
	; wave barrier
	s_and_saveexec_b64 s[26:27], s[46:47]
	s_cbranch_execz .LBB122_23
; %bb.22:                               ;   in Loop: Header=BB122_19 Depth=1
	v_bcnt_u32_b32 v0, v0, 0
	v_bcnt_u32_b32 v0, v1, v0
	s_waitcnt lgkmcnt(0)
	v_add_u32_e32 v0, v41, v0
	ds_write_b32 v42, v0 offset:16
.LBB122_23:                             ;   in Loop: Header=BB122_19 Depth=1
	s_or_b64 exec, exec, s[26:27]
	v_cmp_ne_u32_e32 vcc, s41, v36
	; wave barrier
	s_nop 1
	v_cndmask_b32_e32 v0, v9, v36, vcc
	v_lshrrev_b32_e32 v0, s36, v0
	v_and_b32_e32 v2, s44, v0
	v_lshlrev_b32_e32 v0, 4, v2
	v_and_b32_e32 v12, 1, v2
	v_add_u32_e32 v45, v22, v0
	v_lshl_add_u64 v[0:1], v[12:13], 0, -1
	v_cmp_ne_u32_e32 vcc, 0, v12
	ds_read_b32 v44, v45 offset:16
	s_nop 0
	v_xor_b32_e32 v1, vcc_hi, v1
	v_xor_b32_e32 v0, vcc_lo, v0
	v_and_b32_e32 v3, exec_hi, v1
	v_and_b32_e32 v12, exec_lo, v0
	v_lshlrev_b32_e32 v1, 30, v2
	v_mov_b32_e32 v0, v13
	v_cmp_gt_i64_e32 vcc, 0, v[0:1]
	v_not_b32_e32 v0, v1
	v_ashrrev_i32_e32 v0, 31, v0
	v_xor_b32_e32 v1, vcc_hi, v0
	v_xor_b32_e32 v0, vcc_lo, v0
	v_and_b32_e32 v3, v3, v1
	v_and_b32_e32 v12, v12, v0
	v_lshlrev_b32_e32 v1, 29, v2
	v_mov_b32_e32 v0, v13
	v_cmp_gt_i64_e32 vcc, 0, v[0:1]
	v_not_b32_e32 v0, v1
	v_ashrrev_i32_e32 v0, 31, v0
	v_xor_b32_e32 v1, vcc_hi, v0
	v_xor_b32_e32 v0, vcc_lo, v0
	v_and_b32_e32 v3, v3, v1
	v_and_b32_e32 v12, v12, v0
	;; [unrolled: 9-line block ×7, first 2 shown]
	v_mbcnt_lo_u32_b32 v2, v0, 0
	v_mbcnt_hi_u32_b32 v46, v1, v2
	v_cmp_eq_u32_e32 vcc, 0, v46
	v_cmp_ne_u64_e64 s[26:27], 0, v[0:1]
	s_and_b64 s[46:47], s[26:27], vcc
	; wave barrier
	s_and_saveexec_b64 s[26:27], s[46:47]
	s_cbranch_execz .LBB122_25
; %bb.24:                               ;   in Loop: Header=BB122_19 Depth=1
	v_bcnt_u32_b32 v0, v0, 0
	v_bcnt_u32_b32 v0, v1, v0
	s_waitcnt lgkmcnt(0)
	v_add_u32_e32 v0, v44, v0
	ds_write_b32 v45, v0 offset:16
.LBB122_25:                             ;   in Loop: Header=BB122_19 Depth=1
	s_or_b64 exec, exec, s[26:27]
	v_cmp_ne_u32_e32 vcc, s41, v35
	; wave barrier
	s_nop 1
	v_cndmask_b32_e32 v0, v9, v35, vcc
	v_lshrrev_b32_e32 v0, s36, v0
	v_and_b32_e32 v2, s44, v0
	v_lshlrev_b32_e32 v0, 4, v2
	v_and_b32_e32 v12, 1, v2
	v_add_u32_e32 v48, v22, v0
	v_lshl_add_u64 v[0:1], v[12:13], 0, -1
	v_cmp_ne_u32_e32 vcc, 0, v12
	ds_read_b32 v47, v48 offset:16
	s_nop 0
	v_xor_b32_e32 v1, vcc_hi, v1
	v_xor_b32_e32 v0, vcc_lo, v0
	v_and_b32_e32 v3, exec_hi, v1
	v_and_b32_e32 v12, exec_lo, v0
	v_lshlrev_b32_e32 v1, 30, v2
	v_mov_b32_e32 v0, v13
	v_cmp_gt_i64_e32 vcc, 0, v[0:1]
	v_not_b32_e32 v0, v1
	v_ashrrev_i32_e32 v0, 31, v0
	v_xor_b32_e32 v1, vcc_hi, v0
	v_xor_b32_e32 v0, vcc_lo, v0
	v_and_b32_e32 v3, v3, v1
	v_and_b32_e32 v12, v12, v0
	v_lshlrev_b32_e32 v1, 29, v2
	v_mov_b32_e32 v0, v13
	v_cmp_gt_i64_e32 vcc, 0, v[0:1]
	v_not_b32_e32 v0, v1
	v_ashrrev_i32_e32 v0, 31, v0
	v_xor_b32_e32 v1, vcc_hi, v0
	v_xor_b32_e32 v0, vcc_lo, v0
	v_and_b32_e32 v3, v3, v1
	v_and_b32_e32 v12, v12, v0
	;; [unrolled: 9-line block ×7, first 2 shown]
	v_mbcnt_lo_u32_b32 v2, v0, 0
	v_mbcnt_hi_u32_b32 v12, v1, v2
	v_cmp_eq_u32_e32 vcc, 0, v12
	v_cmp_ne_u64_e64 s[26:27], 0, v[0:1]
	s_and_b64 s[44:45], s[26:27], vcc
	; wave barrier
	s_and_saveexec_b64 s[26:27], s[44:45]
	s_cbranch_execz .LBB122_27
; %bb.26:                               ;   in Loop: Header=BB122_19 Depth=1
	v_bcnt_u32_b32 v0, v0, 0
	v_bcnt_u32_b32 v0, v1, v0
	s_waitcnt lgkmcnt(0)
	v_add_u32_e32 v0, v47, v0
	ds_write_b32 v48, v0 offset:16
.LBB122_27:                             ;   in Loop: Header=BB122_19 Depth=1
	s_or_b64 exec, exec, s[26:27]
	; wave barrier
	s_waitcnt lgkmcnt(0)
	s_barrier
	ds_read2_b64 v[0:3], v11 offset0:2 offset1:3
	s_waitcnt lgkmcnt(0)
	v_add_u32_e32 v49, v1, v0
	v_add3_u32 v3, v49, v2, v3
	s_nop 1
	v_mov_b32_dpp v49, v3 row_shr:1 row_mask:0xf bank_mask:0xf
	v_cndmask_b32_e64 v49, v49, 0, s[0:1]
	v_add_u32_e32 v3, v49, v3
	s_nop 1
	v_mov_b32_dpp v49, v3 row_shr:2 row_mask:0xf bank_mask:0xf
	v_cndmask_b32_e64 v49, 0, v49, s[2:3]
	v_add_u32_e32 v3, v3, v49
	;; [unrolled: 4-line block ×4, first 2 shown]
	s_nop 1
	v_mov_b32_dpp v49, v3 row_bcast:15 row_mask:0xf bank_mask:0xf
	v_cndmask_b32_e64 v49, v49, 0, s[8:9]
	v_add_u32_e32 v3, v3, v49
	s_nop 1
	v_mov_b32_dpp v49, v3 row_bcast:31 row_mask:0xf bank_mask:0xf
	v_cndmask_b32_e64 v49, 0, v49, s[10:11]
	v_add_u32_e32 v3, v3, v49
	s_and_saveexec_b64 s[26:27], s[12:13]
; %bb.28:                               ;   in Loop: Header=BB122_19 Depth=1
	ds_write_b32 v25, v3
; %bb.29:                               ;   in Loop: Header=BB122_19 Depth=1
	s_or_b64 exec, exec, s[26:27]
	s_waitcnt lgkmcnt(0)
	s_barrier
	s_and_saveexec_b64 s[26:27], s[14:15]
	s_cbranch_execz .LBB122_31
; %bb.30:                               ;   in Loop: Header=BB122_19 Depth=1
	v_add_u32_e32 v49, v11, v23
	ds_read_b32 v50, v49
	s_waitcnt lgkmcnt(0)
	s_nop 0
	v_mov_b32_dpp v51, v50 row_shr:1 row_mask:0xf bank_mask:0xf
	v_cndmask_b32_e64 v51, v51, 0, s[22:23]
	v_add_u32_e32 v50, v51, v50
	s_nop 1
	v_mov_b32_dpp v51, v50 row_shr:2 row_mask:0xf bank_mask:0xf
	v_cndmask_b32_e64 v51, 0, v51, s[24:25]
	v_add_u32_e32 v50, v50, v51
	ds_write_b32 v49, v50
.LBB122_31:                             ;   in Loop: Header=BB122_19 Depth=1
	s_or_b64 exec, exec, s[26:27]
	v_mov_b32_e32 v49, 0
	s_waitcnt lgkmcnt(0)
	s_barrier
	s_and_saveexec_b64 s[26:27], s[16:17]
; %bb.32:                               ;   in Loop: Header=BB122_19 Depth=1
	ds_read_b32 v49, v26
; %bb.33:                               ;   in Loop: Header=BB122_19 Depth=1
	s_or_b64 exec, exec, s[26:27]
	s_waitcnt lgkmcnt(0)
	v_add_u32_e32 v3, v49, v3
	ds_bpermute_b32 v3, v24, v3
	s_add_i32 s36, s36, 8
	s_cmp_ge_u32 s36, s40
	s_mov_b64 s[26:27], -1
                                        ; implicit-def: $vgpr52_vgpr53
	s_waitcnt lgkmcnt(0)
	v_cndmask_b32_e64 v3, v3, v49, s[18:19]
	v_cndmask_b32_e64 v50, v3, 0, s[20:21]
	v_add_u32_e32 v51, v50, v0
	v_add_u32_e32 v0, v51, v1
	;; [unrolled: 1-line block ×3, first 2 shown]
	ds_write2_b64 v11, v[50:51], v[0:1] offset0:2 offset1:3
	s_waitcnt lgkmcnt(0)
	s_barrier
	ds_read_b32 v0, v40 offset:16
	ds_read_b32 v1, v42 offset:16
	ds_read_b32 v2, v45 offset:16
	ds_read_b32 v3, v48 offset:16
	s_waitcnt lgkmcnt(0)
	v_add_u32_e32 v42, v0, v39
	v_add3_u32 v40, v43, v41, v1
	v_add3_u32 v1, v46, v44, v2
	;; [unrolled: 1-line block ×3, first 2 shown]
	v_lshlrev_b32_e32 v45, 2, v42
	v_lshlrev_b32_e32 v44, 2, v40
	;; [unrolled: 1-line block ×4, first 2 shown]
                                        ; implicit-def: $vgpr39
                                        ; implicit-def: $vgpr12
                                        ; implicit-def: $vgpr3
                                        ; implicit-def: $vgpr2
                                        ; implicit-def: $vgpr46_vgpr47
                                        ; implicit-def: $vgpr48_vgpr49
                                        ; implicit-def: $vgpr50_vgpr51
	s_cbranch_scc1 .LBB122_18
; %bb.34:                               ;   in Loop: Header=BB122_19 Depth=1
	v_lshl_add_u32 v46, v42, 2, v45
	s_barrier
	ds_write_b32 v45, v38
	ds_write_b32 v44, v37
	;; [unrolled: 1-line block ×4, first 2 shown]
	s_waitcnt lgkmcnt(0)
	s_barrier
	ds_read_b32 v2, v27
	ds_read_b32 v3, v28
	ds_read_b32 v12, v29
	ds_read_b32 v39, v30
	s_waitcnt lgkmcnt(0)
	s_barrier
	ds_write_b64 v46, v[20:21]
	v_lshl_add_u32 v46, v40, 2, v44
	ds_write_b64 v46, v[18:19]
	v_lshl_add_u32 v46, v1, 2, v43
	;; [unrolled: 2-line block ×3, first 2 shown]
	ds_write_b64 v46, v[14:15]
	s_waitcnt lgkmcnt(0)
	s_barrier
	ds_read_b64 v[46:47], v31
	ds_read_b64 v[48:49], v32
	ds_read_b64 v[50:51], v33
	ds_read_b64 v[52:53], v34
	s_add_i32 s37, s37, -8
	s_mov_b64 s[26:27], 0
	s_waitcnt lgkmcnt(0)
	s_barrier
	s_branch .LBB122_18
.LBB122_35:
	v_add_u32_e32 v2, v11, v23
	s_barrier
	ds_write_b32 v45, v38
	ds_write_b32 v44, v37
	;; [unrolled: 1-line block ×4, first 2 shown]
	s_waitcnt lgkmcnt(0)
	s_barrier
	ds_read2st64_b32 v[22:23], v2 offset1:4
	ds_read2st64_b32 v[24:25], v2 offset0:8 offset1:12
	v_lshl_add_u32 v2, v42, 2, v45
	s_waitcnt lgkmcnt(0)
	s_barrier
	ds_write_b64 v2, v[20:21]
	v_lshl_add_u32 v2, v40, 2, v44
	v_lshl_add_u32 v1, v1, 2, v43
	;; [unrolled: 1-line block ×3, first 2 shown]
	v_lshlrev_b32_e32 v12, 3, v8
	v_bfrev_b32_e32 v9, -2
	v_cmp_gt_i32_e32 vcc, 0, v22
	ds_write_b64 v2, v[18:19]
	ds_write_b64 v1, v[16:17]
	;; [unrolled: 1-line block ×3, first 2 shown]
	s_waitcnt lgkmcnt(0)
	s_barrier
	ds_read2st64_b64 v[4:7], v12 offset1:4
	ds_read2st64_b64 v[0:3], v12 offset0:8 offset1:12
	v_cndmask_b32_e64 v11, v9, 0, vcc
	v_cmp_gt_i32_e32 vcc, 0, v23
	v_xor_b32_e32 v18, v11, v22
	s_add_u32 s0, s38, s34
	v_cndmask_b32_e64 v11, v9, 0, vcc
	v_cmp_gt_i32_e32 vcc, 0, v24
	v_xor_b32_e32 v17, v11, v23
	s_addc_u32 s1, s39, s35
	v_cndmask_b32_e64 v11, v9, 0, vcc
	v_cmp_gt_i32_e32 vcc, 0, v25
	v_xor_b32_e32 v16, v11, v24
	v_mov_b32_e32 v11, 0
	v_cndmask_b32_e64 v9, v9, 0, vcc
	v_xor_b32_e32 v9, v9, v25
	s_andn2_b64 vcc, exec, s[30:31]
	v_lshl_add_u64 v[14:15], s[0:1], 0, v[10:11]
	s_cbranch_vccnz .LBB122_37
; %bb.36:
	s_lshl_b64 s[0:1], s[28:29], 3
	s_add_u32 s0, s42, s0
	s_addc_u32 s1, s43, s1
	v_mov_b32_e32 v13, v11
	v_lshl_add_u64 v[10:11], s[0:1], 0, v[12:13]
	v_add_co_u32_e32 v10, vcc, 0x1000, v10
	global_store_dword v[14:15], v18, off
	global_store_dword v[14:15], v17, off offset:1024
	global_store_dword v[14:15], v16, off offset:2048
	;; [unrolled: 1-line block ×3, first 2 shown]
	s_waitcnt lgkmcnt(1)
	global_store_dwordx2 v12, v[4:5], s[0:1]
	global_store_dwordx2 v12, v[6:7], s[0:1] offset:2048
	v_addc_co_u32_e32 v11, vcc, 0, v11, vcc
	s_mov_b64 s[4:5], -1
	s_waitcnt lgkmcnt(0)
	global_store_dwordx2 v[10:11], v[0:1], off
	s_cbranch_execz .LBB122_38
	s_branch .LBB122_51
.LBB122_37:
	s_mov_b64 s[4:5], 0
.LBB122_38:
	v_cmp_gt_u32_e32 vcc, s33, v8
	s_and_saveexec_b64 s[0:1], vcc
	s_cbranch_execz .LBB122_40
; %bb.39:
	global_store_dword v[14:15], v18, off
.LBB122_40:
	s_or_b64 exec, exec, s[0:1]
	v_add_u32_e32 v10, 0x100, v8
	v_cmp_gt_u32_e64 s[0:1], s33, v10
	s_and_saveexec_b64 s[2:3], s[0:1]
	s_cbranch_execz .LBB122_42
; %bb.41:
	global_store_dword v[14:15], v17, off offset:1024
.LBB122_42:
	s_or_b64 exec, exec, s[2:3]
	v_add_u32_e32 v10, 0x200, v8
	v_cmp_gt_u32_e64 s[2:3], s33, v10
	s_and_saveexec_b64 s[4:5], s[2:3]
	s_cbranch_execz .LBB122_44
; %bb.43:
	global_store_dword v[14:15], v16, off offset:2048
.LBB122_44:
	;; [unrolled: 8-line block ×3, first 2 shown]
	s_or_b64 exec, exec, s[6:7]
	s_lshl_b64 s[6:7], s[28:29], 3
	s_add_u32 s6, s42, s6
	s_addc_u32 s7, s43, s7
	v_mov_b32_e32 v13, 0
	v_lshl_add_u64 v[8:9], s[6:7], 0, v[12:13]
	s_and_saveexec_b64 s[6:7], vcc
	s_cbranch_execnz .LBB122_57
; %bb.47:
	s_or_b64 exec, exec, s[6:7]
	s_and_saveexec_b64 s[6:7], s[0:1]
	s_cbranch_execnz .LBB122_58
.LBB122_48:
	s_or_b64 exec, exec, s[6:7]
	s_and_saveexec_b64 s[0:1], s[2:3]
	s_cbranch_execz .LBB122_50
.LBB122_49:
	s_waitcnt lgkmcnt(1)
	v_add_co_u32_e32 v4, vcc, 0x1000, v8
	s_nop 1
	v_addc_co_u32_e32 v5, vcc, 0, v9, vcc
	s_waitcnt lgkmcnt(0)
	global_store_dwordx2 v[4:5], v[0:1], off
.LBB122_50:
	s_or_b64 exec, exec, s[0:1]
.LBB122_51:
	s_and_saveexec_b64 s[0:1], s[4:5]
	s_cbranch_execnz .LBB122_53
; %bb.52:
	s_endpgm
.LBB122_53:
	s_lshl_b64 s[0:1], s[28:29], 3
	s_add_u32 s0, s42, s0
	s_addc_u32 s1, s43, s1
	v_mov_b32_e32 v13, 0
	s_waitcnt lgkmcnt(0)
	v_lshl_add_u64 v[0:1], s[0:1], 0, v[12:13]
	v_add_co_u32_e32 v0, vcc, 0x1000, v0
	s_nop 1
	v_addc_co_u32_e32 v1, vcc, 0, v1, vcc
	global_store_dwordx2 v[0:1], v[2:3], off offset:2048
	s_endpgm
.LBB122_54:
	global_load_dwordx2 v[46:47], v[6:7], off
	s_or_b64 exec, exec, s[8:9]
                                        ; implicit-def: $vgpr48_vgpr49
	s_and_saveexec_b64 s[8:9], s[2:3]
	s_cbranch_execz .LBB122_13
.LBB122_55:
	global_load_dwordx2 v[48:49], v[6:7], off offset:512
	s_or_b64 exec, exec, s[8:9]
                                        ; implicit-def: $vgpr50_vgpr51
	s_and_saveexec_b64 s[2:3], s[4:5]
	s_cbranch_execz .LBB122_14
.LBB122_56:
	global_load_dwordx2 v[50:51], v[6:7], off offset:1024
	s_or_b64 exec, exec, s[2:3]
                                        ; implicit-def: $vgpr52_vgpr53
	s_and_saveexec_b64 s[2:3], s[6:7]
	s_cbranch_execnz .LBB122_15
	s_branch .LBB122_16
.LBB122_57:
	s_waitcnt lgkmcnt(1)
	global_store_dwordx2 v[8:9], v[4:5], off
	s_or_b64 exec, exec, s[6:7]
	s_and_saveexec_b64 s[6:7], s[0:1]
	s_cbranch_execz .LBB122_48
.LBB122_58:
	s_waitcnt lgkmcnt(1)
	global_store_dwordx2 v[8:9], v[6:7], off offset:2048
	s_or_b64 exec, exec, s[6:7]
	s_and_saveexec_b64 s[0:1], s[2:3]
	s_cbranch_execnz .LBB122_49
	s_branch .LBB122_50
	.section	.rodata,"a",@progbits
	.p2align	6, 0x0
	.amdhsa_kernel _ZN7rocprim17ROCPRIM_304000_NS6detail28radix_sort_block_sort_kernelINS1_36wrapped_radix_sort_block_sort_configINS0_13kernel_configILj256ELj4ELj4294967295EEEfN2at4cuda3cub6detail10OpaqueTypeILi8EEEEELb1EPKfPfPKSB_PSB_NS0_19identity_decomposerEEEvT1_T2_T3_T4_jT5_jj
		.amdhsa_group_segment_fixed_size 8192
		.amdhsa_private_segment_fixed_size 0
		.amdhsa_kernarg_size 304
		.amdhsa_user_sgpr_count 2
		.amdhsa_user_sgpr_dispatch_ptr 0
		.amdhsa_user_sgpr_queue_ptr 0
		.amdhsa_user_sgpr_kernarg_segment_ptr 1
		.amdhsa_user_sgpr_dispatch_id 0
		.amdhsa_user_sgpr_kernarg_preload_length 0
		.amdhsa_user_sgpr_kernarg_preload_offset 0
		.amdhsa_user_sgpr_private_segment_size 0
		.amdhsa_uses_dynamic_stack 0
		.amdhsa_enable_private_segment 0
		.amdhsa_system_sgpr_workgroup_id_x 1
		.amdhsa_system_sgpr_workgroup_id_y 0
		.amdhsa_system_sgpr_workgroup_id_z 0
		.amdhsa_system_sgpr_workgroup_info 0
		.amdhsa_system_vgpr_workitem_id 2
		.amdhsa_next_free_vgpr 54
		.amdhsa_next_free_sgpr 48
		.amdhsa_accum_offset 56
		.amdhsa_reserve_vcc 1
		.amdhsa_float_round_mode_32 0
		.amdhsa_float_round_mode_16_64 0
		.amdhsa_float_denorm_mode_32 3
		.amdhsa_float_denorm_mode_16_64 3
		.amdhsa_dx10_clamp 1
		.amdhsa_ieee_mode 1
		.amdhsa_fp16_overflow 0
		.amdhsa_tg_split 0
		.amdhsa_exception_fp_ieee_invalid_op 0
		.amdhsa_exception_fp_denorm_src 0
		.amdhsa_exception_fp_ieee_div_zero 0
		.amdhsa_exception_fp_ieee_overflow 0
		.amdhsa_exception_fp_ieee_underflow 0
		.amdhsa_exception_fp_ieee_inexact 0
		.amdhsa_exception_int_div_zero 0
	.end_amdhsa_kernel
	.section	.text._ZN7rocprim17ROCPRIM_304000_NS6detail28radix_sort_block_sort_kernelINS1_36wrapped_radix_sort_block_sort_configINS0_13kernel_configILj256ELj4ELj4294967295EEEfN2at4cuda3cub6detail10OpaqueTypeILi8EEEEELb1EPKfPfPKSB_PSB_NS0_19identity_decomposerEEEvT1_T2_T3_T4_jT5_jj,"axG",@progbits,_ZN7rocprim17ROCPRIM_304000_NS6detail28radix_sort_block_sort_kernelINS1_36wrapped_radix_sort_block_sort_configINS0_13kernel_configILj256ELj4ELj4294967295EEEfN2at4cuda3cub6detail10OpaqueTypeILi8EEEEELb1EPKfPfPKSB_PSB_NS0_19identity_decomposerEEEvT1_T2_T3_T4_jT5_jj,comdat
.Lfunc_end122:
	.size	_ZN7rocprim17ROCPRIM_304000_NS6detail28radix_sort_block_sort_kernelINS1_36wrapped_radix_sort_block_sort_configINS0_13kernel_configILj256ELj4ELj4294967295EEEfN2at4cuda3cub6detail10OpaqueTypeILi8EEEEELb1EPKfPfPKSB_PSB_NS0_19identity_decomposerEEEvT1_T2_T3_T4_jT5_jj, .Lfunc_end122-_ZN7rocprim17ROCPRIM_304000_NS6detail28radix_sort_block_sort_kernelINS1_36wrapped_radix_sort_block_sort_configINS0_13kernel_configILj256ELj4ELj4294967295EEEfN2at4cuda3cub6detail10OpaqueTypeILi8EEEEELb1EPKfPfPKSB_PSB_NS0_19identity_decomposerEEEvT1_T2_T3_T4_jT5_jj
                                        ; -- End function
	.set _ZN7rocprim17ROCPRIM_304000_NS6detail28radix_sort_block_sort_kernelINS1_36wrapped_radix_sort_block_sort_configINS0_13kernel_configILj256ELj4ELj4294967295EEEfN2at4cuda3cub6detail10OpaqueTypeILi8EEEEELb1EPKfPfPKSB_PSB_NS0_19identity_decomposerEEEvT1_T2_T3_T4_jT5_jj.num_vgpr, 54
	.set _ZN7rocprim17ROCPRIM_304000_NS6detail28radix_sort_block_sort_kernelINS1_36wrapped_radix_sort_block_sort_configINS0_13kernel_configILj256ELj4ELj4294967295EEEfN2at4cuda3cub6detail10OpaqueTypeILi8EEEEELb1EPKfPfPKSB_PSB_NS0_19identity_decomposerEEEvT1_T2_T3_T4_jT5_jj.num_agpr, 0
	.set _ZN7rocprim17ROCPRIM_304000_NS6detail28radix_sort_block_sort_kernelINS1_36wrapped_radix_sort_block_sort_configINS0_13kernel_configILj256ELj4ELj4294967295EEEfN2at4cuda3cub6detail10OpaqueTypeILi8EEEEELb1EPKfPfPKSB_PSB_NS0_19identity_decomposerEEEvT1_T2_T3_T4_jT5_jj.numbered_sgpr, 48
	.set _ZN7rocprim17ROCPRIM_304000_NS6detail28radix_sort_block_sort_kernelINS1_36wrapped_radix_sort_block_sort_configINS0_13kernel_configILj256ELj4ELj4294967295EEEfN2at4cuda3cub6detail10OpaqueTypeILi8EEEEELb1EPKfPfPKSB_PSB_NS0_19identity_decomposerEEEvT1_T2_T3_T4_jT5_jj.num_named_barrier, 0
	.set _ZN7rocprim17ROCPRIM_304000_NS6detail28radix_sort_block_sort_kernelINS1_36wrapped_radix_sort_block_sort_configINS0_13kernel_configILj256ELj4ELj4294967295EEEfN2at4cuda3cub6detail10OpaqueTypeILi8EEEEELb1EPKfPfPKSB_PSB_NS0_19identity_decomposerEEEvT1_T2_T3_T4_jT5_jj.private_seg_size, 0
	.set _ZN7rocprim17ROCPRIM_304000_NS6detail28radix_sort_block_sort_kernelINS1_36wrapped_radix_sort_block_sort_configINS0_13kernel_configILj256ELj4ELj4294967295EEEfN2at4cuda3cub6detail10OpaqueTypeILi8EEEEELb1EPKfPfPKSB_PSB_NS0_19identity_decomposerEEEvT1_T2_T3_T4_jT5_jj.uses_vcc, 1
	.set _ZN7rocprim17ROCPRIM_304000_NS6detail28radix_sort_block_sort_kernelINS1_36wrapped_radix_sort_block_sort_configINS0_13kernel_configILj256ELj4ELj4294967295EEEfN2at4cuda3cub6detail10OpaqueTypeILi8EEEEELb1EPKfPfPKSB_PSB_NS0_19identity_decomposerEEEvT1_T2_T3_T4_jT5_jj.uses_flat_scratch, 0
	.set _ZN7rocprim17ROCPRIM_304000_NS6detail28radix_sort_block_sort_kernelINS1_36wrapped_radix_sort_block_sort_configINS0_13kernel_configILj256ELj4ELj4294967295EEEfN2at4cuda3cub6detail10OpaqueTypeILi8EEEEELb1EPKfPfPKSB_PSB_NS0_19identity_decomposerEEEvT1_T2_T3_T4_jT5_jj.has_dyn_sized_stack, 0
	.set _ZN7rocprim17ROCPRIM_304000_NS6detail28radix_sort_block_sort_kernelINS1_36wrapped_radix_sort_block_sort_configINS0_13kernel_configILj256ELj4ELj4294967295EEEfN2at4cuda3cub6detail10OpaqueTypeILi8EEEEELb1EPKfPfPKSB_PSB_NS0_19identity_decomposerEEEvT1_T2_T3_T4_jT5_jj.has_recursion, 0
	.set _ZN7rocprim17ROCPRIM_304000_NS6detail28radix_sort_block_sort_kernelINS1_36wrapped_radix_sort_block_sort_configINS0_13kernel_configILj256ELj4ELj4294967295EEEfN2at4cuda3cub6detail10OpaqueTypeILi8EEEEELb1EPKfPfPKSB_PSB_NS0_19identity_decomposerEEEvT1_T2_T3_T4_jT5_jj.has_indirect_call, 0
	.section	.AMDGPU.csdata,"",@progbits
; Kernel info:
; codeLenInByte = 4056
; TotalNumSgprs: 54
; NumVgprs: 54
; NumAgprs: 0
; TotalNumVgprs: 54
; ScratchSize: 0
; MemoryBound: 0
; FloatMode: 240
; IeeeMode: 1
; LDSByteSize: 8192 bytes/workgroup (compile time only)
; SGPRBlocks: 6
; VGPRBlocks: 6
; NumSGPRsForWavesPerEU: 54
; NumVGPRsForWavesPerEU: 54
; AccumOffset: 56
; Occupancy: 8
; WaveLimiterHint : 1
; COMPUTE_PGM_RSRC2:SCRATCH_EN: 0
; COMPUTE_PGM_RSRC2:USER_SGPR: 2
; COMPUTE_PGM_RSRC2:TRAP_HANDLER: 0
; COMPUTE_PGM_RSRC2:TGID_X_EN: 1
; COMPUTE_PGM_RSRC2:TGID_Y_EN: 0
; COMPUTE_PGM_RSRC2:TGID_Z_EN: 0
; COMPUTE_PGM_RSRC2:TIDIG_COMP_CNT: 2
; COMPUTE_PGM_RSRC3_GFX90A:ACCUM_OFFSET: 13
; COMPUTE_PGM_RSRC3_GFX90A:TG_SPLIT: 0
	.section	.text._ZN7rocprim17ROCPRIM_304000_NS6detail39device_merge_sort_compile_time_verifierINS1_36wrapped_merge_sort_block_sort_configINS1_28merge_sort_block_sort_configILj256ELj4ELNS0_20block_sort_algorithmE0EEEfN2at4cuda3cub6detail10OpaqueTypeILi8EEEEENS1_37wrapped_merge_sort_block_merge_configINS0_14default_configEfSC_EEEEvv,"axG",@progbits,_ZN7rocprim17ROCPRIM_304000_NS6detail39device_merge_sort_compile_time_verifierINS1_36wrapped_merge_sort_block_sort_configINS1_28merge_sort_block_sort_configILj256ELj4ELNS0_20block_sort_algorithmE0EEEfN2at4cuda3cub6detail10OpaqueTypeILi8EEEEENS1_37wrapped_merge_sort_block_merge_configINS0_14default_configEfSC_EEEEvv,comdat
	.protected	_ZN7rocprim17ROCPRIM_304000_NS6detail39device_merge_sort_compile_time_verifierINS1_36wrapped_merge_sort_block_sort_configINS1_28merge_sort_block_sort_configILj256ELj4ELNS0_20block_sort_algorithmE0EEEfN2at4cuda3cub6detail10OpaqueTypeILi8EEEEENS1_37wrapped_merge_sort_block_merge_configINS0_14default_configEfSC_EEEEvv ; -- Begin function _ZN7rocprim17ROCPRIM_304000_NS6detail39device_merge_sort_compile_time_verifierINS1_36wrapped_merge_sort_block_sort_configINS1_28merge_sort_block_sort_configILj256ELj4ELNS0_20block_sort_algorithmE0EEEfN2at4cuda3cub6detail10OpaqueTypeILi8EEEEENS1_37wrapped_merge_sort_block_merge_configINS0_14default_configEfSC_EEEEvv
	.globl	_ZN7rocprim17ROCPRIM_304000_NS6detail39device_merge_sort_compile_time_verifierINS1_36wrapped_merge_sort_block_sort_configINS1_28merge_sort_block_sort_configILj256ELj4ELNS0_20block_sort_algorithmE0EEEfN2at4cuda3cub6detail10OpaqueTypeILi8EEEEENS1_37wrapped_merge_sort_block_merge_configINS0_14default_configEfSC_EEEEvv
	.p2align	8
	.type	_ZN7rocprim17ROCPRIM_304000_NS6detail39device_merge_sort_compile_time_verifierINS1_36wrapped_merge_sort_block_sort_configINS1_28merge_sort_block_sort_configILj256ELj4ELNS0_20block_sort_algorithmE0EEEfN2at4cuda3cub6detail10OpaqueTypeILi8EEEEENS1_37wrapped_merge_sort_block_merge_configINS0_14default_configEfSC_EEEEvv,@function
_ZN7rocprim17ROCPRIM_304000_NS6detail39device_merge_sort_compile_time_verifierINS1_36wrapped_merge_sort_block_sort_configINS1_28merge_sort_block_sort_configILj256ELj4ELNS0_20block_sort_algorithmE0EEEfN2at4cuda3cub6detail10OpaqueTypeILi8EEEEENS1_37wrapped_merge_sort_block_merge_configINS0_14default_configEfSC_EEEEvv: ; @_ZN7rocprim17ROCPRIM_304000_NS6detail39device_merge_sort_compile_time_verifierINS1_36wrapped_merge_sort_block_sort_configINS1_28merge_sort_block_sort_configILj256ELj4ELNS0_20block_sort_algorithmE0EEEfN2at4cuda3cub6detail10OpaqueTypeILi8EEEEENS1_37wrapped_merge_sort_block_merge_configINS0_14default_configEfSC_EEEEvv
; %bb.0:
	s_endpgm
	.section	.rodata,"a",@progbits
	.p2align	6, 0x0
	.amdhsa_kernel _ZN7rocprim17ROCPRIM_304000_NS6detail39device_merge_sort_compile_time_verifierINS1_36wrapped_merge_sort_block_sort_configINS1_28merge_sort_block_sort_configILj256ELj4ELNS0_20block_sort_algorithmE0EEEfN2at4cuda3cub6detail10OpaqueTypeILi8EEEEENS1_37wrapped_merge_sort_block_merge_configINS0_14default_configEfSC_EEEEvv
		.amdhsa_group_segment_fixed_size 0
		.amdhsa_private_segment_fixed_size 0
		.amdhsa_kernarg_size 0
		.amdhsa_user_sgpr_count 0
		.amdhsa_user_sgpr_dispatch_ptr 0
		.amdhsa_user_sgpr_queue_ptr 0
		.amdhsa_user_sgpr_kernarg_segment_ptr 0
		.amdhsa_user_sgpr_dispatch_id 0
		.amdhsa_user_sgpr_kernarg_preload_length 0
		.amdhsa_user_sgpr_kernarg_preload_offset 0
		.amdhsa_user_sgpr_private_segment_size 0
		.amdhsa_uses_dynamic_stack 0
		.amdhsa_enable_private_segment 0
		.amdhsa_system_sgpr_workgroup_id_x 1
		.amdhsa_system_sgpr_workgroup_id_y 0
		.amdhsa_system_sgpr_workgroup_id_z 0
		.amdhsa_system_sgpr_workgroup_info 0
		.amdhsa_system_vgpr_workitem_id 0
		.amdhsa_next_free_vgpr 1
		.amdhsa_next_free_sgpr 0
		.amdhsa_accum_offset 4
		.amdhsa_reserve_vcc 0
		.amdhsa_float_round_mode_32 0
		.amdhsa_float_round_mode_16_64 0
		.amdhsa_float_denorm_mode_32 3
		.amdhsa_float_denorm_mode_16_64 3
		.amdhsa_dx10_clamp 1
		.amdhsa_ieee_mode 1
		.amdhsa_fp16_overflow 0
		.amdhsa_tg_split 0
		.amdhsa_exception_fp_ieee_invalid_op 0
		.amdhsa_exception_fp_denorm_src 0
		.amdhsa_exception_fp_ieee_div_zero 0
		.amdhsa_exception_fp_ieee_overflow 0
		.amdhsa_exception_fp_ieee_underflow 0
		.amdhsa_exception_fp_ieee_inexact 0
		.amdhsa_exception_int_div_zero 0
	.end_amdhsa_kernel
	.section	.text._ZN7rocprim17ROCPRIM_304000_NS6detail39device_merge_sort_compile_time_verifierINS1_36wrapped_merge_sort_block_sort_configINS1_28merge_sort_block_sort_configILj256ELj4ELNS0_20block_sort_algorithmE0EEEfN2at4cuda3cub6detail10OpaqueTypeILi8EEEEENS1_37wrapped_merge_sort_block_merge_configINS0_14default_configEfSC_EEEEvv,"axG",@progbits,_ZN7rocprim17ROCPRIM_304000_NS6detail39device_merge_sort_compile_time_verifierINS1_36wrapped_merge_sort_block_sort_configINS1_28merge_sort_block_sort_configILj256ELj4ELNS0_20block_sort_algorithmE0EEEfN2at4cuda3cub6detail10OpaqueTypeILi8EEEEENS1_37wrapped_merge_sort_block_merge_configINS0_14default_configEfSC_EEEEvv,comdat
.Lfunc_end123:
	.size	_ZN7rocprim17ROCPRIM_304000_NS6detail39device_merge_sort_compile_time_verifierINS1_36wrapped_merge_sort_block_sort_configINS1_28merge_sort_block_sort_configILj256ELj4ELNS0_20block_sort_algorithmE0EEEfN2at4cuda3cub6detail10OpaqueTypeILi8EEEEENS1_37wrapped_merge_sort_block_merge_configINS0_14default_configEfSC_EEEEvv, .Lfunc_end123-_ZN7rocprim17ROCPRIM_304000_NS6detail39device_merge_sort_compile_time_verifierINS1_36wrapped_merge_sort_block_sort_configINS1_28merge_sort_block_sort_configILj256ELj4ELNS0_20block_sort_algorithmE0EEEfN2at4cuda3cub6detail10OpaqueTypeILi8EEEEENS1_37wrapped_merge_sort_block_merge_configINS0_14default_configEfSC_EEEEvv
                                        ; -- End function
	.set _ZN7rocprim17ROCPRIM_304000_NS6detail39device_merge_sort_compile_time_verifierINS1_36wrapped_merge_sort_block_sort_configINS1_28merge_sort_block_sort_configILj256ELj4ELNS0_20block_sort_algorithmE0EEEfN2at4cuda3cub6detail10OpaqueTypeILi8EEEEENS1_37wrapped_merge_sort_block_merge_configINS0_14default_configEfSC_EEEEvv.num_vgpr, 0
	.set _ZN7rocprim17ROCPRIM_304000_NS6detail39device_merge_sort_compile_time_verifierINS1_36wrapped_merge_sort_block_sort_configINS1_28merge_sort_block_sort_configILj256ELj4ELNS0_20block_sort_algorithmE0EEEfN2at4cuda3cub6detail10OpaqueTypeILi8EEEEENS1_37wrapped_merge_sort_block_merge_configINS0_14default_configEfSC_EEEEvv.num_agpr, 0
	.set _ZN7rocprim17ROCPRIM_304000_NS6detail39device_merge_sort_compile_time_verifierINS1_36wrapped_merge_sort_block_sort_configINS1_28merge_sort_block_sort_configILj256ELj4ELNS0_20block_sort_algorithmE0EEEfN2at4cuda3cub6detail10OpaqueTypeILi8EEEEENS1_37wrapped_merge_sort_block_merge_configINS0_14default_configEfSC_EEEEvv.numbered_sgpr, 0
	.set _ZN7rocprim17ROCPRIM_304000_NS6detail39device_merge_sort_compile_time_verifierINS1_36wrapped_merge_sort_block_sort_configINS1_28merge_sort_block_sort_configILj256ELj4ELNS0_20block_sort_algorithmE0EEEfN2at4cuda3cub6detail10OpaqueTypeILi8EEEEENS1_37wrapped_merge_sort_block_merge_configINS0_14default_configEfSC_EEEEvv.num_named_barrier, 0
	.set _ZN7rocprim17ROCPRIM_304000_NS6detail39device_merge_sort_compile_time_verifierINS1_36wrapped_merge_sort_block_sort_configINS1_28merge_sort_block_sort_configILj256ELj4ELNS0_20block_sort_algorithmE0EEEfN2at4cuda3cub6detail10OpaqueTypeILi8EEEEENS1_37wrapped_merge_sort_block_merge_configINS0_14default_configEfSC_EEEEvv.private_seg_size, 0
	.set _ZN7rocprim17ROCPRIM_304000_NS6detail39device_merge_sort_compile_time_verifierINS1_36wrapped_merge_sort_block_sort_configINS1_28merge_sort_block_sort_configILj256ELj4ELNS0_20block_sort_algorithmE0EEEfN2at4cuda3cub6detail10OpaqueTypeILi8EEEEENS1_37wrapped_merge_sort_block_merge_configINS0_14default_configEfSC_EEEEvv.uses_vcc, 0
	.set _ZN7rocprim17ROCPRIM_304000_NS6detail39device_merge_sort_compile_time_verifierINS1_36wrapped_merge_sort_block_sort_configINS1_28merge_sort_block_sort_configILj256ELj4ELNS0_20block_sort_algorithmE0EEEfN2at4cuda3cub6detail10OpaqueTypeILi8EEEEENS1_37wrapped_merge_sort_block_merge_configINS0_14default_configEfSC_EEEEvv.uses_flat_scratch, 0
	.set _ZN7rocprim17ROCPRIM_304000_NS6detail39device_merge_sort_compile_time_verifierINS1_36wrapped_merge_sort_block_sort_configINS1_28merge_sort_block_sort_configILj256ELj4ELNS0_20block_sort_algorithmE0EEEfN2at4cuda3cub6detail10OpaqueTypeILi8EEEEENS1_37wrapped_merge_sort_block_merge_configINS0_14default_configEfSC_EEEEvv.has_dyn_sized_stack, 0
	.set _ZN7rocprim17ROCPRIM_304000_NS6detail39device_merge_sort_compile_time_verifierINS1_36wrapped_merge_sort_block_sort_configINS1_28merge_sort_block_sort_configILj256ELj4ELNS0_20block_sort_algorithmE0EEEfN2at4cuda3cub6detail10OpaqueTypeILi8EEEEENS1_37wrapped_merge_sort_block_merge_configINS0_14default_configEfSC_EEEEvv.has_recursion, 0
	.set _ZN7rocprim17ROCPRIM_304000_NS6detail39device_merge_sort_compile_time_verifierINS1_36wrapped_merge_sort_block_sort_configINS1_28merge_sort_block_sort_configILj256ELj4ELNS0_20block_sort_algorithmE0EEEfN2at4cuda3cub6detail10OpaqueTypeILi8EEEEENS1_37wrapped_merge_sort_block_merge_configINS0_14default_configEfSC_EEEEvv.has_indirect_call, 0
	.section	.AMDGPU.csdata,"",@progbits
; Kernel info:
; codeLenInByte = 4
; TotalNumSgprs: 6
; NumVgprs: 0
; NumAgprs: 0
; TotalNumVgprs: 0
; ScratchSize: 0
; MemoryBound: 0
; FloatMode: 240
; IeeeMode: 1
; LDSByteSize: 0 bytes/workgroup (compile time only)
; SGPRBlocks: 0
; VGPRBlocks: 0
; NumSGPRsForWavesPerEU: 6
; NumVGPRsForWavesPerEU: 1
; AccumOffset: 4
; Occupancy: 8
; WaveLimiterHint : 0
; COMPUTE_PGM_RSRC2:SCRATCH_EN: 0
; COMPUTE_PGM_RSRC2:USER_SGPR: 0
; COMPUTE_PGM_RSRC2:TRAP_HANDLER: 0
; COMPUTE_PGM_RSRC2:TGID_X_EN: 1
; COMPUTE_PGM_RSRC2:TGID_Y_EN: 0
; COMPUTE_PGM_RSRC2:TGID_Z_EN: 0
; COMPUTE_PGM_RSRC2:TIDIG_COMP_CNT: 0
; COMPUTE_PGM_RSRC3_GFX90A:ACCUM_OFFSET: 0
; COMPUTE_PGM_RSRC3_GFX90A:TG_SPLIT: 0
	.section	.text._ZN7rocprim17ROCPRIM_304000_NS6detail45device_block_merge_mergepath_partition_kernelINS1_37wrapped_merge_sort_block_merge_configINS0_14default_configEfN2at4cuda3cub6detail10OpaqueTypeILi8EEEEEPfjNS1_19radix_merge_compareILb1ELb0EfNS0_19identity_decomposerEEEEEvT0_T1_jPSH_T2_SH_,"axG",@progbits,_ZN7rocprim17ROCPRIM_304000_NS6detail45device_block_merge_mergepath_partition_kernelINS1_37wrapped_merge_sort_block_merge_configINS0_14default_configEfN2at4cuda3cub6detail10OpaqueTypeILi8EEEEEPfjNS1_19radix_merge_compareILb1ELb0EfNS0_19identity_decomposerEEEEEvT0_T1_jPSH_T2_SH_,comdat
	.protected	_ZN7rocprim17ROCPRIM_304000_NS6detail45device_block_merge_mergepath_partition_kernelINS1_37wrapped_merge_sort_block_merge_configINS0_14default_configEfN2at4cuda3cub6detail10OpaqueTypeILi8EEEEEPfjNS1_19radix_merge_compareILb1ELb0EfNS0_19identity_decomposerEEEEEvT0_T1_jPSH_T2_SH_ ; -- Begin function _ZN7rocprim17ROCPRIM_304000_NS6detail45device_block_merge_mergepath_partition_kernelINS1_37wrapped_merge_sort_block_merge_configINS0_14default_configEfN2at4cuda3cub6detail10OpaqueTypeILi8EEEEEPfjNS1_19radix_merge_compareILb1ELb0EfNS0_19identity_decomposerEEEEEvT0_T1_jPSH_T2_SH_
	.globl	_ZN7rocprim17ROCPRIM_304000_NS6detail45device_block_merge_mergepath_partition_kernelINS1_37wrapped_merge_sort_block_merge_configINS0_14default_configEfN2at4cuda3cub6detail10OpaqueTypeILi8EEEEEPfjNS1_19radix_merge_compareILb1ELb0EfNS0_19identity_decomposerEEEEEvT0_T1_jPSH_T2_SH_
	.p2align	8
	.type	_ZN7rocprim17ROCPRIM_304000_NS6detail45device_block_merge_mergepath_partition_kernelINS1_37wrapped_merge_sort_block_merge_configINS0_14default_configEfN2at4cuda3cub6detail10OpaqueTypeILi8EEEEEPfjNS1_19radix_merge_compareILb1ELb0EfNS0_19identity_decomposerEEEEEvT0_T1_jPSH_T2_SH_,@function
_ZN7rocprim17ROCPRIM_304000_NS6detail45device_block_merge_mergepath_partition_kernelINS1_37wrapped_merge_sort_block_merge_configINS0_14default_configEfN2at4cuda3cub6detail10OpaqueTypeILi8EEEEEPfjNS1_19radix_merge_compareILb1ELb0EfNS0_19identity_decomposerEEEEEvT0_T1_jPSH_T2_SH_: ; @_ZN7rocprim17ROCPRIM_304000_NS6detail45device_block_merge_mergepath_partition_kernelINS1_37wrapped_merge_sort_block_merge_configINS0_14default_configEfN2at4cuda3cub6detail10OpaqueTypeILi8EEEEEPfjNS1_19radix_merge_compareILb1ELb0EfNS0_19identity_decomposerEEEEEvT0_T1_jPSH_T2_SH_
; %bb.0:
	s_load_dwordx2 s[4:5], s[0:1], 0x8
	v_lshl_or_b32 v0, s2, 7, v0
	s_waitcnt lgkmcnt(0)
	v_cmp_gt_u32_e32 vcc, s5, v0
	s_and_saveexec_b64 s[2:3], vcc
	s_cbranch_execz .LBB124_6
; %bb.1:
	s_load_dword s2, s[0:1], 0x1c
	s_waitcnt lgkmcnt(0)
	s_lshr_b32 s3, s2, 9
	s_and_b32 s3, s3, 0x7ffffe
	s_add_i32 s5, s3, -1
	s_sub_i32 s3, 0, s3
	v_and_b32_e32 v1, s3, v0
	v_and_b32_e32 v2, s5, v0
	v_lshlrev_b32_e32 v1, 10, v1
	v_lshlrev_b32_e32 v3, 10, v2
	v_min_u32_e32 v2, s4, v1
	v_add_u32_e32 v1, s2, v1
	v_min_u32_e32 v4, s4, v1
	v_add_u32_e32 v1, s2, v4
	v_min_u32_e32 v1, s4, v1
	v_sub_u32_e32 v5, v1, v2
	v_min_u32_e32 v10, v5, v3
	v_sub_u32_e32 v3, v4, v2
	v_sub_u32_e32 v1, v1, v4
	v_sub_u32_e64 v1, v10, v1 clamp
	v_min_u32_e32 v11, v10, v3
	v_cmp_lt_u32_e32 vcc, v1, v11
	s_and_saveexec_b64 s[2:3], vcc
	s_cbranch_execz .LBB124_5
; %bb.2:
	s_load_dwordx2 s[6:7], s[0:1], 0x0
	v_mov_b32_e32 v5, 0
	v_mov_b32_e32 v3, v5
	s_mov_b64 s[4:5], 0
	s_waitcnt lgkmcnt(0)
	v_lshl_add_u64 v[6:7], v[2:3], 2, s[6:7]
	v_lshl_add_u64 v[8:9], v[4:5], 2, s[6:7]
	s_brev_b32 s6, 1
	v_bfrev_b32_e32 v3, 1
.LBB124_3:                              ; =>This Inner Loop Header: Depth=1
	v_add_u32_e32 v4, v11, v1
	v_lshrrev_b32_e32 v4, 1, v4
	v_mov_b32_e32 v13, v5
	v_xad_u32 v12, v4, -1, v10
	v_lshl_add_u64 v[14:15], v[4:5], 2, v[6:7]
	global_load_dword v14, v[14:15], off
	v_lshl_add_u64 v[12:13], v[12:13], 2, v[8:9]
	global_load_dword v12, v[12:13], off
	v_add_u32_e32 v13, 1, v4
	s_waitcnt vmcnt(1)
	v_cmp_ne_u32_e32 vcc, s6, v14
	s_nop 1
	v_cndmask_b32_e32 v14, 0, v14, vcc
	s_waitcnt vmcnt(0)
	v_cmp_ne_u32_e32 vcc, s6, v12
	s_nop 1
	v_cndmask_b32_e32 v12, 0, v12, vcc
	v_cmp_lt_i32_e32 vcc, -1, v14
	s_nop 1
	v_cndmask_b32_e32 v15, -1, v3, vcc
	v_cmp_lt_i32_e32 vcc, -1, v12
	v_xor_b32_e32 v14, v15, v14
	s_nop 0
	v_cndmask_b32_e32 v16, -1, v3, vcc
	v_xor_b32_e32 v12, v16, v12
	v_cmp_gt_u32_e32 vcc, v12, v14
	s_nop 1
	v_cndmask_b32_e32 v11, v11, v4, vcc
	v_cndmask_b32_e32 v1, v13, v1, vcc
	v_cmp_ge_u32_e32 vcc, v1, v11
	s_or_b64 s[4:5], vcc, s[4:5]
	s_andn2_b64 exec, exec, s[4:5]
	s_cbranch_execnz .LBB124_3
; %bb.4:
	s_or_b64 exec, exec, s[4:5]
.LBB124_5:
	s_or_b64 exec, exec, s[2:3]
	s_load_dwordx2 s[0:1], s[0:1], 0x10
	v_add_u32_e32 v2, v1, v2
	v_mov_b32_e32 v1, 0
	s_waitcnt lgkmcnt(0)
	v_lshl_add_u64 v[0:1], v[0:1], 2, s[0:1]
	global_store_dword v[0:1], v2, off
.LBB124_6:
	s_endpgm
	.section	.rodata,"a",@progbits
	.p2align	6, 0x0
	.amdhsa_kernel _ZN7rocprim17ROCPRIM_304000_NS6detail45device_block_merge_mergepath_partition_kernelINS1_37wrapped_merge_sort_block_merge_configINS0_14default_configEfN2at4cuda3cub6detail10OpaqueTypeILi8EEEEEPfjNS1_19radix_merge_compareILb1ELb0EfNS0_19identity_decomposerEEEEEvT0_T1_jPSH_T2_SH_
		.amdhsa_group_segment_fixed_size 0
		.amdhsa_private_segment_fixed_size 0
		.amdhsa_kernarg_size 32
		.amdhsa_user_sgpr_count 2
		.amdhsa_user_sgpr_dispatch_ptr 0
		.amdhsa_user_sgpr_queue_ptr 0
		.amdhsa_user_sgpr_kernarg_segment_ptr 1
		.amdhsa_user_sgpr_dispatch_id 0
		.amdhsa_user_sgpr_kernarg_preload_length 0
		.amdhsa_user_sgpr_kernarg_preload_offset 0
		.amdhsa_user_sgpr_private_segment_size 0
		.amdhsa_uses_dynamic_stack 0
		.amdhsa_enable_private_segment 0
		.amdhsa_system_sgpr_workgroup_id_x 1
		.amdhsa_system_sgpr_workgroup_id_y 0
		.amdhsa_system_sgpr_workgroup_id_z 0
		.amdhsa_system_sgpr_workgroup_info 0
		.amdhsa_system_vgpr_workitem_id 0
		.amdhsa_next_free_vgpr 17
		.amdhsa_next_free_sgpr 8
		.amdhsa_accum_offset 20
		.amdhsa_reserve_vcc 1
		.amdhsa_float_round_mode_32 0
		.amdhsa_float_round_mode_16_64 0
		.amdhsa_float_denorm_mode_32 3
		.amdhsa_float_denorm_mode_16_64 3
		.amdhsa_dx10_clamp 1
		.amdhsa_ieee_mode 1
		.amdhsa_fp16_overflow 0
		.amdhsa_tg_split 0
		.amdhsa_exception_fp_ieee_invalid_op 0
		.amdhsa_exception_fp_denorm_src 0
		.amdhsa_exception_fp_ieee_div_zero 0
		.amdhsa_exception_fp_ieee_overflow 0
		.amdhsa_exception_fp_ieee_underflow 0
		.amdhsa_exception_fp_ieee_inexact 0
		.amdhsa_exception_int_div_zero 0
	.end_amdhsa_kernel
	.section	.text._ZN7rocprim17ROCPRIM_304000_NS6detail45device_block_merge_mergepath_partition_kernelINS1_37wrapped_merge_sort_block_merge_configINS0_14default_configEfN2at4cuda3cub6detail10OpaqueTypeILi8EEEEEPfjNS1_19radix_merge_compareILb1ELb0EfNS0_19identity_decomposerEEEEEvT0_T1_jPSH_T2_SH_,"axG",@progbits,_ZN7rocprim17ROCPRIM_304000_NS6detail45device_block_merge_mergepath_partition_kernelINS1_37wrapped_merge_sort_block_merge_configINS0_14default_configEfN2at4cuda3cub6detail10OpaqueTypeILi8EEEEEPfjNS1_19radix_merge_compareILb1ELb0EfNS0_19identity_decomposerEEEEEvT0_T1_jPSH_T2_SH_,comdat
.Lfunc_end124:
	.size	_ZN7rocprim17ROCPRIM_304000_NS6detail45device_block_merge_mergepath_partition_kernelINS1_37wrapped_merge_sort_block_merge_configINS0_14default_configEfN2at4cuda3cub6detail10OpaqueTypeILi8EEEEEPfjNS1_19radix_merge_compareILb1ELb0EfNS0_19identity_decomposerEEEEEvT0_T1_jPSH_T2_SH_, .Lfunc_end124-_ZN7rocprim17ROCPRIM_304000_NS6detail45device_block_merge_mergepath_partition_kernelINS1_37wrapped_merge_sort_block_merge_configINS0_14default_configEfN2at4cuda3cub6detail10OpaqueTypeILi8EEEEEPfjNS1_19radix_merge_compareILb1ELb0EfNS0_19identity_decomposerEEEEEvT0_T1_jPSH_T2_SH_
                                        ; -- End function
	.set _ZN7rocprim17ROCPRIM_304000_NS6detail45device_block_merge_mergepath_partition_kernelINS1_37wrapped_merge_sort_block_merge_configINS0_14default_configEfN2at4cuda3cub6detail10OpaqueTypeILi8EEEEEPfjNS1_19radix_merge_compareILb1ELb0EfNS0_19identity_decomposerEEEEEvT0_T1_jPSH_T2_SH_.num_vgpr, 17
	.set _ZN7rocprim17ROCPRIM_304000_NS6detail45device_block_merge_mergepath_partition_kernelINS1_37wrapped_merge_sort_block_merge_configINS0_14default_configEfN2at4cuda3cub6detail10OpaqueTypeILi8EEEEEPfjNS1_19radix_merge_compareILb1ELb0EfNS0_19identity_decomposerEEEEEvT0_T1_jPSH_T2_SH_.num_agpr, 0
	.set _ZN7rocprim17ROCPRIM_304000_NS6detail45device_block_merge_mergepath_partition_kernelINS1_37wrapped_merge_sort_block_merge_configINS0_14default_configEfN2at4cuda3cub6detail10OpaqueTypeILi8EEEEEPfjNS1_19radix_merge_compareILb1ELb0EfNS0_19identity_decomposerEEEEEvT0_T1_jPSH_T2_SH_.numbered_sgpr, 8
	.set _ZN7rocprim17ROCPRIM_304000_NS6detail45device_block_merge_mergepath_partition_kernelINS1_37wrapped_merge_sort_block_merge_configINS0_14default_configEfN2at4cuda3cub6detail10OpaqueTypeILi8EEEEEPfjNS1_19radix_merge_compareILb1ELb0EfNS0_19identity_decomposerEEEEEvT0_T1_jPSH_T2_SH_.num_named_barrier, 0
	.set _ZN7rocprim17ROCPRIM_304000_NS6detail45device_block_merge_mergepath_partition_kernelINS1_37wrapped_merge_sort_block_merge_configINS0_14default_configEfN2at4cuda3cub6detail10OpaqueTypeILi8EEEEEPfjNS1_19radix_merge_compareILb1ELb0EfNS0_19identity_decomposerEEEEEvT0_T1_jPSH_T2_SH_.private_seg_size, 0
	.set _ZN7rocprim17ROCPRIM_304000_NS6detail45device_block_merge_mergepath_partition_kernelINS1_37wrapped_merge_sort_block_merge_configINS0_14default_configEfN2at4cuda3cub6detail10OpaqueTypeILi8EEEEEPfjNS1_19radix_merge_compareILb1ELb0EfNS0_19identity_decomposerEEEEEvT0_T1_jPSH_T2_SH_.uses_vcc, 1
	.set _ZN7rocprim17ROCPRIM_304000_NS6detail45device_block_merge_mergepath_partition_kernelINS1_37wrapped_merge_sort_block_merge_configINS0_14default_configEfN2at4cuda3cub6detail10OpaqueTypeILi8EEEEEPfjNS1_19radix_merge_compareILb1ELb0EfNS0_19identity_decomposerEEEEEvT0_T1_jPSH_T2_SH_.uses_flat_scratch, 0
	.set _ZN7rocprim17ROCPRIM_304000_NS6detail45device_block_merge_mergepath_partition_kernelINS1_37wrapped_merge_sort_block_merge_configINS0_14default_configEfN2at4cuda3cub6detail10OpaqueTypeILi8EEEEEPfjNS1_19radix_merge_compareILb1ELb0EfNS0_19identity_decomposerEEEEEvT0_T1_jPSH_T2_SH_.has_dyn_sized_stack, 0
	.set _ZN7rocprim17ROCPRIM_304000_NS6detail45device_block_merge_mergepath_partition_kernelINS1_37wrapped_merge_sort_block_merge_configINS0_14default_configEfN2at4cuda3cub6detail10OpaqueTypeILi8EEEEEPfjNS1_19radix_merge_compareILb1ELb0EfNS0_19identity_decomposerEEEEEvT0_T1_jPSH_T2_SH_.has_recursion, 0
	.set _ZN7rocprim17ROCPRIM_304000_NS6detail45device_block_merge_mergepath_partition_kernelINS1_37wrapped_merge_sort_block_merge_configINS0_14default_configEfN2at4cuda3cub6detail10OpaqueTypeILi8EEEEEPfjNS1_19radix_merge_compareILb1ELb0EfNS0_19identity_decomposerEEEEEvT0_T1_jPSH_T2_SH_.has_indirect_call, 0
	.section	.AMDGPU.csdata,"",@progbits
; Kernel info:
; codeLenInByte = 388
; TotalNumSgprs: 14
; NumVgprs: 17
; NumAgprs: 0
; TotalNumVgprs: 17
; ScratchSize: 0
; MemoryBound: 0
; FloatMode: 240
; IeeeMode: 1
; LDSByteSize: 0 bytes/workgroup (compile time only)
; SGPRBlocks: 1
; VGPRBlocks: 2
; NumSGPRsForWavesPerEU: 14
; NumVGPRsForWavesPerEU: 17
; AccumOffset: 20
; Occupancy: 8
; WaveLimiterHint : 0
; COMPUTE_PGM_RSRC2:SCRATCH_EN: 0
; COMPUTE_PGM_RSRC2:USER_SGPR: 2
; COMPUTE_PGM_RSRC2:TRAP_HANDLER: 0
; COMPUTE_PGM_RSRC2:TGID_X_EN: 1
; COMPUTE_PGM_RSRC2:TGID_Y_EN: 0
; COMPUTE_PGM_RSRC2:TGID_Z_EN: 0
; COMPUTE_PGM_RSRC2:TIDIG_COMP_CNT: 0
; COMPUTE_PGM_RSRC3_GFX90A:ACCUM_OFFSET: 4
; COMPUTE_PGM_RSRC3_GFX90A:TG_SPLIT: 0
	.section	.text._ZN7rocprim17ROCPRIM_304000_NS6detail35device_block_merge_mergepath_kernelINS1_37wrapped_merge_sort_block_merge_configINS0_14default_configEfN2at4cuda3cub6detail10OpaqueTypeILi8EEEEEPfSC_PSA_SD_jNS1_19radix_merge_compareILb1ELb0EfNS0_19identity_decomposerEEEEEvT0_T1_T2_T3_T4_SL_jT5_PKSL_NS1_7vsmem_tE,"axG",@progbits,_ZN7rocprim17ROCPRIM_304000_NS6detail35device_block_merge_mergepath_kernelINS1_37wrapped_merge_sort_block_merge_configINS0_14default_configEfN2at4cuda3cub6detail10OpaqueTypeILi8EEEEEPfSC_PSA_SD_jNS1_19radix_merge_compareILb1ELb0EfNS0_19identity_decomposerEEEEEvT0_T1_T2_T3_T4_SL_jT5_PKSL_NS1_7vsmem_tE,comdat
	.protected	_ZN7rocprim17ROCPRIM_304000_NS6detail35device_block_merge_mergepath_kernelINS1_37wrapped_merge_sort_block_merge_configINS0_14default_configEfN2at4cuda3cub6detail10OpaqueTypeILi8EEEEEPfSC_PSA_SD_jNS1_19radix_merge_compareILb1ELb0EfNS0_19identity_decomposerEEEEEvT0_T1_T2_T3_T4_SL_jT5_PKSL_NS1_7vsmem_tE ; -- Begin function _ZN7rocprim17ROCPRIM_304000_NS6detail35device_block_merge_mergepath_kernelINS1_37wrapped_merge_sort_block_merge_configINS0_14default_configEfN2at4cuda3cub6detail10OpaqueTypeILi8EEEEEPfSC_PSA_SD_jNS1_19radix_merge_compareILb1ELb0EfNS0_19identity_decomposerEEEEEvT0_T1_T2_T3_T4_SL_jT5_PKSL_NS1_7vsmem_tE
	.globl	_ZN7rocprim17ROCPRIM_304000_NS6detail35device_block_merge_mergepath_kernelINS1_37wrapped_merge_sort_block_merge_configINS0_14default_configEfN2at4cuda3cub6detail10OpaqueTypeILi8EEEEEPfSC_PSA_SD_jNS1_19radix_merge_compareILb1ELb0EfNS0_19identity_decomposerEEEEEvT0_T1_T2_T3_T4_SL_jT5_PKSL_NS1_7vsmem_tE
	.p2align	8
	.type	_ZN7rocprim17ROCPRIM_304000_NS6detail35device_block_merge_mergepath_kernelINS1_37wrapped_merge_sort_block_merge_configINS0_14default_configEfN2at4cuda3cub6detail10OpaqueTypeILi8EEEEEPfSC_PSA_SD_jNS1_19radix_merge_compareILb1ELb0EfNS0_19identity_decomposerEEEEEvT0_T1_T2_T3_T4_SL_jT5_PKSL_NS1_7vsmem_tE,@function
_ZN7rocprim17ROCPRIM_304000_NS6detail35device_block_merge_mergepath_kernelINS1_37wrapped_merge_sort_block_merge_configINS0_14default_configEfN2at4cuda3cub6detail10OpaqueTypeILi8EEEEEPfSC_PSA_SD_jNS1_19radix_merge_compareILb1ELb0EfNS0_19identity_decomposerEEEEEvT0_T1_T2_T3_T4_SL_jT5_PKSL_NS1_7vsmem_tE: ; @_ZN7rocprim17ROCPRIM_304000_NS6detail35device_block_merge_mergepath_kernelINS1_37wrapped_merge_sort_block_merge_configINS0_14default_configEfN2at4cuda3cub6detail10OpaqueTypeILi8EEEEEPfSC_PSA_SD_jNS1_19radix_merge_compareILb1ELb0EfNS0_19identity_decomposerEEEEEvT0_T1_T2_T3_T4_SL_jT5_PKSL_NS1_7vsmem_tE
; %bb.0:
	s_load_dwordx2 s[26:27], s[0:1], 0x40
	s_load_dwordx4 s[12:15], s[0:1], 0x20
	s_add_u32 s24, s0, 64
	s_addc_u32 s25, s1, 0
	s_waitcnt lgkmcnt(0)
	s_mul_i32 s4, s27, s4
	s_add_i32 s3, s4, s3
	s_mul_i32 s3, s3, s26
	s_add_i32 s22, s3, s2
	s_cmp_ge_u32 s22, s14
	s_cbranch_scc1 .LBB125_135
; %bb.1:
	s_load_dwordx8 s[4:11], s[0:1], 0x0
	s_load_dwordx2 s[14:15], s[0:1], 0x30
	s_lshr_b32 s27, s12, 10
	s_cmp_lg_u32 s22, s27
	s_mov_b32 s23, 0
	s_cselect_b64 s[16:17], -1, 0
	s_lshl_b64 s[0:1], s[22:23], 2
	s_waitcnt lgkmcnt(0)
	s_add_u32 s0, s14, s0
	s_addc_u32 s1, s15, s1
	s_load_dwordx2 s[18:19], s[0:1], 0x0
	s_lshr_b32 s0, s13, 9
	s_and_b32 s0, s0, 0x7ffffe
	s_sub_i32 s0, 0, s0
	s_and_b32 s1, s22, s0
	s_lshl_b32 s3, s1, 10
	s_lshl_b32 s14, s22, 10
	;; [unrolled: 1-line block ×3, first 2 shown]
	s_sub_i32 s15, s14, s3
	s_add_i32 s1, s1, s13
	s_add_i32 s15, s1, s15
	s_waitcnt lgkmcnt(0)
	s_sub_i32 s20, s15, s18
	s_sub_i32 s15, s15, s19
	;; [unrolled: 1-line block ×3, first 2 shown]
	s_min_u32 s20, s12, s20
	s_addk_i32 s15, 0x400
	s_or_b32 s0, s22, s0
	s_min_u32 s3, s12, s1
	s_add_i32 s1, s1, s13
	s_cmp_eq_u32 s0, -1
	s_cselect_b32 s0, s1, s15
	s_cselect_b32 s1, s3, s19
	s_min_u32 s0, s0, s12
	s_mov_b32 s19, s23
	s_sub_i32 s15, s1, s18
	s_sub_i32 s33, s0, s20
	s_lshl_b64 s[0:1], s[18:19], 2
	s_add_u32 s0, s4, s0
	s_mov_b32 s21, s23
	s_addc_u32 s1, s5, s1
	s_lshl_b64 s[28:29], s[20:21], 2
	s_add_u32 s4, s4, s28
	s_addc_u32 s5, s5, s29
	s_cmp_lt_u32 s2, s26
	v_mov_b32_e32 v11, 0
	s_cselect_b32 s2, 12, 18
	global_load_dword v1, v11, s[24:25] offset:14
	s_add_u32 s2, s24, s2
	s_addc_u32 s3, s25, 0
	global_load_ushort v2, v11, s[2:3]
	v_cmp_gt_u32_e32 vcc, s15, v0
	s_cmp_eq_u32 s22, s27
	v_lshlrev_b32_e32 v10, 2, v0
	s_waitcnt vmcnt(1)
	v_lshrrev_b32_e32 v3, 16, v1
	v_and_b32_e32 v1, 0xffff, v1
	v_mul_lo_u32 v1, v1, v3
	s_waitcnt vmcnt(0)
	v_mul_lo_u32 v1, v1, v2
	v_add_u32_e32 v12, v1, v0
	s_cbranch_scc1 .LBB125_3
; %bb.2:
	v_subrev_u32_e32 v4, s15, v0
	v_lshlrev_b32_e32 v4, 2, v4
	v_mov_b32_e32 v5, v11
	v_lshl_add_u64 v[2:3], s[0:1], 0, v[10:11]
	v_lshl_add_u64 v[4:5], s[4:5], 0, v[4:5]
	v_cndmask_b32_e32 v3, v5, v3, vcc
	v_cndmask_b32_e32 v2, v4, v2, vcc
	v_mov_b32_e32 v13, v11
	v_subrev_co_u32_e32 v6, vcc, s15, v12
	v_mov_b32_e32 v7, v11
	v_lshl_add_u64 v[4:5], v[12:13], 2, s[0:1]
	v_lshl_add_u64 v[6:7], v[6:7], 2, s[4:5]
	v_cndmask_b32_e32 v4, v6, v4, vcc
	v_add_u32_e32 v6, v12, v1
	v_cndmask_b32_e32 v5, v7, v5, vcc
	v_mov_b32_e32 v7, v11
	v_subrev_co_u32_e32 v8, vcc, s15, v6
	v_mov_b32_e32 v9, v11
	global_load_dword v2, v[2:3], off
	v_lshl_add_u64 v[8:9], v[8:9], 2, s[4:5]
	global_load_dword v3, v[4:5], off
	v_lshl_add_u64 v[4:5], v[6:7], 2, s[0:1]
	v_add_u32_e32 v6, v6, v1
	v_cndmask_b32_e32 v5, v9, v5, vcc
	v_cndmask_b32_e32 v4, v8, v4, vcc
	v_subrev_co_u32_e32 v14, vcc, s15, v6
	v_mov_b32_e32 v15, v11
	v_lshl_add_u64 v[8:9], v[6:7], 2, s[0:1]
	v_lshl_add_u64 v[14:15], v[14:15], 2, s[4:5]
	v_cndmask_b32_e32 v9, v15, v9, vcc
	v_cndmask_b32_e32 v8, v14, v8, vcc
	global_load_dword v4, v[4:5], off
	v_mov_b32_e32 v15, v11
	global_load_dword v5, v[8:9], off
	v_add_u32_e32 v8, v6, v1
	v_mov_b32_e32 v9, v11
	v_subrev_co_u32_e32 v14, vcc, s15, v8
	v_lshl_add_u64 v[6:7], v[8:9], 2, s[0:1]
	v_lshl_add_u64 v[14:15], v[14:15], 2, s[4:5]
	v_add_u32_e32 v8, v8, v1
	v_cndmask_b32_e32 v7, v15, v7, vcc
	v_cndmask_b32_e32 v6, v14, v6, vcc
	v_subrev_co_u32_e32 v16, vcc, s15, v8
	v_mov_b32_e32 v17, v11
	v_lshl_add_u64 v[14:15], v[8:9], 2, s[0:1]
	v_lshl_add_u64 v[16:17], v[16:17], 2, s[4:5]
	v_cndmask_b32_e32 v15, v17, v15, vcc
	v_cndmask_b32_e32 v14, v16, v14, vcc
	global_load_dword v6, v[6:7], off
	v_mov_b32_e32 v17, v11
	global_load_dword v7, v[14:15], off
	v_add_u32_e32 v14, v8, v1
	v_mov_b32_e32 v15, v11
	v_subrev_co_u32_e32 v16, vcc, s15, v14
	v_lshl_add_u64 v[8:9], v[14:15], 2, s[0:1]
	v_lshl_add_u64 v[16:17], v[16:17], 2, s[4:5]
	v_add_u32_e32 v14, v14, v1
	v_cndmask_b32_e32 v9, v17, v9, vcc
	v_cndmask_b32_e32 v8, v16, v8, vcc
	v_lshl_add_u64 v[16:17], v[14:15], 2, s[0:1]
	v_subrev_co_u32_e32 v14, vcc, s15, v14
	v_lshl_add_u64 v[14:15], v[14:15], 2, s[4:5]
	s_nop 0
	v_cndmask_b32_e32 v15, v15, v17, vcc
	v_cndmask_b32_e32 v14, v14, v16, vcc
	global_load_dword v8, v[8:9], off
	s_add_i32 s13, s33, s15
	global_load_dword v9, v[14:15], off
	s_cbranch_execz .LBB125_4
	s_branch .LBB125_21
.LBB125_3:
                                        ; implicit-def: $vgpr2_vgpr3_vgpr4_vgpr5_vgpr6_vgpr7_vgpr8_vgpr9
                                        ; implicit-def: $sgpr13
.LBB125_4:
	s_add_i32 s13, s33, s15
	s_waitcnt vmcnt(7)
	v_mov_b32_e32 v2, 0
	v_cmp_gt_u32_e32 vcc, s13, v0
	s_waitcnt vmcnt(6)
	v_mov_b32_e32 v3, v2
	s_waitcnt vmcnt(5)
	v_mov_b32_e32 v4, v2
	;; [unrolled: 2-line block ×7, first 2 shown]
	s_and_saveexec_b64 s[2:3], vcc
	s_cbranch_execz .LBB125_6
; %bb.5:
	v_subrev_u32_e32 v3, s15, v0
	v_mov_b32_e32 v11, v2
	v_lshlrev_b32_e32 v6, 2, v3
	v_mov_b32_e32 v7, v2
	v_lshl_add_u64 v[4:5], s[0:1], 0, v[10:11]
	v_lshl_add_u64 v[6:7], s[4:5], 0, v[6:7]
	v_cmp_gt_u32_e32 vcc, s15, v0
	v_mov_b32_e32 v15, v2
	v_mov_b32_e32 v16, v2
	v_cndmask_b32_e32 v5, v7, v5, vcc
	v_cndmask_b32_e32 v4, v6, v4, vcc
	global_load_dword v14, v[4:5], off
	v_mov_b32_e32 v17, v2
	v_mov_b32_e32 v18, v2
	;; [unrolled: 1-line block ×5, first 2 shown]
	s_waitcnt vmcnt(0)
	v_mov_b64_e32 v[2:3], v[14:15]
	v_mov_b64_e32 v[4:5], v[16:17]
	v_mov_b64_e32 v[6:7], v[18:19]
	v_mov_b64_e32 v[8:9], v[20:21]
.LBB125_6:
	s_or_b64 exec, exec, s[2:3]
	v_cmp_gt_u32_e32 vcc, s13, v12
	s_and_saveexec_b64 s[2:3], vcc
	s_cbranch_execz .LBB125_8
; %bb.7:
	v_mov_b32_e32 v13, 0
	v_subrev_co_u32_e32 v16, vcc, s15, v12
	v_mov_b32_e32 v17, v13
	v_lshl_add_u64 v[14:15], v[12:13], 2, s[0:1]
	v_lshl_add_u64 v[16:17], v[16:17], 2, s[4:5]
	v_cndmask_b32_e32 v15, v17, v15, vcc
	v_cndmask_b32_e32 v14, v16, v14, vcc
	global_load_dword v3, v[14:15], off
.LBB125_8:
	s_or_b64 exec, exec, s[2:3]
	v_add_u32_e32 v12, v12, v1
	v_cmp_gt_u32_e32 vcc, s13, v12
	s_and_saveexec_b64 s[2:3], vcc
	s_cbranch_execz .LBB125_10
; %bb.9:
	v_mov_b32_e32 v13, 0
	v_subrev_co_u32_e32 v16, vcc, s15, v12
	v_mov_b32_e32 v17, v13
	v_lshl_add_u64 v[14:15], v[12:13], 2, s[0:1]
	v_lshl_add_u64 v[16:17], v[16:17], 2, s[4:5]
	v_cndmask_b32_e32 v15, v17, v15, vcc
	v_cndmask_b32_e32 v14, v16, v14, vcc
	global_load_dword v4, v[14:15], off
.LBB125_10:
	s_or_b64 exec, exec, s[2:3]
	v_add_u32_e32 v12, v12, v1
	;; [unrolled: 15-line block ×6, first 2 shown]
	v_cmp_gt_u32_e32 vcc, s13, v12
	s_and_saveexec_b64 s[2:3], vcc
	s_cbranch_execz .LBB125_20
; %bb.19:
	v_mov_b32_e32 v13, 0
	v_lshl_add_u64 v[14:15], v[12:13], 2, s[0:1]
	v_subrev_co_u32_e32 v12, vcc, s15, v12
	v_lshl_add_u64 v[12:13], v[12:13], 2, s[4:5]
	s_nop 0
	v_cndmask_b32_e32 v13, v13, v15, vcc
	v_cndmask_b32_e32 v12, v12, v14, vcc
	global_load_dword v9, v[12:13], off
.LBB125_20:
	s_or_b64 exec, exec, s[2:3]
.LBB125_21:
	v_lshlrev_b32_e32 v12, 3, v0
	v_min_u32_e32 v1, s13, v12
	v_sub_u32_e64 v13, v1, s33 clamp
	v_min_u32_e32 v11, s15, v1
	v_cmp_lt_u32_e32 vcc, v13, v11
	s_waitcnt vmcnt(0)
	ds_write2st64_b32 v10, v2, v3 offset1:2
	ds_write2st64_b32 v10, v4, v5 offset0:4 offset1:6
	ds_write2st64_b32 v10, v6, v7 offset0:8 offset1:10
	;; [unrolled: 1-line block ×3, first 2 shown]
	s_waitcnt lgkmcnt(0)
	s_barrier
	s_and_saveexec_b64 s[0:1], vcc
	s_cbranch_execz .LBB125_25
; %bb.22:
	v_lshlrev_b32_e32 v14, 2, v1
	v_lshl_add_u32 v14, s15, 2, v14
	s_mov_b64 s[2:3], 0
	s_brev_b32 s4, 1
	v_bfrev_b32_e32 v15, 1
.LBB125_23:                             ; =>This Inner Loop Header: Depth=1
	v_add_u32_e32 v16, v11, v13
	v_lshrrev_b32_e32 v16, 1, v16
	v_not_b32_e32 v17, v16
	v_lshlrev_b32_e32 v18, 2, v16
	ds_read_b32 v18, v18
	v_lshl_add_u32 v17, v17, 2, v14
	ds_read_b32 v17, v17
	v_add_u32_e32 v19, 1, v16
	s_waitcnt lgkmcnt(1)
	v_cmp_ne_u32_e32 vcc, s4, v18
	s_nop 1
	v_cndmask_b32_e32 v18, 0, v18, vcc
	s_waitcnt lgkmcnt(0)
	v_cmp_ne_u32_e32 vcc, s4, v17
	s_nop 1
	v_cndmask_b32_e32 v17, 0, v17, vcc
	v_cmp_lt_i32_e32 vcc, -1, v18
	s_nop 1
	v_cndmask_b32_e32 v20, -1, v15, vcc
	v_cmp_lt_i32_e32 vcc, -1, v17
	v_xor_b32_e32 v18, v20, v18
	s_nop 0
	v_cndmask_b32_e32 v21, -1, v15, vcc
	v_xor_b32_e32 v17, v21, v17
	v_cmp_gt_u32_e32 vcc, v17, v18
	s_nop 1
	v_cndmask_b32_e32 v11, v11, v16, vcc
	v_cndmask_b32_e32 v13, v19, v13, vcc
	v_cmp_ge_u32_e32 vcc, v13, v11
	s_or_b64 s[2:3], vcc, s[2:3]
	s_andn2_b64 exec, exec, s[2:3]
	s_cbranch_execnz .LBB125_23
; %bb.24:
	s_or_b64 exec, exec, s[2:3]
.LBB125_25:
	s_or_b64 exec, exec, s[0:1]
	v_sub_u32_e32 v1, v1, v13
	v_add_u32_e32 v14, s15, v1
	v_cmp_ge_u32_e32 vcc, s15, v13
	v_cmp_ge_u32_e64 s[0:1], s13, v14
	s_or_b64 s[0:1], vcc, s[0:1]
	v_mov_b32_e32 v23, 0
	v_mov_b32_e32 v22, 0
	;; [unrolled: 1-line block ×8, first 2 shown]
	s_and_saveexec_b64 s[2:3], s[0:1]
	s_cbranch_execz .LBB125_61
; %bb.26:
	v_cmp_le_u32_e32 vcc, s15, v13
	v_cmp_gt_u32_e64 s[0:1], s15, v13
                                        ; implicit-def: $vgpr2
	s_and_saveexec_b64 s[4:5], s[0:1]
; %bb.27:
	v_lshlrev_b32_e32 v1, 2, v13
	ds_read_b32 v2, v1
; %bb.28:
	s_or_b64 exec, exec, s[4:5]
	v_cmp_le_u32_e64 s[4:5], s13, v14
	v_cmp_gt_u32_e64 s[0:1], s13, v14
                                        ; implicit-def: $vgpr3
	s_and_saveexec_b64 s[22:23], s[0:1]
; %bb.29:
	v_lshlrev_b32_e32 v1, 2, v14
	ds_read_b32 v3, v1
; %bb.30:
	s_or_b64 exec, exec, s[22:23]
	s_nor_b64 s[22:23], vcc, s[4:5]
	s_and_saveexec_b64 s[0:1], s[22:23]
	s_cbranch_execz .LBB125_32
; %bb.31:
	s_brev_b32 s22, 1
	s_waitcnt lgkmcnt(0)
	v_cmp_ne_u32_e32 vcc, s22, v2
	v_bfrev_b32_e32 v5, 1
	s_andn2_b64 s[4:5], s[4:5], exec
	v_cndmask_b32_e32 v1, 0, v2, vcc
	v_cmp_ne_u32_e32 vcc, s22, v3
	s_nop 1
	v_cndmask_b32_e32 v4, 0, v3, vcc
	v_cmp_lt_i32_e32 vcc, -1, v1
	s_nop 1
	v_cndmask_b32_e32 v6, -1, v5, vcc
	v_cmp_lt_i32_e32 vcc, -1, v4
	v_xor_b32_e32 v1, v6, v1
	s_nop 0
	v_cndmask_b32_e32 v5, -1, v5, vcc
	v_xor_b32_e32 v4, v5, v4
	v_cmp_le_u32_e32 vcc, v4, v1
	s_and_b64 s[22:23], vcc, exec
	s_or_b64 s[4:5], s[4:5], s[22:23]
.LBB125_32:
	s_or_b64 exec, exec, s[0:1]
	v_mov_b32_e32 v4, s13
	v_mov_b32_e32 v5, s15
	v_cndmask_b32_e64 v1, v14, v13, s[4:5]
	v_cndmask_b32_e64 v4, v4, v5, s[4:5]
	v_add_u32_e32 v6, 1, v1
	v_add_u32_e32 v4, -1, v4
	v_min_u32_e32 v4, v6, v4
	v_lshlrev_b32_e32 v4, 2, v4
	ds_read_b32 v5, v4
	v_cndmask_b32_e64 v8, v6, v14, s[4:5]
	v_cndmask_b32_e64 v9, v13, v6, s[4:5]
	v_cmp_gt_u32_e32 vcc, s13, v8
	s_mov_b64 s[0:1], -1
	s_waitcnt lgkmcnt(0)
	v_cndmask_b32_e64 v4, v5, v3, s[4:5]
	v_cndmask_b32_e64 v5, v2, v5, s[4:5]
	s_mov_b64 s[22:23], -1
	s_and_saveexec_b64 s[24:25], vcc
	s_cbranch_execz .LBB125_36
; %bb.33:
	v_cmp_gt_u32_e32 vcc, s15, v9
	s_mov_b64 s[26:27], 0
	s_and_saveexec_b64 s[22:23], vcc
	s_cbranch_execz .LBB125_35
; %bb.34:
	s_brev_b32 s26, 1
	v_cmp_ne_u32_e32 vcc, s26, v4
	v_bfrev_b32_e32 v11, 1
	s_nop 0
	v_cndmask_b32_e32 v6, 0, v4, vcc
	v_cmp_ne_u32_e32 vcc, s26, v5
	s_nop 1
	v_cndmask_b32_e32 v7, 0, v5, vcc
	v_cmp_lt_i32_e32 vcc, -1, v6
	s_nop 1
	v_cndmask_b32_e32 v13, -1, v11, vcc
	v_cmp_lt_i32_e32 vcc, -1, v7
	v_xor_b32_e32 v6, v13, v6
	s_nop 0
	v_cndmask_b32_e32 v11, -1, v11, vcc
	v_xor_b32_e32 v7, v11, v7
	v_cmp_le_u32_e32 vcc, v6, v7
	s_and_b64 s[26:27], vcc, exec
.LBB125_35:
	s_or_b64 exec, exec, s[22:23]
	s_orn2_b64 s[22:23], s[26:27], exec
.LBB125_36:
	s_or_b64 exec, exec, s[24:25]
	v_mov_b32_e32 v6, s13
	v_mov_b32_e32 v7, s15
	v_cndmask_b32_e64 v11, v8, v9, s[22:23]
	v_cndmask_b32_e64 v6, v6, v7, s[22:23]
	v_add_u32_e32 v14, 1, v11
	v_add_u32_e32 v6, -1, v6
	v_min_u32_e32 v6, v14, v6
	v_lshlrev_b32_e32 v6, 2, v6
	ds_read_b32 v7, v6
	v_cndmask_b32_e64 v13, v14, v8, s[22:23]
	v_cndmask_b32_e64 v14, v9, v14, s[22:23]
	v_cmp_gt_u32_e32 vcc, s13, v13
	s_waitcnt lgkmcnt(0)
	v_cndmask_b32_e64 v6, v7, v4, s[22:23]
	v_cndmask_b32_e64 v7, v5, v7, s[22:23]
	s_and_saveexec_b64 s[24:25], vcc
	s_cbranch_execz .LBB125_40
; %bb.37:
	v_cmp_gt_u32_e32 vcc, s15, v14
	s_mov_b64 s[26:27], 0
	s_and_saveexec_b64 s[0:1], vcc
	s_cbranch_execz .LBB125_39
; %bb.38:
	s_brev_b32 s26, 1
	v_cmp_ne_u32_e32 vcc, s26, v6
	v_bfrev_b32_e32 v15, 1
	s_nop 0
	v_cndmask_b32_e32 v8, 0, v6, vcc
	v_cmp_ne_u32_e32 vcc, s26, v7
	s_nop 1
	v_cndmask_b32_e32 v9, 0, v7, vcc
	v_cmp_lt_i32_e32 vcc, -1, v8
	s_nop 1
	v_cndmask_b32_e32 v16, -1, v15, vcc
	v_cmp_lt_i32_e32 vcc, -1, v9
	v_xor_b32_e32 v8, v16, v8
	s_nop 0
	v_cndmask_b32_e32 v15, -1, v15, vcc
	v_xor_b32_e32 v9, v15, v9
	v_cmp_le_u32_e32 vcc, v8, v9
	s_and_b64 s[26:27], vcc, exec
.LBB125_39:
	s_or_b64 exec, exec, s[0:1]
	s_orn2_b64 s[0:1], s[26:27], exec
.LBB125_40:
	s_or_b64 exec, exec, s[24:25]
	v_mov_b32_e32 v8, s13
	v_mov_b32_e32 v9, s15
	v_cndmask_b32_e64 v18, v13, v14, s[0:1]
	v_cndmask_b32_e64 v8, v8, v9, s[0:1]
	v_add_u32_e32 v16, 1, v18
	v_add_u32_e32 v8, -1, v8
	v_min_u32_e32 v8, v16, v8
	v_lshlrev_b32_e32 v8, 2, v8
	ds_read_b32 v9, v8
	v_cndmask_b32_e64 v15, v16, v13, s[0:1]
	v_cndmask_b32_e64 v16, v14, v16, s[0:1]
	v_cmp_gt_u32_e32 vcc, s13, v15
	s_mov_b64 s[24:25], -1
	s_waitcnt lgkmcnt(0)
	v_cndmask_b32_e64 v8, v9, v6, s[0:1]
	v_cndmask_b32_e64 v9, v7, v9, s[0:1]
	s_mov_b64 s[26:27], -1
	s_and_saveexec_b64 s[28:29], vcc
	s_cbranch_execz .LBB125_44
; %bb.41:
	v_cmp_gt_u32_e32 vcc, s15, v16
	s_mov_b64 s[30:31], 0
	s_and_saveexec_b64 s[26:27], vcc
	s_cbranch_execz .LBB125_43
; %bb.42:
	s_brev_b32 s30, 1
	v_cmp_ne_u32_e32 vcc, s30, v8
	v_bfrev_b32_e32 v17, 1
	s_nop 0
	v_cndmask_b32_e32 v13, 0, v8, vcc
	v_cmp_ne_u32_e32 vcc, s30, v9
	s_nop 1
	v_cndmask_b32_e32 v14, 0, v9, vcc
	v_cmp_lt_i32_e32 vcc, -1, v13
	s_nop 1
	v_cndmask_b32_e32 v19, -1, v17, vcc
	v_cmp_lt_i32_e32 vcc, -1, v14
	v_xor_b32_e32 v13, v19, v13
	s_nop 0
	v_cndmask_b32_e32 v17, -1, v17, vcc
	v_xor_b32_e32 v14, v17, v14
	v_cmp_le_u32_e32 vcc, v13, v14
	s_and_b64 s[30:31], vcc, exec
.LBB125_43:
	s_or_b64 exec, exec, s[26:27]
	s_orn2_b64 s[26:27], s[30:31], exec
.LBB125_44:
	s_or_b64 exec, exec, s[28:29]
	v_mov_b32_e32 v13, s13
	v_mov_b32_e32 v14, s15
	v_cndmask_b32_e64 v19, v15, v16, s[26:27]
	v_cndmask_b32_e64 v13, v13, v14, s[26:27]
	v_add_u32_e32 v20, 1, v19
	v_add_u32_e32 v13, -1, v13
	v_min_u32_e32 v13, v20, v13
	v_lshlrev_b32_e32 v13, 2, v13
	ds_read_b32 v14, v13
	v_cndmask_b32_e64 v17, v20, v15, s[26:27]
	v_cndmask_b32_e64 v21, v16, v20, s[26:27]
	v_cmp_gt_u32_e32 vcc, s13, v17
	s_waitcnt lgkmcnt(0)
	v_cndmask_b32_e64 v13, v14, v8, s[26:27]
	v_cndmask_b32_e64 v14, v9, v14, s[26:27]
	s_and_saveexec_b64 s[28:29], vcc
	s_cbranch_execz .LBB125_48
; %bb.45:
	v_cmp_gt_u32_e32 vcc, s15, v21
	s_mov_b64 s[30:31], 0
	s_and_saveexec_b64 s[24:25], vcc
	s_cbranch_execz .LBB125_47
; %bb.46:
	s_brev_b32 s30, 1
	v_cmp_ne_u32_e32 vcc, s30, v13
	v_bfrev_b32_e32 v20, 1
	s_nop 0
	v_cndmask_b32_e32 v15, 0, v13, vcc
	v_cmp_ne_u32_e32 vcc, s30, v14
	s_nop 1
	v_cndmask_b32_e32 v16, 0, v14, vcc
	v_cmp_lt_i32_e32 vcc, -1, v15
	s_nop 1
	v_cndmask_b32_e32 v22, -1, v20, vcc
	v_cmp_lt_i32_e32 vcc, -1, v16
	v_xor_b32_e32 v15, v22, v15
	s_nop 0
	v_cndmask_b32_e32 v20, -1, v20, vcc
	v_xor_b32_e32 v16, v20, v16
	v_cmp_le_u32_e32 vcc, v15, v16
	s_and_b64 s[30:31], vcc, exec
.LBB125_47:
	s_or_b64 exec, exec, s[24:25]
	s_orn2_b64 s[24:25], s[30:31], exec
.LBB125_48:
	s_or_b64 exec, exec, s[28:29]
	v_mov_b32_e32 v15, s13
	v_mov_b32_e32 v16, s15
	v_cndmask_b32_e64 v20, v17, v21, s[24:25]
	v_cndmask_b32_e64 v15, v15, v16, s[24:25]
	v_add_u32_e32 v23, 1, v20
	v_add_u32_e32 v15, -1, v15
	v_min_u32_e32 v15, v23, v15
	v_lshlrev_b32_e32 v15, 2, v15
	ds_read_b32 v16, v15
	v_cndmask_b32_e64 v22, v23, v17, s[24:25]
	v_cndmask_b32_e64 v24, v21, v23, s[24:25]
	v_cmp_gt_u32_e32 vcc, s13, v22
	s_mov_b64 s[28:29], -1
	s_waitcnt lgkmcnt(0)
	v_cndmask_b32_e64 v15, v16, v13, s[24:25]
	v_cndmask_b32_e64 v16, v14, v16, s[24:25]
	s_mov_b64 s[30:31], -1
	s_and_saveexec_b64 s[34:35], vcc
	s_cbranch_execz .LBB125_52
; %bb.49:
	v_cmp_gt_u32_e32 vcc, s15, v24
	s_mov_b64 s[36:37], 0
	s_and_saveexec_b64 s[30:31], vcc
	s_cbranch_execz .LBB125_51
; %bb.50:
	s_brev_b32 s36, 1
	v_cmp_ne_u32_e32 vcc, s36, v15
	v_bfrev_b32_e32 v23, 1
	s_nop 0
	v_cndmask_b32_e32 v17, 0, v15, vcc
	v_cmp_ne_u32_e32 vcc, s36, v16
	s_nop 1
	v_cndmask_b32_e32 v21, 0, v16, vcc
	v_cmp_lt_i32_e32 vcc, -1, v17
	s_nop 1
	v_cndmask_b32_e32 v25, -1, v23, vcc
	v_cmp_lt_i32_e32 vcc, -1, v21
	v_xor_b32_e32 v17, v25, v17
	s_nop 0
	v_cndmask_b32_e32 v23, -1, v23, vcc
	v_xor_b32_e32 v21, v23, v21
	v_cmp_le_u32_e32 vcc, v17, v21
	s_and_b64 s[36:37], vcc, exec
.LBB125_51:
	s_or_b64 exec, exec, s[30:31]
	s_orn2_b64 s[30:31], s[36:37], exec
.LBB125_52:
	s_or_b64 exec, exec, s[34:35]
	v_mov_b32_e32 v17, s13
	v_mov_b32_e32 v23, s15
	v_cndmask_b32_e64 v21, v22, v24, s[30:31]
	v_cndmask_b32_e64 v17, v17, v23, s[30:31]
	v_add_u32_e32 v26, 1, v21
	v_add_u32_e32 v17, -1, v17
	v_min_u32_e32 v17, v26, v17
	v_lshlrev_b32_e32 v17, 2, v17
	ds_read_b32 v23, v17
	v_cndmask_b32_e64 v25, v26, v22, s[30:31]
	v_cndmask_b32_e64 v24, v24, v26, s[30:31]
	v_cmp_gt_u32_e32 vcc, s13, v25
	s_waitcnt lgkmcnt(0)
	v_cndmask_b32_e64 v17, v23, v15, s[30:31]
	v_cndmask_b32_e64 v23, v16, v23, s[30:31]
	s_and_saveexec_b64 s[34:35], vcc
	s_cbranch_execz .LBB125_56
; %bb.53:
	v_cmp_gt_u32_e32 vcc, s15, v24
	s_mov_b64 s[36:37], 0
	s_and_saveexec_b64 s[28:29], vcc
	s_cbranch_execz .LBB125_55
; %bb.54:
	s_brev_b32 s36, 1
	v_cmp_ne_u32_e32 vcc, s36, v17
	v_bfrev_b32_e32 v27, 1
	s_nop 0
	v_cndmask_b32_e32 v22, 0, v17, vcc
	v_cmp_ne_u32_e32 vcc, s36, v23
	s_nop 1
	v_cndmask_b32_e32 v26, 0, v23, vcc
	v_cmp_lt_i32_e32 vcc, -1, v22
	s_nop 1
	v_cndmask_b32_e32 v28, -1, v27, vcc
	v_cmp_lt_i32_e32 vcc, -1, v26
	v_xor_b32_e32 v22, v28, v22
	s_nop 0
	v_cndmask_b32_e32 v27, -1, v27, vcc
	v_xor_b32_e32 v26, v27, v26
	v_cmp_le_u32_e32 vcc, v22, v26
	s_and_b64 s[36:37], vcc, exec
.LBB125_55:
	s_or_b64 exec, exec, s[28:29]
	s_orn2_b64 s[28:29], s[36:37], exec
.LBB125_56:
	s_or_b64 exec, exec, s[34:35]
	v_mov_b32_e32 v26, s13
	v_mov_b32_e32 v27, s15
	v_cndmask_b32_e64 v22, v25, v24, s[28:29]
	v_cndmask_b32_e64 v26, v26, v27, s[28:29]
	v_add_u32_e32 v28, 1, v22
	v_add_u32_e32 v26, -1, v26
	v_min_u32_e32 v26, v28, v26
	v_lshlrev_b32_e32 v26, 2, v26
	ds_read_b32 v27, v26
	v_cndmask_b32_e64 v25, v28, v25, s[28:29]
	v_cndmask_b32_e64 v24, v24, v28, s[28:29]
	v_cmp_gt_u32_e32 vcc, s13, v25
	s_mov_b64 s[36:37], -1
	s_waitcnt lgkmcnt(0)
	v_cndmask_b32_e64 v26, v27, v17, s[28:29]
	v_cndmask_b32_e64 v27, v23, v27, s[28:29]
	s_and_saveexec_b64 s[34:35], vcc
	s_cbranch_execz .LBB125_60
; %bb.57:
	v_cmp_gt_u32_e32 vcc, s15, v24
	s_mov_b64 s[38:39], 0
	s_and_saveexec_b64 s[36:37], vcc
	s_cbranch_execz .LBB125_59
; %bb.58:
	s_brev_b32 s38, 1
	v_cmp_ne_u32_e32 vcc, s38, v26
	v_bfrev_b32_e32 v30, 1
	s_nop 0
	v_cndmask_b32_e32 v28, 0, v26, vcc
	v_cmp_ne_u32_e32 vcc, s38, v27
	s_nop 1
	v_cndmask_b32_e32 v29, 0, v27, vcc
	v_cmp_lt_i32_e32 vcc, -1, v28
	s_nop 1
	v_cndmask_b32_e32 v31, -1, v30, vcc
	v_cmp_lt_i32_e32 vcc, -1, v29
	v_xor_b32_e32 v28, v31, v28
	s_nop 0
	v_cndmask_b32_e32 v30, -1, v30, vcc
	v_xor_b32_e32 v29, v30, v29
	v_cmp_le_u32_e32 vcc, v28, v29
	s_and_b64 s[38:39], vcc, exec
.LBB125_59:
	s_or_b64 exec, exec, s[36:37]
	s_orn2_b64 s[36:37], s[38:39], exec
.LBB125_60:
	s_or_b64 exec, exec, s[34:35]
	v_cndmask_b32_e64 v2, v3, v2, s[4:5]
	v_cndmask_b32_e64 v3, v4, v5, s[22:23]
	;; [unrolled: 1-line block ×9, first 2 shown]
.LBB125_61:
	s_or_b64 exec, exec, s[2:3]
	s_lshl_b64 s[0:1], s[18:19], 3
	s_add_u32 s24, s8, s0
	s_addc_u32 s25, s9, s1
	s_lshl_b64 s[0:1], s[20:21], 3
	s_add_u32 s22, s8, s0
	v_cndmask_b32_e64 v14, 0, 1, s[16:17]
	v_mov_b32_e32 v13, 0
	s_addc_u32 s23, s9, s1
	v_cmp_gt_u32_e64 s[4:5], s15, v0
	v_cmp_ne_u32_e64 s[0:1], 1, v14
	s_andn2_b64 vcc, exec, s[16:17]
	v_cmp_le_u32_e64 s[2:3], s15, v0
	s_barrier
	s_cbranch_vccnz .LBB125_63
; %bb.62:
	v_subrev_u32_e32 v16, s15, v0
	v_lshlrev_b32_e32 v16, 3, v16
	v_mov_b32_e32 v17, v13
	v_lshl_add_u64 v[14:15], s[24:25], 0, v[12:13]
	v_lshl_add_u64 v[16:17], s[22:23], 0, v[16:17]
	v_cndmask_b32_e64 v15, v17, v15, s[4:5]
	v_cndmask_b32_e64 v14, v16, v14, s[4:5]
	global_load_dwordx2 v[24:25], v[14:15], off
	v_or_b32_e32 v14, 0x80, v0
	v_subrev_u32_e32 v15, s15, v14
	v_min_u32_e32 v16, v14, v15
	v_mov_b32_e32 v38, s23
	v_mov_b32_e32 v39, s25
	v_cmp_gt_u32_e32 vcc, s15, v14
	v_mov_b32_e32 v40, s22
	v_mov_b32_e32 v41, s24
	v_cndmask_b32_e32 v15, v38, v39, vcc
	v_cndmask_b32_e32 v14, v40, v41, vcc
	v_lshlrev_b32_e32 v16, 3, v16
	v_mov_b32_e32 v17, v13
	v_lshl_add_u64 v[14:15], v[14:15], 0, v[16:17]
	global_load_dwordx2 v[26:27], v[14:15], off
	v_or_b32_e32 v14, 0x100, v0
	v_subrev_u32_e32 v15, s15, v14
	v_min_u32_e32 v16, v14, v15
	v_cmp_gt_u32_e32 vcc, s15, v14
	v_lshlrev_b32_e32 v16, 3, v16
	v_or_b32_e32 v13, 0x380, v0
	v_cndmask_b32_e32 v15, v38, v39, vcc
	v_cndmask_b32_e32 v14, v40, v41, vcc
	v_lshl_add_u64 v[14:15], v[14:15], 0, v[16:17]
	global_load_dwordx2 v[28:29], v[14:15], off
	v_or_b32_e32 v14, 0x180, v0
	v_subrev_u32_e32 v15, s15, v14
	v_min_u32_e32 v16, v14, v15
	v_cmp_gt_u32_e32 vcc, s15, v14
	v_lshlrev_b32_e32 v16, 3, v16
	s_nop 0
	v_cndmask_b32_e32 v15, v38, v39, vcc
	v_cndmask_b32_e32 v14, v40, v41, vcc
	v_lshl_add_u64 v[14:15], v[14:15], 0, v[16:17]
	global_load_dwordx2 v[30:31], v[14:15], off
	v_or_b32_e32 v14, 0x200, v0
	v_subrev_u32_e32 v15, s15, v14
	v_min_u32_e32 v16, v14, v15
	v_cmp_gt_u32_e32 vcc, s15, v14
	v_lshlrev_b32_e32 v16, 3, v16
	s_mov_b64 s[4:5], -1
	v_cndmask_b32_e32 v15, v38, v39, vcc
	v_cndmask_b32_e32 v14, v40, v41, vcc
	v_lshl_add_u64 v[14:15], v[14:15], 0, v[16:17]
	global_load_dwordx2 v[32:33], v[14:15], off
	v_or_b32_e32 v14, 0x280, v0
	v_subrev_u32_e32 v15, s15, v14
	v_min_u32_e32 v16, v14, v15
	v_cmp_gt_u32_e32 vcc, s15, v14
	v_lshlrev_b32_e32 v16, 3, v16
	s_nop 0
	v_cndmask_b32_e32 v15, v38, v39, vcc
	v_cndmask_b32_e32 v14, v40, v41, vcc
	v_lshl_add_u64 v[14:15], v[14:15], 0, v[16:17]
	global_load_dwordx2 v[34:35], v[14:15], off
	v_or_b32_e32 v14, 0x300, v0
	v_subrev_u32_e32 v15, s15, v14
	v_min_u32_e32 v16, v14, v15
	v_cmp_gt_u32_e32 vcc, s15, v14
	v_lshlrev_b32_e32 v16, 3, v16
	s_nop 0
	v_cndmask_b32_e32 v15, v38, v39, vcc
	v_cndmask_b32_e32 v14, v40, v41, vcc
	v_lshl_add_u64 v[14:15], v[14:15], 0, v[16:17]
	global_load_dwordx2 v[36:37], v[14:15], off
	v_subrev_u32_e32 v14, s15, v13
	v_cmp_gt_u32_e32 vcc, s15, v13
	v_min_u32_e32 v16, v13, v14
	s_waitcnt vmcnt(5)
	ds_write2st64_b64 v12, v[24:25], v[26:27] offset1:2
	s_waitcnt vmcnt(3)
	ds_write2st64_b64 v12, v[28:29], v[30:31] offset0:4 offset1:6
	s_waitcnt vmcnt(1)
	ds_write2st64_b64 v12, v[32:33], v[34:35] offset0:8 offset1:10
	s_waitcnt vmcnt(0)
	ds_write_b64 v12, v[36:37] offset:6144
	v_cndmask_b32_e32 v15, v38, v39, vcc
	v_cndmask_b32_e32 v14, v40, v41, vcc
	s_cbranch_execz .LBB125_64
	s_branch .LBB125_97
.LBB125_63:
	s_mov_b64 s[4:5], 0
                                        ; implicit-def: $vgpr13
                                        ; implicit-def: $vgpr14_vgpr15
                                        ; implicit-def: $vgpr16
.LBB125_64:
	s_and_saveexec_b64 s[4:5], s[2:3]
	s_xor_b64 s[2:3], exec, s[4:5]
	s_cbranch_execz .LBB125_68
; %bb.65:
	v_subrev_u32_e32 v13, s15, v0
	v_cmp_gt_u32_e32 vcc, s33, v13
	s_and_saveexec_b64 s[4:5], vcc
	s_cbranch_execz .LBB125_67
; %bb.66:
	v_lshlrev_b32_e32 v13, 3, v13
	global_load_dwordx2 v[14:15], v13, s[22:23]
	s_waitcnt vmcnt(0)
	ds_write_b64 v12, v[14:15]
.LBB125_67:
	s_or_b64 exec, exec, s[4:5]
.LBB125_68:
	s_or_saveexec_b64 s[2:3], s[2:3]
	v_lshl_add_u32 v13, v0, 2, v10
	s_xor_b64 exec, exec, s[2:3]
	s_cbranch_execz .LBB125_70
; %bb.69:
	global_load_dwordx2 v[14:15], v12, s[24:25]
	s_waitcnt vmcnt(0)
	ds_write_b64 v13, v[14:15]
.LBB125_70:
	s_or_b64 exec, exec, s[2:3]
	v_or_b32_e32 v16, 0x80, v0
	v_cmp_le_u32_e32 vcc, s15, v16
	s_mov_b64 s[2:3], -1
	v_mov_b64_e32 v[14:15], s[18:19]
	s_and_saveexec_b64 s[4:5], vcc
; %bb.71:
	v_subrev_u32_e32 v16, s15, v16
	v_cmp_gt_u32_e32 vcc, s33, v16
	v_mov_b64_e32 v[14:15], s[20:21]
	s_orn2_b64 s[2:3], vcc, exec
; %bb.72:
	s_or_b64 exec, exec, s[4:5]
	s_and_saveexec_b64 s[4:5], s[2:3]
	s_cbranch_execz .LBB125_74
; %bb.73:
	v_lshl_add_u64 v[14:15], v[14:15], 3, s[8:9]
	v_lshlrev_b32_e32 v16, 3, v16
	v_mov_b32_e32 v17, 0
	v_lshl_add_u64 v[14:15], v[14:15], 0, v[16:17]
	global_load_dwordx2 v[14:15], v[14:15], off
	s_waitcnt vmcnt(0)
	ds_write_b64 v13, v[14:15] offset:1024
.LBB125_74:
	s_or_b64 exec, exec, s[4:5]
	v_or_b32_e32 v16, 0x100, v0
	v_cmp_le_u32_e32 vcc, s15, v16
	s_mov_b64 s[2:3], -1
	v_mov_b64_e32 v[14:15], s[18:19]
	s_and_saveexec_b64 s[4:5], vcc
; %bb.75:
	v_subrev_u32_e32 v16, s15, v16
	v_cmp_gt_u32_e32 vcc, s33, v16
	v_mov_b64_e32 v[14:15], s[20:21]
	s_orn2_b64 s[2:3], vcc, exec
; %bb.76:
	s_or_b64 exec, exec, s[4:5]
	s_and_saveexec_b64 s[4:5], s[2:3]
	s_cbranch_execz .LBB125_78
; %bb.77:
	v_lshl_add_u64 v[14:15], v[14:15], 3, s[8:9]
	v_lshlrev_b32_e32 v16, 3, v16
	v_mov_b32_e32 v17, 0
	v_lshl_add_u64 v[14:15], v[14:15], 0, v[16:17]
	global_load_dwordx2 v[14:15], v[14:15], off
	s_waitcnt vmcnt(0)
	ds_write_b64 v13, v[14:15] offset:2048
.LBB125_78:
	;; [unrolled: 24-line block ×6, first 2 shown]
	s_or_b64 exec, exec, s[4:5]
	v_or_b32_e32 v13, 0x380, v0
	v_cmp_le_u32_e32 vcc, s15, v13
	s_mov_b64 s[4:5], -1
	v_mov_b64_e32 v[14:15], s[24:25]
	v_mov_b32_e32 v16, v13
	s_and_saveexec_b64 s[2:3], vcc
; %bb.95:
	v_subrev_u32_e32 v16, s15, v13
	v_cmp_gt_u32_e32 vcc, s33, v16
	v_mov_b64_e32 v[14:15], s[22:23]
	s_orn2_b64 s[4:5], vcc, exec
; %bb.96:
	s_or_b64 exec, exec, s[2:3]
.LBB125_97:
	s_and_saveexec_b64 s[2:3], s[4:5]
	s_cbranch_execz .LBB125_99
; %bb.98:
	v_mov_b32_e32 v17, 0
	v_lshl_add_u64 v[14:15], v[16:17], 3, v[14:15]
	global_load_dwordx2 v[14:15], v[14:15], off
	v_lshlrev_b32_e32 v13, 3, v13
	s_waitcnt vmcnt(0)
	ds_write_b64 v13, v[14:15]
.LBB125_99:
	s_or_b64 exec, exec, s[2:3]
	s_and_b64 vcc, exec, s[0:1]
	v_add_u32_e32 v14, s14, v12
	s_waitcnt lgkmcnt(0)
	s_barrier
	s_cbranch_vccnz .LBB125_101
; %bb.100:
	v_lshlrev_b32_e32 v13, 3, v1
	v_lshlrev_b32_e32 v16, 3, v11
	;; [unrolled: 1-line block ×4, first 2 shown]
	ds_read_b64 v[26:27], v13
	ds_read_b64 v[28:29], v16
	ds_read_b64 v[30:31], v17
	ds_read_b64 v[32:33], v24
	v_lshlrev_b32_e32 v13, 3, v20
	v_lshlrev_b32_e32 v16, 3, v21
	;; [unrolled: 1-line block ×3, first 2 shown]
	ds_read_b64 v[34:35], v13
	ds_read_b64 v[36:37], v16
	;; [unrolled: 1-line block ×3, first 2 shown]
	v_mov_b32_e32 v15, 0
	v_lshl_add_u64 v[24:25], v[14:15], 3, s[10:11]
	s_mov_b64 s[0:1], -1
	s_waitcnt lgkmcnt(5)
	global_store_dwordx4 v[24:25], v[26:29], off
	s_waitcnt lgkmcnt(3)
	global_store_dwordx4 v[24:25], v[30:33], off offset:16
	s_waitcnt lgkmcnt(1)
	global_store_dwordx4 v[24:25], v[34:37], off offset:32
	s_waitcnt lgkmcnt(0)
	global_store_dwordx2 v[24:25], v[16:17], off offset:48
	s_cbranch_execz .LBB125_102
	s_branch .LBB125_119
.LBB125_101:
	s_mov_b64 s[0:1], 0
.LBB125_102:
	v_cmp_gt_u32_e32 vcc, s13, v12
	s_and_saveexec_b64 s[2:3], vcc
	s_cbranch_execz .LBB125_104
; %bb.103:
	v_lshlrev_b32_e32 v1, 3, v1
	ds_read_b64 v[16:17], v1
	v_mov_b32_e32 v15, 0
	v_lshl_add_u64 v[24:25], v[14:15], 3, s[10:11]
	s_waitcnt lgkmcnt(0)
	global_store_dwordx2 v[24:25], v[16:17], off
.LBB125_104:
	s_or_b64 exec, exec, s[2:3]
	v_or_b32_e32 v1, 1, v12
	v_cmp_gt_u32_e32 vcc, s13, v1
	s_and_saveexec_b64 s[2:3], vcc
	s_cbranch_execz .LBB125_106
; %bb.105:
	v_lshlrev_b32_e32 v1, 3, v11
	ds_read_b64 v[16:17], v1
	v_mov_b32_e32 v15, 0
	v_lshl_add_u64 v[24:25], v[14:15], 3, s[10:11]
	s_waitcnt lgkmcnt(0)
	global_store_dwordx2 v[24:25], v[16:17], off offset:8
.LBB125_106:
	s_or_b64 exec, exec, s[2:3]
	v_or_b32_e32 v1, 2, v12
	v_cmp_gt_u32_e32 vcc, s13, v1
	s_and_saveexec_b64 s[2:3], vcc
	s_cbranch_execz .LBB125_108
; %bb.107:
	v_lshlrev_b32_e32 v1, 3, v18
	ds_read_b64 v[16:17], v1
	v_mov_b32_e32 v15, 0
	v_lshl_add_u64 v[24:25], v[14:15], 3, s[10:11]
	s_waitcnt lgkmcnt(0)
	global_store_dwordx2 v[24:25], v[16:17], off offset:16
.LBB125_108:
	;; [unrolled: 13-line block ×6, first 2 shown]
	s_or_b64 exec, exec, s[2:3]
	v_or_b32_e32 v1, 7, v12
	v_cmp_gt_u32_e32 vcc, s13, v1
	s_and_saveexec_b64 s[2:3], vcc
; %bb.117:
	v_mov_b32_e32 v15, 0
	s_or_b64 s[0:1], s[0:1], exec
; %bb.118:
	s_or_b64 exec, exec, s[2:3]
.LBB125_119:
	s_and_saveexec_b64 s[2:3], s[0:1]
	s_cbranch_execz .LBB125_121
; %bb.120:
	v_lshlrev_b32_e32 v1, 3, v23
	ds_read_b64 v[16:17], v1
	v_lshl_add_u64 v[14:15], v[14:15], 3, s[10:11]
	s_waitcnt lgkmcnt(0)
	global_store_dwordx2 v[14:15], v[16:17], off offset:56
.LBB125_121:
	s_or_b64 exec, exec, s[2:3]
	v_and_b32_e32 v1, 0x7c, v0
	v_lshl_add_u32 v1, v12, 2, v1
	s_barrier
	s_barrier
	ds_write2_b32 v1, v2, v3 offset1:1
	ds_write2_b32 v1, v4, v5 offset0:2 offset1:3
	ds_write2_b32 v1, v6, v7 offset0:4 offset1:5
	;; [unrolled: 1-line block ×3, first 2 shown]
	v_lshrrev_b32_e32 v1, 3, v0
	v_and_b32_e32 v1, 12, v1
	v_or_b32_e32 v9, 0x80, v0
	v_add_u32_e32 v12, v1, v10
	v_lshrrev_b32_e32 v1, 3, v9
	v_and_b32_e32 v1, 28, v1
	v_or_b32_e32 v8, 0x100, v0
	v_add_u32_e32 v13, v1, v10
	;; [unrolled: 4-line block ×6, first 2 shown]
	v_lshrrev_b32_e32 v1, 3, v4
	s_mov_b32 s15, 0
	v_and_b32_e32 v1, 0x6c, v1
	s_lshl_b64 s[0:1], s[14:15], 2
	v_add_u32_e32 v18, v1, v10
	v_or_b32_e32 v1, 0x380, v0
	s_add_u32 s0, s6, s0
	v_lshrrev_b32_e32 v2, 3, v1
	s_addc_u32 s1, s7, s1
	v_and_b32_e32 v2, 0x7c, v2
	v_mov_b32_e32 v11, 0
	v_add_u32_e32 v19, v2, v10
	v_lshl_add_u64 v[2:3], s[0:1], 0, v[10:11]
	s_and_b64 vcc, exec, s[16:17]
	s_waitcnt lgkmcnt(0)
	s_cbranch_vccz .LBB125_123
; %bb.122:
	s_barrier
	ds_read_b32 v10, v12
	ds_read_b32 v11, v13 offset:512
	ds_read_b32 v20, v14 offset:1024
	;; [unrolled: 1-line block ×7, first 2 shown]
	s_waitcnt lgkmcnt(7)
	global_store_dword v[2:3], v10, off
	s_waitcnt lgkmcnt(6)
	global_store_dword v[2:3], v11, off offset:512
	s_waitcnt lgkmcnt(5)
	global_store_dword v[2:3], v20, off offset:1024
	;; [unrolled: 2-line block ×6, first 2 shown]
	s_mov_b64 s[0:1], -1
	s_cbranch_execz .LBB125_124
	s_branch .LBB125_133
.LBB125_123:
	s_mov_b64 s[0:1], 0
                                        ; implicit-def: $vgpr22
.LBB125_124:
	s_barrier
	s_waitcnt lgkmcnt(0)
	ds_read_b32 v21, v13 offset:512
	ds_read_b32 v20, v14 offset:1024
	;; [unrolled: 1-line block ×7, first 2 shown]
	s_sub_i32 s2, s12, s14
	v_cmp_gt_u32_e32 vcc, s2, v0
	s_and_saveexec_b64 s[0:1], vcc
	s_cbranch_execnz .LBB125_136
; %bb.125:
	s_or_b64 exec, exec, s[0:1]
	v_cmp_gt_u32_e32 vcc, s2, v9
	s_and_saveexec_b64 s[0:1], vcc
	s_cbranch_execnz .LBB125_137
.LBB125_126:
	s_or_b64 exec, exec, s[0:1]
	v_cmp_gt_u32_e32 vcc, s2, v8
	s_and_saveexec_b64 s[0:1], vcc
	s_cbranch_execnz .LBB125_138
.LBB125_127:
	s_or_b64 exec, exec, s[0:1]
	v_cmp_gt_u32_e32 vcc, s2, v7
	s_and_saveexec_b64 s[0:1], vcc
	s_cbranch_execnz .LBB125_139
.LBB125_128:
	s_or_b64 exec, exec, s[0:1]
	v_cmp_gt_u32_e32 vcc, s2, v6
	s_and_saveexec_b64 s[0:1], vcc
	s_cbranch_execnz .LBB125_140
.LBB125_129:
	s_or_b64 exec, exec, s[0:1]
	v_cmp_gt_u32_e32 vcc, s2, v5
	s_and_saveexec_b64 s[0:1], vcc
	s_cbranch_execnz .LBB125_141
.LBB125_130:
	s_or_b64 exec, exec, s[0:1]
	v_cmp_gt_u32_e32 vcc, s2, v4
	s_and_saveexec_b64 s[0:1], vcc
	s_cbranch_execz .LBB125_132
.LBB125_131:
	s_waitcnt lgkmcnt(1)
	global_store_dword v[2:3], v10, off offset:3072
.LBB125_132:
	s_or_b64 exec, exec, s[0:1]
	v_cmp_gt_u32_e64 s[0:1], s2, v1
.LBB125_133:
	s_and_saveexec_b64 s[2:3], s[0:1]
	s_cbranch_execz .LBB125_135
; %bb.134:
	s_waitcnt lgkmcnt(0)
	global_store_dword v[2:3], v22, off offset:3584
.LBB125_135:
	s_endpgm
.LBB125_136:
	ds_read_b32 v0, v12
	s_waitcnt lgkmcnt(0)
	global_store_dword v[2:3], v0, off
	s_or_b64 exec, exec, s[0:1]
	v_cmp_gt_u32_e32 vcc, s2, v9
	s_and_saveexec_b64 s[0:1], vcc
	s_cbranch_execz .LBB125_126
.LBB125_137:
	s_waitcnt lgkmcnt(6)
	global_store_dword v[2:3], v21, off offset:512
	s_or_b64 exec, exec, s[0:1]
	v_cmp_gt_u32_e32 vcc, s2, v8
	s_and_saveexec_b64 s[0:1], vcc
	s_cbranch_execz .LBB125_127
.LBB125_138:
	s_waitcnt lgkmcnt(5)
	global_store_dword v[2:3], v20, off offset:1024
	s_or_b64 exec, exec, s[0:1]
	v_cmp_gt_u32_e32 vcc, s2, v7
	s_and_saveexec_b64 s[0:1], vcc
	s_cbranch_execz .LBB125_128
.LBB125_139:
	s_waitcnt lgkmcnt(4)
	global_store_dword v[2:3], v14, off offset:1536
	s_or_b64 exec, exec, s[0:1]
	v_cmp_gt_u32_e32 vcc, s2, v6
	s_and_saveexec_b64 s[0:1], vcc
	s_cbranch_execz .LBB125_129
.LBB125_140:
	s_waitcnt lgkmcnt(3)
	global_store_dword v[2:3], v13, off offset:2048
	s_or_b64 exec, exec, s[0:1]
	v_cmp_gt_u32_e32 vcc, s2, v5
	s_and_saveexec_b64 s[0:1], vcc
	s_cbranch_execz .LBB125_130
.LBB125_141:
	s_waitcnt lgkmcnt(2)
	global_store_dword v[2:3], v11, off offset:2560
	s_or_b64 exec, exec, s[0:1]
	v_cmp_gt_u32_e32 vcc, s2, v4
	s_and_saveexec_b64 s[0:1], vcc
	s_cbranch_execnz .LBB125_131
	s_branch .LBB125_132
	.section	.rodata,"a",@progbits
	.p2align	6, 0x0
	.amdhsa_kernel _ZN7rocprim17ROCPRIM_304000_NS6detail35device_block_merge_mergepath_kernelINS1_37wrapped_merge_sort_block_merge_configINS0_14default_configEfN2at4cuda3cub6detail10OpaqueTypeILi8EEEEEPfSC_PSA_SD_jNS1_19radix_merge_compareILb1ELb0EfNS0_19identity_decomposerEEEEEvT0_T1_T2_T3_T4_SL_jT5_PKSL_NS1_7vsmem_tE
		.amdhsa_group_segment_fixed_size 8208
		.amdhsa_private_segment_fixed_size 0
		.amdhsa_kernarg_size 320
		.amdhsa_user_sgpr_count 2
		.amdhsa_user_sgpr_dispatch_ptr 0
		.amdhsa_user_sgpr_queue_ptr 0
		.amdhsa_user_sgpr_kernarg_segment_ptr 1
		.amdhsa_user_sgpr_dispatch_id 0
		.amdhsa_user_sgpr_kernarg_preload_length 0
		.amdhsa_user_sgpr_kernarg_preload_offset 0
		.amdhsa_user_sgpr_private_segment_size 0
		.amdhsa_uses_dynamic_stack 0
		.amdhsa_enable_private_segment 0
		.amdhsa_system_sgpr_workgroup_id_x 1
		.amdhsa_system_sgpr_workgroup_id_y 1
		.amdhsa_system_sgpr_workgroup_id_z 1
		.amdhsa_system_sgpr_workgroup_info 0
		.amdhsa_system_vgpr_workitem_id 0
		.amdhsa_next_free_vgpr 42
		.amdhsa_next_free_sgpr 40
		.amdhsa_accum_offset 44
		.amdhsa_reserve_vcc 1
		.amdhsa_float_round_mode_32 0
		.amdhsa_float_round_mode_16_64 0
		.amdhsa_float_denorm_mode_32 3
		.amdhsa_float_denorm_mode_16_64 3
		.amdhsa_dx10_clamp 1
		.amdhsa_ieee_mode 1
		.amdhsa_fp16_overflow 0
		.amdhsa_tg_split 0
		.amdhsa_exception_fp_ieee_invalid_op 0
		.amdhsa_exception_fp_denorm_src 0
		.amdhsa_exception_fp_ieee_div_zero 0
		.amdhsa_exception_fp_ieee_overflow 0
		.amdhsa_exception_fp_ieee_underflow 0
		.amdhsa_exception_fp_ieee_inexact 0
		.amdhsa_exception_int_div_zero 0
	.end_amdhsa_kernel
	.section	.text._ZN7rocprim17ROCPRIM_304000_NS6detail35device_block_merge_mergepath_kernelINS1_37wrapped_merge_sort_block_merge_configINS0_14default_configEfN2at4cuda3cub6detail10OpaqueTypeILi8EEEEEPfSC_PSA_SD_jNS1_19radix_merge_compareILb1ELb0EfNS0_19identity_decomposerEEEEEvT0_T1_T2_T3_T4_SL_jT5_PKSL_NS1_7vsmem_tE,"axG",@progbits,_ZN7rocprim17ROCPRIM_304000_NS6detail35device_block_merge_mergepath_kernelINS1_37wrapped_merge_sort_block_merge_configINS0_14default_configEfN2at4cuda3cub6detail10OpaqueTypeILi8EEEEEPfSC_PSA_SD_jNS1_19radix_merge_compareILb1ELb0EfNS0_19identity_decomposerEEEEEvT0_T1_T2_T3_T4_SL_jT5_PKSL_NS1_7vsmem_tE,comdat
.Lfunc_end125:
	.size	_ZN7rocprim17ROCPRIM_304000_NS6detail35device_block_merge_mergepath_kernelINS1_37wrapped_merge_sort_block_merge_configINS0_14default_configEfN2at4cuda3cub6detail10OpaqueTypeILi8EEEEEPfSC_PSA_SD_jNS1_19radix_merge_compareILb1ELb0EfNS0_19identity_decomposerEEEEEvT0_T1_T2_T3_T4_SL_jT5_PKSL_NS1_7vsmem_tE, .Lfunc_end125-_ZN7rocprim17ROCPRIM_304000_NS6detail35device_block_merge_mergepath_kernelINS1_37wrapped_merge_sort_block_merge_configINS0_14default_configEfN2at4cuda3cub6detail10OpaqueTypeILi8EEEEEPfSC_PSA_SD_jNS1_19radix_merge_compareILb1ELb0EfNS0_19identity_decomposerEEEEEvT0_T1_T2_T3_T4_SL_jT5_PKSL_NS1_7vsmem_tE
                                        ; -- End function
	.set _ZN7rocprim17ROCPRIM_304000_NS6detail35device_block_merge_mergepath_kernelINS1_37wrapped_merge_sort_block_merge_configINS0_14default_configEfN2at4cuda3cub6detail10OpaqueTypeILi8EEEEEPfSC_PSA_SD_jNS1_19radix_merge_compareILb1ELb0EfNS0_19identity_decomposerEEEEEvT0_T1_T2_T3_T4_SL_jT5_PKSL_NS1_7vsmem_tE.num_vgpr, 42
	.set _ZN7rocprim17ROCPRIM_304000_NS6detail35device_block_merge_mergepath_kernelINS1_37wrapped_merge_sort_block_merge_configINS0_14default_configEfN2at4cuda3cub6detail10OpaqueTypeILi8EEEEEPfSC_PSA_SD_jNS1_19radix_merge_compareILb1ELb0EfNS0_19identity_decomposerEEEEEvT0_T1_T2_T3_T4_SL_jT5_PKSL_NS1_7vsmem_tE.num_agpr, 0
	.set _ZN7rocprim17ROCPRIM_304000_NS6detail35device_block_merge_mergepath_kernelINS1_37wrapped_merge_sort_block_merge_configINS0_14default_configEfN2at4cuda3cub6detail10OpaqueTypeILi8EEEEEPfSC_PSA_SD_jNS1_19radix_merge_compareILb1ELb0EfNS0_19identity_decomposerEEEEEvT0_T1_T2_T3_T4_SL_jT5_PKSL_NS1_7vsmem_tE.numbered_sgpr, 40
	.set _ZN7rocprim17ROCPRIM_304000_NS6detail35device_block_merge_mergepath_kernelINS1_37wrapped_merge_sort_block_merge_configINS0_14default_configEfN2at4cuda3cub6detail10OpaqueTypeILi8EEEEEPfSC_PSA_SD_jNS1_19radix_merge_compareILb1ELb0EfNS0_19identity_decomposerEEEEEvT0_T1_T2_T3_T4_SL_jT5_PKSL_NS1_7vsmem_tE.num_named_barrier, 0
	.set _ZN7rocprim17ROCPRIM_304000_NS6detail35device_block_merge_mergepath_kernelINS1_37wrapped_merge_sort_block_merge_configINS0_14default_configEfN2at4cuda3cub6detail10OpaqueTypeILi8EEEEEPfSC_PSA_SD_jNS1_19radix_merge_compareILb1ELb0EfNS0_19identity_decomposerEEEEEvT0_T1_T2_T3_T4_SL_jT5_PKSL_NS1_7vsmem_tE.private_seg_size, 0
	.set _ZN7rocprim17ROCPRIM_304000_NS6detail35device_block_merge_mergepath_kernelINS1_37wrapped_merge_sort_block_merge_configINS0_14default_configEfN2at4cuda3cub6detail10OpaqueTypeILi8EEEEEPfSC_PSA_SD_jNS1_19radix_merge_compareILb1ELb0EfNS0_19identity_decomposerEEEEEvT0_T1_T2_T3_T4_SL_jT5_PKSL_NS1_7vsmem_tE.uses_vcc, 1
	.set _ZN7rocprim17ROCPRIM_304000_NS6detail35device_block_merge_mergepath_kernelINS1_37wrapped_merge_sort_block_merge_configINS0_14default_configEfN2at4cuda3cub6detail10OpaqueTypeILi8EEEEEPfSC_PSA_SD_jNS1_19radix_merge_compareILb1ELb0EfNS0_19identity_decomposerEEEEEvT0_T1_T2_T3_T4_SL_jT5_PKSL_NS1_7vsmem_tE.uses_flat_scratch, 0
	.set _ZN7rocprim17ROCPRIM_304000_NS6detail35device_block_merge_mergepath_kernelINS1_37wrapped_merge_sort_block_merge_configINS0_14default_configEfN2at4cuda3cub6detail10OpaqueTypeILi8EEEEEPfSC_PSA_SD_jNS1_19radix_merge_compareILb1ELb0EfNS0_19identity_decomposerEEEEEvT0_T1_T2_T3_T4_SL_jT5_PKSL_NS1_7vsmem_tE.has_dyn_sized_stack, 0
	.set _ZN7rocprim17ROCPRIM_304000_NS6detail35device_block_merge_mergepath_kernelINS1_37wrapped_merge_sort_block_merge_configINS0_14default_configEfN2at4cuda3cub6detail10OpaqueTypeILi8EEEEEPfSC_PSA_SD_jNS1_19radix_merge_compareILb1ELb0EfNS0_19identity_decomposerEEEEEvT0_T1_T2_T3_T4_SL_jT5_PKSL_NS1_7vsmem_tE.has_recursion, 0
	.set _ZN7rocprim17ROCPRIM_304000_NS6detail35device_block_merge_mergepath_kernelINS1_37wrapped_merge_sort_block_merge_configINS0_14default_configEfN2at4cuda3cub6detail10OpaqueTypeILi8EEEEEPfSC_PSA_SD_jNS1_19radix_merge_compareILb1ELb0EfNS0_19identity_decomposerEEEEEvT0_T1_T2_T3_T4_SL_jT5_PKSL_NS1_7vsmem_tE.has_indirect_call, 0
	.section	.AMDGPU.csdata,"",@progbits
; Kernel info:
; codeLenInByte = 6096
; TotalNumSgprs: 46
; NumVgprs: 42
; NumAgprs: 0
; TotalNumVgprs: 42
; ScratchSize: 0
; MemoryBound: 0
; FloatMode: 240
; IeeeMode: 1
; LDSByteSize: 8208 bytes/workgroup (compile time only)
; SGPRBlocks: 5
; VGPRBlocks: 5
; NumSGPRsForWavesPerEU: 46
; NumVGPRsForWavesPerEU: 42
; AccumOffset: 44
; Occupancy: 8
; WaveLimiterHint : 1
; COMPUTE_PGM_RSRC2:SCRATCH_EN: 0
; COMPUTE_PGM_RSRC2:USER_SGPR: 2
; COMPUTE_PGM_RSRC2:TRAP_HANDLER: 0
; COMPUTE_PGM_RSRC2:TGID_X_EN: 1
; COMPUTE_PGM_RSRC2:TGID_Y_EN: 1
; COMPUTE_PGM_RSRC2:TGID_Z_EN: 1
; COMPUTE_PGM_RSRC2:TIDIG_COMP_CNT: 0
; COMPUTE_PGM_RSRC3_GFX90A:ACCUM_OFFSET: 10
; COMPUTE_PGM_RSRC3_GFX90A:TG_SPLIT: 0
	.section	.text._ZN7rocprim17ROCPRIM_304000_NS6detail33device_block_merge_oddeven_kernelINS1_37wrapped_merge_sort_block_merge_configINS0_14default_configEfN2at4cuda3cub6detail10OpaqueTypeILi8EEEEEPfSC_PSA_SD_jNS1_19radix_merge_compareILb1ELb0EfNS0_19identity_decomposerEEEEEvT0_T1_T2_T3_T4_SL_T5_,"axG",@progbits,_ZN7rocprim17ROCPRIM_304000_NS6detail33device_block_merge_oddeven_kernelINS1_37wrapped_merge_sort_block_merge_configINS0_14default_configEfN2at4cuda3cub6detail10OpaqueTypeILi8EEEEEPfSC_PSA_SD_jNS1_19radix_merge_compareILb1ELb0EfNS0_19identity_decomposerEEEEEvT0_T1_T2_T3_T4_SL_T5_,comdat
	.protected	_ZN7rocprim17ROCPRIM_304000_NS6detail33device_block_merge_oddeven_kernelINS1_37wrapped_merge_sort_block_merge_configINS0_14default_configEfN2at4cuda3cub6detail10OpaqueTypeILi8EEEEEPfSC_PSA_SD_jNS1_19radix_merge_compareILb1ELb0EfNS0_19identity_decomposerEEEEEvT0_T1_T2_T3_T4_SL_T5_ ; -- Begin function _ZN7rocprim17ROCPRIM_304000_NS6detail33device_block_merge_oddeven_kernelINS1_37wrapped_merge_sort_block_merge_configINS0_14default_configEfN2at4cuda3cub6detail10OpaqueTypeILi8EEEEEPfSC_PSA_SD_jNS1_19radix_merge_compareILb1ELb0EfNS0_19identity_decomposerEEEEEvT0_T1_T2_T3_T4_SL_T5_
	.globl	_ZN7rocprim17ROCPRIM_304000_NS6detail33device_block_merge_oddeven_kernelINS1_37wrapped_merge_sort_block_merge_configINS0_14default_configEfN2at4cuda3cub6detail10OpaqueTypeILi8EEEEEPfSC_PSA_SD_jNS1_19radix_merge_compareILb1ELb0EfNS0_19identity_decomposerEEEEEvT0_T1_T2_T3_T4_SL_T5_
	.p2align	8
	.type	_ZN7rocprim17ROCPRIM_304000_NS6detail33device_block_merge_oddeven_kernelINS1_37wrapped_merge_sort_block_merge_configINS0_14default_configEfN2at4cuda3cub6detail10OpaqueTypeILi8EEEEEPfSC_PSA_SD_jNS1_19radix_merge_compareILb1ELb0EfNS0_19identity_decomposerEEEEEvT0_T1_T2_T3_T4_SL_T5_,@function
_ZN7rocprim17ROCPRIM_304000_NS6detail33device_block_merge_oddeven_kernelINS1_37wrapped_merge_sort_block_merge_configINS0_14default_configEfN2at4cuda3cub6detail10OpaqueTypeILi8EEEEEPfSC_PSA_SD_jNS1_19radix_merge_compareILb1ELb0EfNS0_19identity_decomposerEEEEEvT0_T1_T2_T3_T4_SL_T5_: ; @_ZN7rocprim17ROCPRIM_304000_NS6detail33device_block_merge_oddeven_kernelINS1_37wrapped_merge_sort_block_merge_configINS0_14default_configEfN2at4cuda3cub6detail10OpaqueTypeILi8EEEEEPfSC_PSA_SD_jNS1_19radix_merge_compareILb1ELb0EfNS0_19identity_decomposerEEEEEvT0_T1_T2_T3_T4_SL_T5_
; %bb.0:
	s_load_dwordx2 s[16:17], s[0:1], 0x20
	s_waitcnt lgkmcnt(0)
	s_lshr_b32 s3, s16, 8
	s_cmp_eq_u32 s2, s3
	s_cselect_b64 s[6:7], -1, 0
	s_cmp_lg_u32 s2, s3
	s_cselect_b64 s[8:9], -1, 0
	s_lshl_b32 s18, s2, 8
	s_sub_i32 s3, s16, s18
	v_cmp_gt_u32_e64 s[4:5], s3, v0
	s_or_b64 s[8:9], s[8:9], s[4:5]
	s_and_saveexec_b64 s[10:11], s[8:9]
	s_cbranch_execz .LBB126_24
; %bb.1:
	s_load_dwordx8 s[8:15], s[0:1], 0x0
	s_mov_b32 s19, 0
	s_lshl_b64 s[0:1], s[18:19], 2
	v_lshlrev_b32_e32 v5, 3, v0
	v_lshlrev_b32_e32 v1, 2, v0
	s_waitcnt lgkmcnt(0)
	s_add_u32 s0, s8, s0
	s_addc_u32 s1, s9, s1
	s_lshl_b64 s[20:21], s[18:19], 3
	s_add_u32 s12, s12, s20
	s_addc_u32 s13, s13, s21
	global_load_dwordx2 v[2:3], v5, s[12:13]
	global_load_dword v4, v1, s[0:1]
	s_lshr_b32 s0, s17, 8
	s_sub_i32 s1, 0, s0
	s_and_b32 s1, s2, s1
	s_and_b32 s0, s1, s0
	s_lshl_b32 s19, s1, 8
	s_sub_i32 s12, 0, s17
	s_cmp_eq_u32 s0, 0
	s_cselect_b64 s[0:1], -1, 0
	s_and_b64 s[2:3], s[0:1], exec
	s_cselect_b32 s12, s17, s12
	s_add_i32 s12, s12, s19
	s_mov_b64 s[2:3], -1
	s_cmp_gt_u32 s16, s12
	v_add_u32_e32 v0, s18, v0
	s_cbranch_scc1 .LBB126_9
; %bb.2:
	s_and_b64 vcc, exec, s[6:7]
	s_cbranch_vccz .LBB126_6
; %bb.3:
	v_cmp_gt_u32_e32 vcc, s16, v0
	s_and_saveexec_b64 s[2:3], vcc
	s_cbranch_execz .LBB126_5
; %bb.4:
	v_mov_b32_e32 v1, 0
	v_lshl_add_u64 v[8:9], v[0:1], 2, s[10:11]
	v_lshl_add_u64 v[6:7], v[0:1], 3, s[14:15]
	s_waitcnt vmcnt(0)
	global_store_dword v[8:9], v4, off
	global_store_dwordx2 v[6:7], v[2:3], off
.LBB126_5:
	s_or_b64 exec, exec, s[2:3]
	s_mov_b64 s[2:3], 0
.LBB126_6:
	s_andn2_b64 vcc, exec, s[2:3]
	s_cbranch_vccnz .LBB126_8
; %bb.7:
	v_mov_b32_e32 v1, 0
	v_lshl_add_u64 v[6:7], v[0:1], 2, s[10:11]
	v_lshl_add_u64 v[8:9], v[0:1], 3, s[14:15]
	s_waitcnt vmcnt(0)
	global_store_dword v[6:7], v4, off
	global_store_dwordx2 v[8:9], v[2:3], off
.LBB126_8:
	s_mov_b64 s[2:3], 0
.LBB126_9:
	s_andn2_b64 vcc, exec, s[2:3]
	s_cbranch_vccnz .LBB126_24
; %bb.10:
	s_min_u32 s13, s12, s16
	s_add_i32 s2, s13, s17
	s_min_u32 s16, s2, s16
	s_min_u32 s2, s19, s13
	s_add_i32 s19, s19, s13
	v_subrev_u32_e32 v0, s19, v0
	v_add_u32_e32 v5, s2, v0
	s_brev_b32 s2, 1
	s_waitcnt vmcnt(0)
	v_cmp_ne_u32_e32 vcc, s2, v4
	v_bfrev_b32_e32 v1, 1
	s_mov_b64 s[2:3], -1
	v_cndmask_b32_e32 v0, 0, v4, vcc
	v_cmp_lt_i32_e32 vcc, -1, v0
	s_nop 1
	v_cndmask_b32_e32 v1, -1, v1, vcc
	v_xor_b32_e32 v6, v1, v0
	s_and_b64 vcc, exec, s[6:7]
	s_cbranch_vccz .LBB126_18
; %bb.11:
	s_and_saveexec_b64 s[2:3], s[4:5]
	s_cbranch_execz .LBB126_17
; %bb.12:
	s_cmp_ge_u32 s12, s16
	v_mov_b32_e32 v7, s13
	s_cbranch_scc1 .LBB126_16
; %bb.13:
	s_mov_b64 s[4:5], 0
	v_mov_b32_e32 v8, s16
	v_mov_b32_e32 v7, s13
	;; [unrolled: 1-line block ×3, first 2 shown]
	s_brev_b32 s6, 1
	v_bfrev_b32_e32 v9, 1
.LBB126_14:                             ; =>This Inner Loop Header: Depth=1
	v_add_u32_e32 v0, v7, v8
	v_lshrrev_b32_e32 v0, 1, v0
	v_lshl_add_u64 v[10:11], v[0:1], 2, s[8:9]
	global_load_dword v10, v[10:11], off
	v_add_u32_e32 v11, 1, v0
	s_waitcnt vmcnt(0)
	v_cmp_ne_u32_e32 vcc, s6, v10
	s_nop 1
	v_cndmask_b32_e32 v10, 0, v10, vcc
	v_cmp_lt_i32_e32 vcc, -1, v10
	s_nop 1
	v_cndmask_b32_e32 v12, -1, v9, vcc
	v_xor_b32_e32 v10, v12, v10
	v_cmp_gt_u32_e32 vcc, v10, v6
	s_nop 1
	v_cndmask_b32_e64 v12, 0, 1, vcc
	v_cmp_le_u32_e32 vcc, v6, v10
	s_nop 1
	v_cndmask_b32_e64 v10, 0, 1, vcc
	v_cndmask_b32_e64 v10, v10, v12, s[0:1]
	v_and_b32_e32 v10, 1, v10
	v_cmp_eq_u32_e32 vcc, 1, v10
	s_nop 1
	v_cndmask_b32_e32 v8, v0, v8, vcc
	v_cndmask_b32_e32 v7, v7, v11, vcc
	v_cmp_ge_u32_e32 vcc, v7, v8
	s_or_b64 s[4:5], vcc, s[4:5]
	s_andn2_b64 exec, exec, s[4:5]
	s_cbranch_execnz .LBB126_14
; %bb.15:
	s_or_b64 exec, exec, s[4:5]
.LBB126_16:
	v_add_u32_e32 v0, v7, v5
	v_mov_b32_e32 v1, 0
	v_lshl_add_u64 v[8:9], v[0:1], 2, s[10:11]
	v_lshl_add_u64 v[0:1], v[0:1], 3, s[14:15]
	global_store_dword v[8:9], v4, off
	global_store_dwordx2 v[0:1], v[2:3], off
.LBB126_17:
	s_or_b64 exec, exec, s[2:3]
	s_mov_b64 s[2:3], 0
.LBB126_18:
	s_andn2_b64 vcc, exec, s[2:3]
	s_cbranch_vccnz .LBB126_24
; %bb.19:
	s_cmp_ge_u32 s12, s16
	v_mov_b32_e32 v7, s13
	s_cbranch_scc1 .LBB126_23
; %bb.20:
	s_mov_b64 s[2:3], 0
	v_mov_b32_e32 v8, s16
	v_mov_b32_e32 v7, s13
	;; [unrolled: 1-line block ×3, first 2 shown]
	s_brev_b32 s4, 1
	v_bfrev_b32_e32 v9, 1
.LBB126_21:                             ; =>This Inner Loop Header: Depth=1
	v_add_u32_e32 v0, v7, v8
	v_lshrrev_b32_e32 v0, 1, v0
	v_lshl_add_u64 v[10:11], v[0:1], 2, s[8:9]
	global_load_dword v10, v[10:11], off
	v_add_u32_e32 v11, 1, v0
	s_waitcnt vmcnt(0)
	v_cmp_ne_u32_e32 vcc, s4, v10
	s_nop 1
	v_cndmask_b32_e32 v10, 0, v10, vcc
	v_cmp_lt_i32_e32 vcc, -1, v10
	s_nop 1
	v_cndmask_b32_e32 v12, -1, v9, vcc
	v_xor_b32_e32 v10, v12, v10
	v_cmp_gt_u32_e32 vcc, v10, v6
	s_nop 1
	v_cndmask_b32_e64 v12, 0, 1, vcc
	v_cmp_le_u32_e32 vcc, v6, v10
	s_nop 1
	v_cndmask_b32_e64 v10, 0, 1, vcc
	v_cndmask_b32_e64 v10, v10, v12, s[0:1]
	v_and_b32_e32 v10, 1, v10
	v_cmp_eq_u32_e32 vcc, 1, v10
	s_nop 1
	v_cndmask_b32_e32 v8, v0, v8, vcc
	v_cndmask_b32_e32 v7, v7, v11, vcc
	v_cmp_ge_u32_e32 vcc, v7, v8
	s_or_b64 s[2:3], vcc, s[2:3]
	s_andn2_b64 exec, exec, s[2:3]
	s_cbranch_execnz .LBB126_21
; %bb.22:
	s_or_b64 exec, exec, s[2:3]
.LBB126_23:
	v_add_u32_e32 v0, v7, v5
	v_mov_b32_e32 v1, 0
	v_lshl_add_u64 v[6:7], v[0:1], 2, s[10:11]
	v_lshl_add_u64 v[0:1], v[0:1], 3, s[14:15]
	global_store_dword v[6:7], v4, off
	global_store_dwordx2 v[0:1], v[2:3], off
.LBB126_24:
	s_endpgm
	.section	.rodata,"a",@progbits
	.p2align	6, 0x0
	.amdhsa_kernel _ZN7rocprim17ROCPRIM_304000_NS6detail33device_block_merge_oddeven_kernelINS1_37wrapped_merge_sort_block_merge_configINS0_14default_configEfN2at4cuda3cub6detail10OpaqueTypeILi8EEEEEPfSC_PSA_SD_jNS1_19radix_merge_compareILb1ELb0EfNS0_19identity_decomposerEEEEEvT0_T1_T2_T3_T4_SL_T5_
		.amdhsa_group_segment_fixed_size 0
		.amdhsa_private_segment_fixed_size 0
		.amdhsa_kernarg_size 44
		.amdhsa_user_sgpr_count 2
		.amdhsa_user_sgpr_dispatch_ptr 0
		.amdhsa_user_sgpr_queue_ptr 0
		.amdhsa_user_sgpr_kernarg_segment_ptr 1
		.amdhsa_user_sgpr_dispatch_id 0
		.amdhsa_user_sgpr_kernarg_preload_length 0
		.amdhsa_user_sgpr_kernarg_preload_offset 0
		.amdhsa_user_sgpr_private_segment_size 0
		.amdhsa_uses_dynamic_stack 0
		.amdhsa_enable_private_segment 0
		.amdhsa_system_sgpr_workgroup_id_x 1
		.amdhsa_system_sgpr_workgroup_id_y 0
		.amdhsa_system_sgpr_workgroup_id_z 0
		.amdhsa_system_sgpr_workgroup_info 0
		.amdhsa_system_vgpr_workitem_id 0
		.amdhsa_next_free_vgpr 13
		.amdhsa_next_free_sgpr 22
		.amdhsa_accum_offset 16
		.amdhsa_reserve_vcc 1
		.amdhsa_float_round_mode_32 0
		.amdhsa_float_round_mode_16_64 0
		.amdhsa_float_denorm_mode_32 3
		.amdhsa_float_denorm_mode_16_64 3
		.amdhsa_dx10_clamp 1
		.amdhsa_ieee_mode 1
		.amdhsa_fp16_overflow 0
		.amdhsa_tg_split 0
		.amdhsa_exception_fp_ieee_invalid_op 0
		.amdhsa_exception_fp_denorm_src 0
		.amdhsa_exception_fp_ieee_div_zero 0
		.amdhsa_exception_fp_ieee_overflow 0
		.amdhsa_exception_fp_ieee_underflow 0
		.amdhsa_exception_fp_ieee_inexact 0
		.amdhsa_exception_int_div_zero 0
	.end_amdhsa_kernel
	.section	.text._ZN7rocprim17ROCPRIM_304000_NS6detail33device_block_merge_oddeven_kernelINS1_37wrapped_merge_sort_block_merge_configINS0_14default_configEfN2at4cuda3cub6detail10OpaqueTypeILi8EEEEEPfSC_PSA_SD_jNS1_19radix_merge_compareILb1ELb0EfNS0_19identity_decomposerEEEEEvT0_T1_T2_T3_T4_SL_T5_,"axG",@progbits,_ZN7rocprim17ROCPRIM_304000_NS6detail33device_block_merge_oddeven_kernelINS1_37wrapped_merge_sort_block_merge_configINS0_14default_configEfN2at4cuda3cub6detail10OpaqueTypeILi8EEEEEPfSC_PSA_SD_jNS1_19radix_merge_compareILb1ELb0EfNS0_19identity_decomposerEEEEEvT0_T1_T2_T3_T4_SL_T5_,comdat
.Lfunc_end126:
	.size	_ZN7rocprim17ROCPRIM_304000_NS6detail33device_block_merge_oddeven_kernelINS1_37wrapped_merge_sort_block_merge_configINS0_14default_configEfN2at4cuda3cub6detail10OpaqueTypeILi8EEEEEPfSC_PSA_SD_jNS1_19radix_merge_compareILb1ELb0EfNS0_19identity_decomposerEEEEEvT0_T1_T2_T3_T4_SL_T5_, .Lfunc_end126-_ZN7rocprim17ROCPRIM_304000_NS6detail33device_block_merge_oddeven_kernelINS1_37wrapped_merge_sort_block_merge_configINS0_14default_configEfN2at4cuda3cub6detail10OpaqueTypeILi8EEEEEPfSC_PSA_SD_jNS1_19radix_merge_compareILb1ELb0EfNS0_19identity_decomposerEEEEEvT0_T1_T2_T3_T4_SL_T5_
                                        ; -- End function
	.set _ZN7rocprim17ROCPRIM_304000_NS6detail33device_block_merge_oddeven_kernelINS1_37wrapped_merge_sort_block_merge_configINS0_14default_configEfN2at4cuda3cub6detail10OpaqueTypeILi8EEEEEPfSC_PSA_SD_jNS1_19radix_merge_compareILb1ELb0EfNS0_19identity_decomposerEEEEEvT0_T1_T2_T3_T4_SL_T5_.num_vgpr, 13
	.set _ZN7rocprim17ROCPRIM_304000_NS6detail33device_block_merge_oddeven_kernelINS1_37wrapped_merge_sort_block_merge_configINS0_14default_configEfN2at4cuda3cub6detail10OpaqueTypeILi8EEEEEPfSC_PSA_SD_jNS1_19radix_merge_compareILb1ELb0EfNS0_19identity_decomposerEEEEEvT0_T1_T2_T3_T4_SL_T5_.num_agpr, 0
	.set _ZN7rocprim17ROCPRIM_304000_NS6detail33device_block_merge_oddeven_kernelINS1_37wrapped_merge_sort_block_merge_configINS0_14default_configEfN2at4cuda3cub6detail10OpaqueTypeILi8EEEEEPfSC_PSA_SD_jNS1_19radix_merge_compareILb1ELb0EfNS0_19identity_decomposerEEEEEvT0_T1_T2_T3_T4_SL_T5_.numbered_sgpr, 22
	.set _ZN7rocprim17ROCPRIM_304000_NS6detail33device_block_merge_oddeven_kernelINS1_37wrapped_merge_sort_block_merge_configINS0_14default_configEfN2at4cuda3cub6detail10OpaqueTypeILi8EEEEEPfSC_PSA_SD_jNS1_19radix_merge_compareILb1ELb0EfNS0_19identity_decomposerEEEEEvT0_T1_T2_T3_T4_SL_T5_.num_named_barrier, 0
	.set _ZN7rocprim17ROCPRIM_304000_NS6detail33device_block_merge_oddeven_kernelINS1_37wrapped_merge_sort_block_merge_configINS0_14default_configEfN2at4cuda3cub6detail10OpaqueTypeILi8EEEEEPfSC_PSA_SD_jNS1_19radix_merge_compareILb1ELb0EfNS0_19identity_decomposerEEEEEvT0_T1_T2_T3_T4_SL_T5_.private_seg_size, 0
	.set _ZN7rocprim17ROCPRIM_304000_NS6detail33device_block_merge_oddeven_kernelINS1_37wrapped_merge_sort_block_merge_configINS0_14default_configEfN2at4cuda3cub6detail10OpaqueTypeILi8EEEEEPfSC_PSA_SD_jNS1_19radix_merge_compareILb1ELb0EfNS0_19identity_decomposerEEEEEvT0_T1_T2_T3_T4_SL_T5_.uses_vcc, 1
	.set _ZN7rocprim17ROCPRIM_304000_NS6detail33device_block_merge_oddeven_kernelINS1_37wrapped_merge_sort_block_merge_configINS0_14default_configEfN2at4cuda3cub6detail10OpaqueTypeILi8EEEEEPfSC_PSA_SD_jNS1_19radix_merge_compareILb1ELb0EfNS0_19identity_decomposerEEEEEvT0_T1_T2_T3_T4_SL_T5_.uses_flat_scratch, 0
	.set _ZN7rocprim17ROCPRIM_304000_NS6detail33device_block_merge_oddeven_kernelINS1_37wrapped_merge_sort_block_merge_configINS0_14default_configEfN2at4cuda3cub6detail10OpaqueTypeILi8EEEEEPfSC_PSA_SD_jNS1_19radix_merge_compareILb1ELb0EfNS0_19identity_decomposerEEEEEvT0_T1_T2_T3_T4_SL_T5_.has_dyn_sized_stack, 0
	.set _ZN7rocprim17ROCPRIM_304000_NS6detail33device_block_merge_oddeven_kernelINS1_37wrapped_merge_sort_block_merge_configINS0_14default_configEfN2at4cuda3cub6detail10OpaqueTypeILi8EEEEEPfSC_PSA_SD_jNS1_19radix_merge_compareILb1ELb0EfNS0_19identity_decomposerEEEEEvT0_T1_T2_T3_T4_SL_T5_.has_recursion, 0
	.set _ZN7rocprim17ROCPRIM_304000_NS6detail33device_block_merge_oddeven_kernelINS1_37wrapped_merge_sort_block_merge_configINS0_14default_configEfN2at4cuda3cub6detail10OpaqueTypeILi8EEEEEPfSC_PSA_SD_jNS1_19radix_merge_compareILb1ELb0EfNS0_19identity_decomposerEEEEEvT0_T1_T2_T3_T4_SL_T5_.has_indirect_call, 0
	.section	.AMDGPU.csdata,"",@progbits
; Kernel info:
; codeLenInByte = 848
; TotalNumSgprs: 28
; NumVgprs: 13
; NumAgprs: 0
; TotalNumVgprs: 13
; ScratchSize: 0
; MemoryBound: 0
; FloatMode: 240
; IeeeMode: 1
; LDSByteSize: 0 bytes/workgroup (compile time only)
; SGPRBlocks: 3
; VGPRBlocks: 1
; NumSGPRsForWavesPerEU: 28
; NumVGPRsForWavesPerEU: 13
; AccumOffset: 16
; Occupancy: 8
; WaveLimiterHint : 0
; COMPUTE_PGM_RSRC2:SCRATCH_EN: 0
; COMPUTE_PGM_RSRC2:USER_SGPR: 2
; COMPUTE_PGM_RSRC2:TRAP_HANDLER: 0
; COMPUTE_PGM_RSRC2:TGID_X_EN: 1
; COMPUTE_PGM_RSRC2:TGID_Y_EN: 0
; COMPUTE_PGM_RSRC2:TGID_Z_EN: 0
; COMPUTE_PGM_RSRC2:TIDIG_COMP_CNT: 0
; COMPUTE_PGM_RSRC3_GFX90A:ACCUM_OFFSET: 3
; COMPUTE_PGM_RSRC3_GFX90A:TG_SPLIT: 0
	.section	.text._ZN7rocprim17ROCPRIM_304000_NS6detail16transform_kernelINS1_24wrapped_transform_configINS0_14default_configEfEEfPfS6_NS0_8identityIfEEEEvT1_mT2_T3_,"axG",@progbits,_ZN7rocprim17ROCPRIM_304000_NS6detail16transform_kernelINS1_24wrapped_transform_configINS0_14default_configEfEEfPfS6_NS0_8identityIfEEEEvT1_mT2_T3_,comdat
	.protected	_ZN7rocprim17ROCPRIM_304000_NS6detail16transform_kernelINS1_24wrapped_transform_configINS0_14default_configEfEEfPfS6_NS0_8identityIfEEEEvT1_mT2_T3_ ; -- Begin function _ZN7rocprim17ROCPRIM_304000_NS6detail16transform_kernelINS1_24wrapped_transform_configINS0_14default_configEfEEfPfS6_NS0_8identityIfEEEEvT1_mT2_T3_
	.globl	_ZN7rocprim17ROCPRIM_304000_NS6detail16transform_kernelINS1_24wrapped_transform_configINS0_14default_configEfEEfPfS6_NS0_8identityIfEEEEvT1_mT2_T3_
	.p2align	8
	.type	_ZN7rocprim17ROCPRIM_304000_NS6detail16transform_kernelINS1_24wrapped_transform_configINS0_14default_configEfEEfPfS6_NS0_8identityIfEEEEvT1_mT2_T3_,@function
_ZN7rocprim17ROCPRIM_304000_NS6detail16transform_kernelINS1_24wrapped_transform_configINS0_14default_configEfEEfPfS6_NS0_8identityIfEEEEvT1_mT2_T3_: ; @_ZN7rocprim17ROCPRIM_304000_NS6detail16transform_kernelINS1_24wrapped_transform_configINS0_14default_configEfEEfPfS6_NS0_8identityIfEEEEvT1_mT2_T3_
; %bb.0:
	s_load_dword s3, s[0:1], 0x20
	s_load_dwordx4 s[4:7], s[0:1], 0x0
	s_load_dwordx2 s[8:9], s[0:1], 0x10
	s_lshl_b32 s0, s2, 8
	s_mov_b32 s1, 0
	s_waitcnt lgkmcnt(0)
	s_add_i32 s3, s3, -1
	s_lshl_b64 s[10:11], s[0:1], 2
	s_add_u32 s4, s4, s10
	s_addc_u32 s5, s5, s11
	v_mov_b32_e32 v3, 0
	v_lshlrev_b32_e32 v2, 2, v0
	s_cmp_lg_u32 s2, s3
	v_lshl_add_u64 v[4:5], s[4:5], 0, v[2:3]
	s_cbranch_scc0 .LBB127_2
; %bb.1:
	global_load_dword v3, v[4:5], off
	global_load_dword v1, v[4:5], off offset:512
	s_add_u32 s2, s8, s10
	s_addc_u32 s3, s9, s11
	s_waitcnt vmcnt(1)
	global_store_dword v2, v3, s[2:3]
	s_mov_b64 s[2:3], -1
	s_cbranch_execz .LBB127_3
	s_branch .LBB127_10
.LBB127_2:
	s_mov_b64 s[2:3], 0
                                        ; implicit-def: $vgpr1
.LBB127_3:
	s_sub_i32 s4, s6, s0
	v_mov_b32_e32 v6, 0
	v_cmp_gt_u32_e32 vcc, s4, v0
	v_mov_b32_e32 v7, v6
	s_and_saveexec_b64 s[0:1], vcc
	s_cbranch_execz .LBB127_5
; %bb.4:
	global_load_dword v8, v[4:5], off
	v_mov_b32_e32 v9, v6
	s_waitcnt vmcnt(0)
	v_mov_b64_e32 v[6:7], v[8:9]
.LBB127_5:
	s_or_b64 exec, exec, s[0:1]
	v_or_b32_e32 v0, 0x80, v0
	v_cmp_gt_u32_e64 s[0:1], s4, v0
	s_and_saveexec_b64 s[4:5], s[0:1]
	s_cbranch_execnz .LBB127_13
; %bb.6:
	s_or_b64 exec, exec, s[4:5]
	v_cndmask_b32_e32 v0, 0, v6, vcc
	s_and_saveexec_b64 s[4:5], vcc
	s_cbranch_execnz .LBB127_14
.LBB127_7:
	s_or_b64 exec, exec, s[4:5]
                                        ; implicit-def: $vgpr1
	s_and_saveexec_b64 s[4:5], s[0:1]
	s_cbranch_execz .LBB127_9
.LBB127_8:
	s_waitcnt vmcnt(0)
	v_cndmask_b32_e64 v1, 0, v7, s[0:1]
	s_or_b64 s[2:3], s[2:3], exec
.LBB127_9:
	s_or_b64 exec, exec, s[4:5]
.LBB127_10:
	s_and_saveexec_b64 s[0:1], s[2:3]
	s_cbranch_execnz .LBB127_12
; %bb.11:
	s_endpgm
.LBB127_12:
	s_add_u32 s0, s8, s10
	s_addc_u32 s1, s9, s11
	s_waitcnt vmcnt(1)
	global_store_dword v2, v1, s[0:1] offset:512
	s_endpgm
.LBB127_13:
	global_load_dword v7, v[4:5], off offset:512
	s_or_b64 exec, exec, s[4:5]
	v_cndmask_b32_e32 v0, 0, v6, vcc
	s_and_saveexec_b64 s[4:5], vcc
	s_cbranch_execz .LBB127_7
.LBB127_14:
	s_add_u32 s6, s8, s10
	s_addc_u32 s7, s9, s11
	global_store_dword v2, v0, s[6:7]
	s_or_b64 exec, exec, s[4:5]
                                        ; implicit-def: $vgpr1
	s_and_saveexec_b64 s[4:5], s[0:1]
	s_cbranch_execnz .LBB127_8
	s_branch .LBB127_9
	.section	.rodata,"a",@progbits
	.p2align	6, 0x0
	.amdhsa_kernel _ZN7rocprim17ROCPRIM_304000_NS6detail16transform_kernelINS1_24wrapped_transform_configINS0_14default_configEfEEfPfS6_NS0_8identityIfEEEEvT1_mT2_T3_
		.amdhsa_group_segment_fixed_size 0
		.amdhsa_private_segment_fixed_size 0
		.amdhsa_kernarg_size 288
		.amdhsa_user_sgpr_count 2
		.amdhsa_user_sgpr_dispatch_ptr 0
		.amdhsa_user_sgpr_queue_ptr 0
		.amdhsa_user_sgpr_kernarg_segment_ptr 1
		.amdhsa_user_sgpr_dispatch_id 0
		.amdhsa_user_sgpr_kernarg_preload_length 0
		.amdhsa_user_sgpr_kernarg_preload_offset 0
		.amdhsa_user_sgpr_private_segment_size 0
		.amdhsa_uses_dynamic_stack 0
		.amdhsa_enable_private_segment 0
		.amdhsa_system_sgpr_workgroup_id_x 1
		.amdhsa_system_sgpr_workgroup_id_y 0
		.amdhsa_system_sgpr_workgroup_id_z 0
		.amdhsa_system_sgpr_workgroup_info 0
		.amdhsa_system_vgpr_workitem_id 0
		.amdhsa_next_free_vgpr 10
		.amdhsa_next_free_sgpr 12
		.amdhsa_accum_offset 12
		.amdhsa_reserve_vcc 1
		.amdhsa_float_round_mode_32 0
		.amdhsa_float_round_mode_16_64 0
		.amdhsa_float_denorm_mode_32 3
		.amdhsa_float_denorm_mode_16_64 3
		.amdhsa_dx10_clamp 1
		.amdhsa_ieee_mode 1
		.amdhsa_fp16_overflow 0
		.amdhsa_tg_split 0
		.amdhsa_exception_fp_ieee_invalid_op 0
		.amdhsa_exception_fp_denorm_src 0
		.amdhsa_exception_fp_ieee_div_zero 0
		.amdhsa_exception_fp_ieee_overflow 0
		.amdhsa_exception_fp_ieee_underflow 0
		.amdhsa_exception_fp_ieee_inexact 0
		.amdhsa_exception_int_div_zero 0
	.end_amdhsa_kernel
	.section	.text._ZN7rocprim17ROCPRIM_304000_NS6detail16transform_kernelINS1_24wrapped_transform_configINS0_14default_configEfEEfPfS6_NS0_8identityIfEEEEvT1_mT2_T3_,"axG",@progbits,_ZN7rocprim17ROCPRIM_304000_NS6detail16transform_kernelINS1_24wrapped_transform_configINS0_14default_configEfEEfPfS6_NS0_8identityIfEEEEvT1_mT2_T3_,comdat
.Lfunc_end127:
	.size	_ZN7rocprim17ROCPRIM_304000_NS6detail16transform_kernelINS1_24wrapped_transform_configINS0_14default_configEfEEfPfS6_NS0_8identityIfEEEEvT1_mT2_T3_, .Lfunc_end127-_ZN7rocprim17ROCPRIM_304000_NS6detail16transform_kernelINS1_24wrapped_transform_configINS0_14default_configEfEEfPfS6_NS0_8identityIfEEEEvT1_mT2_T3_
                                        ; -- End function
	.set _ZN7rocprim17ROCPRIM_304000_NS6detail16transform_kernelINS1_24wrapped_transform_configINS0_14default_configEfEEfPfS6_NS0_8identityIfEEEEvT1_mT2_T3_.num_vgpr, 10
	.set _ZN7rocprim17ROCPRIM_304000_NS6detail16transform_kernelINS1_24wrapped_transform_configINS0_14default_configEfEEfPfS6_NS0_8identityIfEEEEvT1_mT2_T3_.num_agpr, 0
	.set _ZN7rocprim17ROCPRIM_304000_NS6detail16transform_kernelINS1_24wrapped_transform_configINS0_14default_configEfEEfPfS6_NS0_8identityIfEEEEvT1_mT2_T3_.numbered_sgpr, 12
	.set _ZN7rocprim17ROCPRIM_304000_NS6detail16transform_kernelINS1_24wrapped_transform_configINS0_14default_configEfEEfPfS6_NS0_8identityIfEEEEvT1_mT2_T3_.num_named_barrier, 0
	.set _ZN7rocprim17ROCPRIM_304000_NS6detail16transform_kernelINS1_24wrapped_transform_configINS0_14default_configEfEEfPfS6_NS0_8identityIfEEEEvT1_mT2_T3_.private_seg_size, 0
	.set _ZN7rocprim17ROCPRIM_304000_NS6detail16transform_kernelINS1_24wrapped_transform_configINS0_14default_configEfEEfPfS6_NS0_8identityIfEEEEvT1_mT2_T3_.uses_vcc, 1
	.set _ZN7rocprim17ROCPRIM_304000_NS6detail16transform_kernelINS1_24wrapped_transform_configINS0_14default_configEfEEfPfS6_NS0_8identityIfEEEEvT1_mT2_T3_.uses_flat_scratch, 0
	.set _ZN7rocprim17ROCPRIM_304000_NS6detail16transform_kernelINS1_24wrapped_transform_configINS0_14default_configEfEEfPfS6_NS0_8identityIfEEEEvT1_mT2_T3_.has_dyn_sized_stack, 0
	.set _ZN7rocprim17ROCPRIM_304000_NS6detail16transform_kernelINS1_24wrapped_transform_configINS0_14default_configEfEEfPfS6_NS0_8identityIfEEEEvT1_mT2_T3_.has_recursion, 0
	.set _ZN7rocprim17ROCPRIM_304000_NS6detail16transform_kernelINS1_24wrapped_transform_configINS0_14default_configEfEEfPfS6_NS0_8identityIfEEEEvT1_mT2_T3_.has_indirect_call, 0
	.section	.AMDGPU.csdata,"",@progbits
; Kernel info:
; codeLenInByte = 340
; TotalNumSgprs: 18
; NumVgprs: 10
; NumAgprs: 0
; TotalNumVgprs: 10
; ScratchSize: 0
; MemoryBound: 0
; FloatMode: 240
; IeeeMode: 1
; LDSByteSize: 0 bytes/workgroup (compile time only)
; SGPRBlocks: 2
; VGPRBlocks: 1
; NumSGPRsForWavesPerEU: 18
; NumVGPRsForWavesPerEU: 10
; AccumOffset: 12
; Occupancy: 8
; WaveLimiterHint : 1
; COMPUTE_PGM_RSRC2:SCRATCH_EN: 0
; COMPUTE_PGM_RSRC2:USER_SGPR: 2
; COMPUTE_PGM_RSRC2:TRAP_HANDLER: 0
; COMPUTE_PGM_RSRC2:TGID_X_EN: 1
; COMPUTE_PGM_RSRC2:TGID_Y_EN: 0
; COMPUTE_PGM_RSRC2:TGID_Z_EN: 0
; COMPUTE_PGM_RSRC2:TIDIG_COMP_CNT: 0
; COMPUTE_PGM_RSRC3_GFX90A:ACCUM_OFFSET: 2
; COMPUTE_PGM_RSRC3_GFX90A:TG_SPLIT: 0
	.section	.text._ZN7rocprim17ROCPRIM_304000_NS6detail26onesweep_histograms_kernelINS1_34wrapped_radix_sort_onesweep_configINS0_14default_configEfN2at4cuda3cub6detail10OpaqueTypeILi8EEEEELb1EPKfmNS0_19identity_decomposerEEEvT1_PT2_SG_SG_T3_jj,"axG",@progbits,_ZN7rocprim17ROCPRIM_304000_NS6detail26onesweep_histograms_kernelINS1_34wrapped_radix_sort_onesweep_configINS0_14default_configEfN2at4cuda3cub6detail10OpaqueTypeILi8EEEEELb1EPKfmNS0_19identity_decomposerEEEvT1_PT2_SG_SG_T3_jj,comdat
	.protected	_ZN7rocprim17ROCPRIM_304000_NS6detail26onesweep_histograms_kernelINS1_34wrapped_radix_sort_onesweep_configINS0_14default_configEfN2at4cuda3cub6detail10OpaqueTypeILi8EEEEELb1EPKfmNS0_19identity_decomposerEEEvT1_PT2_SG_SG_T3_jj ; -- Begin function _ZN7rocprim17ROCPRIM_304000_NS6detail26onesweep_histograms_kernelINS1_34wrapped_radix_sort_onesweep_configINS0_14default_configEfN2at4cuda3cub6detail10OpaqueTypeILi8EEEEELb1EPKfmNS0_19identity_decomposerEEEvT1_PT2_SG_SG_T3_jj
	.globl	_ZN7rocprim17ROCPRIM_304000_NS6detail26onesweep_histograms_kernelINS1_34wrapped_radix_sort_onesweep_configINS0_14default_configEfN2at4cuda3cub6detail10OpaqueTypeILi8EEEEELb1EPKfmNS0_19identity_decomposerEEEvT1_PT2_SG_SG_T3_jj
	.p2align	8
	.type	_ZN7rocprim17ROCPRIM_304000_NS6detail26onesweep_histograms_kernelINS1_34wrapped_radix_sort_onesweep_configINS0_14default_configEfN2at4cuda3cub6detail10OpaqueTypeILi8EEEEELb1EPKfmNS0_19identity_decomposerEEEvT1_PT2_SG_SG_T3_jj,@function
_ZN7rocprim17ROCPRIM_304000_NS6detail26onesweep_histograms_kernelINS1_34wrapped_radix_sort_onesweep_configINS0_14default_configEfN2at4cuda3cub6detail10OpaqueTypeILi8EEEEELb1EPKfmNS0_19identity_decomposerEEEvT1_PT2_SG_SG_T3_jj: ; @_ZN7rocprim17ROCPRIM_304000_NS6detail26onesweep_histograms_kernelINS1_34wrapped_radix_sort_onesweep_configINS0_14default_configEfN2at4cuda3cub6detail10OpaqueTypeILi8EEEEELb1EPKfmNS0_19identity_decomposerEEEvT1_PT2_SG_SG_T3_jj
; %bb.0:
	s_load_dwordx8 s[12:19], s[0:1], 0x0
	s_load_dwordx2 s[20:21], s[0:1], 0x24
	v_mov_b32_e32 v8, s2
	v_mov_b32_e32 v9, 0
	s_mul_hi_u32 s0, s2, 0x6000
	s_mulk_i32 s2, 0x6000
	s_waitcnt lgkmcnt(0)
	v_cmp_le_u64_e32 vcc, s[18:19], v[8:9]
	s_add_u32 s12, s12, s2
	s_addc_u32 s13, s13, s0
	s_mov_b64 s[0:1], -1
	v_lshlrev_b32_e32 v8, 2, v0
	s_cbranch_vccz .LBB128_44
; %bb.1:
	s_mul_i32 s0, s18, 0xffffe800
	s_add_i32 s16, s0, s16
	v_lshl_add_u64 v[10:11], s[12:13], 0, v[8:9]
	v_cmp_gt_u32_e64 s[10:11], s16, v0
	v_mov_b32_e32 v6, v9
	v_mov_b32_e32 v1, v9
	;; [unrolled: 1-line block ×6, first 2 shown]
	s_and_saveexec_b64 s[0:1], s[10:11]
	s_cbranch_execz .LBB128_3
; %bb.2:
	global_load_dword v6, v[10:11], off
	v_mov_b32_e32 v1, v9
	v_mov_b32_e32 v2, v9
	;; [unrolled: 1-line block ×5, first 2 shown]
.LBB128_3:
	s_or_b64 exec, exec, s[0:1]
	v_or_b32_e32 v7, 0x400, v0
	v_cmp_gt_u32_e64 s[8:9], s16, v7
	s_and_saveexec_b64 s[0:1], s[8:9]
	s_cbranch_execz .LBB128_5
; %bb.4:
	v_add_co_u32_e32 v12, vcc, 0x1000, v10
	s_nop 1
	v_addc_co_u32_e32 v13, vcc, 0, v11, vcc
	global_load_dword v1, v[12:13], off
.LBB128_5:
	s_or_b64 exec, exec, s[0:1]
	v_or_b32_e32 v7, 0x800, v0
	v_cmp_gt_u32_e64 s[6:7], s16, v7
	s_and_saveexec_b64 s[0:1], s[6:7]
	s_cbranch_execz .LBB128_7
; %bb.6:
	v_add_co_u32_e32 v12, vcc, 0x2000, v10
	s_nop 1
	v_addc_co_u32_e32 v13, vcc, 0, v11, vcc
	global_load_dword v2, v[12:13], off
.LBB128_7:
	;; [unrolled: 11-line block ×5, first 2 shown]
	s_or_b64 exec, exec, s[16:17]
	s_cmp_gt_u32 s21, s20
	v_mov_b32_e32 v7, 0
	s_cselect_b64 s[16:17], -1, 0
	s_cmp_le_u32 s21, s20
	ds_write2st64_b32 v8, v7, v7 offset1:16
	ds_write2st64_b32 v8, v7, v7 offset0:32 offset1:48
	s_waitcnt lgkmcnt(0)
	s_barrier
	s_cbranch_scc1 .LBB128_38
; %bb.14:
	v_bfrev_b32_e32 v7, -2
	s_waitcnt vmcnt(0)
	v_cmp_gt_i32_e32 vcc, 0, v6
	s_brev_b32 s18, 1
	v_and_b32_e32 v9, 3, v0
	v_cndmask_b32_e64 v10, v7, 0, vcc
	v_xor_b32_e32 v6, v10, v6
	v_cmp_ne_u32_e32 vcc, s18, v6
	s_sub_i32 s22, s21, s20
	s_mov_b32 s23, s22
	v_cndmask_b32_e32 v7, v7, v6, vcc
	v_lshlrev_b32_e32 v6, 2, v9
	v_mov_b32_e32 v9, 1
	v_mov_b32_e32 v10, v6
	s_mov_b32 s24, s20
	s_branch .LBB128_16
.LBB128_15:                             ;   in Loop: Header=BB128_16 Depth=1
	s_or_b64 exec, exec, s[18:19]
	s_add_i32 s24, s24, 8
	s_add_i32 s23, s23, -8
	s_cmp_ge_u32 s24, s21
	v_add_u32_e32 v10, 0x1000, v10
	s_cbranch_scc1 .LBB128_18
.LBB128_16:                             ; =>This Inner Loop Header: Depth=1
	s_and_saveexec_b64 s[18:19], s[10:11]
	s_cbranch_execz .LBB128_15
; %bb.17:                               ;   in Loop: Header=BB128_16 Depth=1
	s_min_u32 s25, s23, 8
	v_lshrrev_b32_e32 v11, s24, v7
	v_bfe_u32 v11, v11, 0, s25
	v_lshl_add_u32 v11, v11, 4, v10
	ds_add_u32 v11, v9
	s_branch .LBB128_15
.LBB128_18:
	v_bfrev_b32_e32 v7, -2
	v_cmp_gt_i32_e32 vcc, 0, v1
	s_brev_b32 s10, 1
	s_mov_b32 s18, s22
	v_cndmask_b32_e64 v9, v7, 0, vcc
	v_xor_b32_e32 v1, v9, v1
	v_cmp_ne_u32_e32 vcc, s10, v1
	v_mov_b32_e32 v9, v6
	s_mov_b32 s19, s20
	v_cndmask_b32_e32 v1, v7, v1, vcc
	v_mov_b32_e32 v7, 1
	s_branch .LBB128_20
.LBB128_19:                             ;   in Loop: Header=BB128_20 Depth=1
	s_or_b64 exec, exec, s[10:11]
	s_add_i32 s19, s19, 8
	s_add_i32 s18, s18, -8
	s_cmp_lt_u32 s19, s21
	v_add_u32_e32 v9, 0x1000, v9
	s_cbranch_scc0 .LBB128_22
.LBB128_20:                             ; =>This Inner Loop Header: Depth=1
	s_and_saveexec_b64 s[10:11], s[8:9]
	s_cbranch_execz .LBB128_19
; %bb.21:                               ;   in Loop: Header=BB128_20 Depth=1
	s_min_u32 s23, s18, 8
	v_lshrrev_b32_e32 v10, s19, v1
	v_bfe_u32 v10, v10, 0, s23
	v_lshl_add_u32 v10, v10, 4, v9
	ds_add_u32 v10, v7
	s_branch .LBB128_19
.LBB128_22:
	v_bfrev_b32_e32 v1, -2
	v_cmp_gt_i32_e32 vcc, 0, v2
	s_brev_b32 s8, 1
	s_mov_b32 s10, s22
	v_cndmask_b32_e64 v7, v1, 0, vcc
	v_xor_b32_e32 v2, v7, v2
	v_cmp_ne_u32_e32 vcc, s8, v2
	v_mov_b32_e32 v7, v6
	s_mov_b32 s11, s20
	v_cndmask_b32_e32 v1, v1, v2, vcc
	v_mov_b32_e32 v2, 1
	s_branch .LBB128_24
.LBB128_23:                             ;   in Loop: Header=BB128_24 Depth=1
	s_or_b64 exec, exec, s[8:9]
	s_add_i32 s11, s11, 8
	s_add_i32 s10, s10, -8
	s_cmp_lt_u32 s11, s21
	v_add_u32_e32 v7, 0x1000, v7
	s_cbranch_scc0 .LBB128_26
.LBB128_24:                             ; =>This Inner Loop Header: Depth=1
	s_and_saveexec_b64 s[8:9], s[6:7]
	s_cbranch_execz .LBB128_23
; %bb.25:                               ;   in Loop: Header=BB128_24 Depth=1
	s_min_u32 s18, s10, 8
	v_lshrrev_b32_e32 v9, s11, v1
	v_bfe_u32 v9, v9, 0, s18
	v_lshl_add_u32 v9, v9, 4, v7
	ds_add_u32 v9, v2
	s_branch .LBB128_23
.LBB128_26:
	;; [unrolled: 30-line block ×4, first 2 shown]
	v_bfrev_b32_e32 v1, -2
	v_cmp_gt_i32_e32 vcc, 0, v5
	s_brev_b32 s2, 1
	s_mov_b32 s4, s20
	v_cndmask_b32_e64 v2, v1, 0, vcc
	v_xor_b32_e32 v2, v2, v5
	v_cmp_ne_u32_e32 vcc, s2, v2
	s_nop 1
	v_cndmask_b32_e32 v1, v1, v2, vcc
	v_mov_b32_e32 v2, 1
	s_branch .LBB128_36
.LBB128_35:                             ;   in Loop: Header=BB128_36 Depth=1
	s_or_b64 exec, exec, s[2:3]
	s_add_i32 s4, s4, 8
	s_add_i32 s22, s22, -8
	s_cmp_lt_u32 s4, s21
	v_add_u32_e32 v6, 0x1000, v6
	s_cbranch_scc0 .LBB128_38
.LBB128_36:                             ; =>This Inner Loop Header: Depth=1
	s_and_saveexec_b64 s[2:3], s[0:1]
	s_cbranch_execz .LBB128_35
; %bb.37:                               ;   in Loop: Header=BB128_36 Depth=1
	s_min_u32 s5, s22, 8
	v_lshrrev_b32_e32 v3, s4, v1
	v_bfe_u32 v3, v3, 0, s5
	v_lshl_add_u32 v3, v3, 4, v6
	ds_add_u32 v3, v2
	s_branch .LBB128_35
.LBB128_38:
	s_and_b64 vcc, exec, s[16:17]
	s_waitcnt lgkmcnt(0)
	s_barrier
	s_cbranch_vccz .LBB128_43
; %bb.39:
	s_movk_i32 s0, 0x100
	v_cmp_gt_u32_e32 vcc, s0, v0
	s_waitcnt vmcnt(0)
	v_lshlrev_b32_e32 v1, 4, v0
	v_mov_b32_e32 v3, 0
	v_mov_b32_e32 v2, v0
	s_mov_b32 s2, s20
	s_branch .LBB128_41
.LBB128_40:                             ;   in Loop: Header=BB128_41 Depth=1
	s_or_b64 exec, exec, s[0:1]
	s_add_i32 s2, s2, 8
	v_add_u32_e32 v2, 0x100, v2
	s_cmp_lt_u32 s2, s21
	v_add_u32_e32 v1, 0x1000, v1
	s_cbranch_scc0 .LBB128_43
.LBB128_41:                             ; =>This Inner Loop Header: Depth=1
	s_and_saveexec_b64 s[0:1], vcc
	s_cbranch_execz .LBB128_40
; %bb.42:                               ;   in Loop: Header=BB128_41 Depth=1
	ds_read2_b32 v[4:5], v1 offset1:1
	ds_read2_b32 v[6:7], v1 offset0:2 offset1:3
	v_lshl_add_u64 v[10:11], v[2:3], 3, s[14:15]
	s_waitcnt lgkmcnt(1)
	v_add_u32_e32 v4, v5, v4
	s_waitcnt lgkmcnt(0)
	v_add3_u32 v4, v4, v6, v7
	v_mov_b32_e32 v5, v3
	global_atomic_add_x2 v[10:11], v[4:5], off
	s_branch .LBB128_40
.LBB128_43:
	s_mov_b64 s[0:1], 0
.LBB128_44:
	s_and_b64 vcc, exec, s[0:1]
	s_cbranch_vccz .LBB128_68
; %bb.45:
	v_mov_b32_e32 v9, 0
	s_waitcnt vmcnt(0)
	v_lshl_add_u64 v[2:3], s[12:13], 0, v[8:9]
	v_add_co_u32_e32 v12, vcc, 0x1000, v2
	s_cmp_eq_u32 s20, 0
	s_nop 0
	v_addc_co_u32_e32 v13, vcc, 0, v3, vcc
	v_add_co_u32_e32 v14, vcc, 0x2000, v2
	s_cselect_b64 s[0:1], -1, 0
	s_nop 0
	v_addc_co_u32_e32 v15, vcc, 0, v3, vcc
	v_add_co_u32_e32 v16, vcc, 0x3000, v2
	s_cmp_eq_u32 s21, 32
	s_nop 0
	v_addc_co_u32_e32 v17, vcc, 0, v3, vcc
	v_add_co_u32_e32 v18, vcc, 0x4000, v2
	s_cselect_b64 s[2:3], -1, 0
	s_nop 0
	v_addc_co_u32_e32 v19, vcc, 0, v3, vcc
	v_add_co_u32_e32 v2, vcc, 0x5000, v2
	s_and_b64 s[2:3], s[0:1], s[2:3]
	s_nop 0
	v_addc_co_u32_e32 v3, vcc, 0, v3, vcc
	global_load_dword v11, v8, s[12:13]
	global_load_dword v10, v[12:13], off
	global_load_dword v7, v[14:15], off
	;; [unrolled: 1-line block ×5, first 2 shown]
	s_mov_b64 s[0:1], -1
	s_and_b64 vcc, exec, s[2:3]
	s_cbranch_vccnz .LBB128_65
; %bb.46:
	s_cmp_gt_u32 s21, s20
	s_cselect_b64 s[0:1], -1, 0
	s_and_b64 vcc, exec, s[0:1]
	ds_write2st64_b32 v8, v9, v9 offset1:16
	ds_write2st64_b32 v8, v9, v9 offset0:32 offset1:48
	s_waitcnt lgkmcnt(0)
	s_barrier
	s_cbranch_vccz .LBB128_59
; %bb.47:
	v_bfrev_b32_e32 v2, -2
	s_waitcnt vmcnt(5)
	v_cmp_gt_i32_e32 vcc, 0, v11
	v_and_b32_e32 v1, 3, v0
	s_brev_b32 s2, 1
	v_cndmask_b32_e64 v3, v2, 0, vcc
	v_xor_b32_e32 v3, v3, v11
	v_cmp_ne_u32_e32 vcc, s2, v3
	v_lshlrev_b32_e32 v1, 2, v1
	s_sub_i32 s2, s21, s20
	v_cndmask_b32_e32 v2, v2, v3, vcc
	v_mov_b32_e32 v3, 1
	s_mov_b32 s3, s2
	v_mov_b32_e32 v9, v1
	s_mov_b32 s4, s20
.LBB128_48:                             ; =>This Inner Loop Header: Depth=1
	s_min_u32 s5, s3, 8
	v_lshrrev_b32_e32 v12, s4, v2
	v_bfe_u32 v12, v12, 0, s5
	v_lshl_add_u32 v12, v12, 4, v9
	ds_add_u32 v12, v3
	s_add_i32 s4, s4, 8
	s_add_i32 s3, s3, -8
	s_cmp_ge_u32 s4, s21
	v_add_u32_e32 v9, 0x1000, v9
	s_cbranch_scc0 .LBB128_48
; %bb.49:
	v_bfrev_b32_e32 v2, -2
	s_waitcnt vmcnt(4)
	v_cmp_gt_i32_e32 vcc, 0, v10
	s_brev_b32 s3, 1
	v_mov_b32_e32 v9, v1
	v_cndmask_b32_e64 v3, v2, 0, vcc
	v_xor_b32_e32 v3, v3, v10
	v_cmp_ne_u32_e32 vcc, s3, v3
	s_mov_b32 s3, s2
	s_mov_b32 s4, s20
	v_cndmask_b32_e32 v2, v2, v3, vcc
	v_mov_b32_e32 v3, 1
.LBB128_50:                             ; =>This Inner Loop Header: Depth=1
	s_min_u32 s5, s3, 8
	v_lshrrev_b32_e32 v12, s4, v2
	v_bfe_u32 v12, v12, 0, s5
	v_lshl_add_u32 v12, v12, 4, v9
	ds_add_u32 v12, v3
	s_add_i32 s4, s4, 8
	s_add_i32 s3, s3, -8
	s_cmp_lt_u32 s4, s21
	v_add_u32_e32 v9, 0x1000, v9
	s_cbranch_scc1 .LBB128_50
; %bb.51:
	v_bfrev_b32_e32 v2, -2
	s_waitcnt vmcnt(3)
	v_cmp_gt_i32_e32 vcc, 0, v7
	s_brev_b32 s3, 1
	v_mov_b32_e32 v9, v1
	v_cndmask_b32_e64 v3, v2, 0, vcc
	v_xor_b32_e32 v3, v3, v7
	v_cmp_ne_u32_e32 vcc, s3, v3
	s_mov_b32 s3, s2
	s_mov_b32 s4, s20
	v_cndmask_b32_e32 v2, v2, v3, vcc
	v_mov_b32_e32 v3, 1
.LBB128_52:                             ; =>This Inner Loop Header: Depth=1
	s_min_u32 s5, s3, 8
	v_lshrrev_b32_e32 v12, s4, v2
	v_bfe_u32 v12, v12, 0, s5
	v_lshl_add_u32 v12, v12, 4, v9
	ds_add_u32 v12, v3
	s_add_i32 s4, s4, 8
	s_add_i32 s3, s3, -8
	s_cmp_lt_u32 s4, s21
	v_add_u32_e32 v9, 0x1000, v9
	s_cbranch_scc1 .LBB128_52
; %bb.53:
	v_bfrev_b32_e32 v2, -2
	s_waitcnt vmcnt(2)
	v_cmp_gt_i32_e32 vcc, 0, v6
	s_brev_b32 s3, 1
	v_mov_b32_e32 v9, v1
	v_cndmask_b32_e64 v3, v2, 0, vcc
	v_xor_b32_e32 v3, v3, v6
	v_cmp_ne_u32_e32 vcc, s3, v3
	s_mov_b32 s3, s2
	s_mov_b32 s4, s20
	v_cndmask_b32_e32 v2, v2, v3, vcc
	v_mov_b32_e32 v3, 1
.LBB128_54:                             ; =>This Inner Loop Header: Depth=1
	s_min_u32 s5, s3, 8
	v_lshrrev_b32_e32 v12, s4, v2
	v_bfe_u32 v12, v12, 0, s5
	v_lshl_add_u32 v12, v12, 4, v9
	ds_add_u32 v12, v3
	s_add_i32 s4, s4, 8
	s_add_i32 s3, s3, -8
	s_cmp_lt_u32 s4, s21
	v_add_u32_e32 v9, 0x1000, v9
	s_cbranch_scc1 .LBB128_54
; %bb.55:
	v_bfrev_b32_e32 v2, -2
	s_waitcnt vmcnt(1)
	v_cmp_gt_i32_e32 vcc, 0, v4
	s_brev_b32 s3, 1
	v_mov_b32_e32 v9, v1
	v_cndmask_b32_e64 v3, v2, 0, vcc
	v_xor_b32_e32 v3, v3, v4
	v_cmp_ne_u32_e32 vcc, s3, v3
	s_mov_b32 s3, s2
	s_mov_b32 s4, s20
	v_cndmask_b32_e32 v2, v2, v3, vcc
	v_mov_b32_e32 v3, 1
.LBB128_56:                             ; =>This Inner Loop Header: Depth=1
	s_min_u32 s5, s3, 8
	v_lshrrev_b32_e32 v12, s4, v2
	v_bfe_u32 v12, v12, 0, s5
	v_lshl_add_u32 v12, v12, 4, v9
	ds_add_u32 v12, v3
	s_add_i32 s4, s4, 8
	s_add_i32 s3, s3, -8
	s_cmp_lt_u32 s4, s21
	v_add_u32_e32 v9, 0x1000, v9
	s_cbranch_scc1 .LBB128_56
; %bb.57:
	v_bfrev_b32_e32 v2, -2
	s_waitcnt vmcnt(0)
	v_cmp_gt_i32_e32 vcc, 0, v5
	s_brev_b32 s3, 1
	s_nop 0
	v_cndmask_b32_e64 v3, v2, 0, vcc
	v_xor_b32_e32 v3, v3, v5
	v_cmp_ne_u32_e32 vcc, s3, v3
	s_mov_b32 s3, s20
	s_nop 0
	v_cndmask_b32_e32 v2, v2, v3, vcc
	v_mov_b32_e32 v3, 1
.LBB128_58:                             ; =>This Inner Loop Header: Depth=1
	s_min_u32 s4, s2, 8
	v_lshrrev_b32_e32 v9, s3, v2
	v_bfe_u32 v9, v9, 0, s4
	v_lshl_add_u32 v9, v9, 4, v1
	ds_add_u32 v9, v3
	s_add_i32 s3, s3, 8
	s_add_i32 s2, s2, -8
	s_cmp_lt_u32 s3, s21
	v_add_u32_e32 v1, 0x1000, v1
	s_cbranch_scc1 .LBB128_58
.LBB128_59:
	s_and_b64 vcc, exec, s[0:1]
	s_waitcnt lgkmcnt(0)
	s_barrier
	s_cbranch_vccz .LBB128_64
; %bb.60:
	s_movk_i32 s0, 0x100
	v_cmp_gt_u32_e32 vcc, s0, v0
	v_lshlrev_b32_e32 v1, 4, v0
	v_mov_b32_e32 v3, 0
	v_mov_b32_e32 v2, v0
	s_branch .LBB128_62
.LBB128_61:                             ;   in Loop: Header=BB128_62 Depth=1
	s_or_b64 exec, exec, s[0:1]
	s_add_i32 s20, s20, 8
	v_add_u32_e32 v2, 0x100, v2
	s_cmp_ge_u32 s20, s21
	v_add_u32_e32 v1, 0x1000, v1
	s_cbranch_scc1 .LBB128_64
.LBB128_62:                             ; =>This Inner Loop Header: Depth=1
	s_and_saveexec_b64 s[0:1], vcc
	s_cbranch_execz .LBB128_61
; %bb.63:                               ;   in Loop: Header=BB128_62 Depth=1
	ds_read2_b32 v[12:13], v1 offset1:1
	ds_read2_b32 v[14:15], v1 offset0:2 offset1:3
	v_lshl_add_u64 v[16:17], v[2:3], 3, s[14:15]
	s_waitcnt lgkmcnt(1)
	v_add_u32_e32 v9, v13, v12
	s_waitcnt lgkmcnt(0)
	v_add3_u32 v12, v9, v14, v15
	v_mov_b32_e32 v13, v3
	global_atomic_add_x2 v[16:17], v[12:13], off
	s_branch .LBB128_61
.LBB128_64:
	s_mov_b64 s[0:1], 0
.LBB128_65:
	s_and_b64 vcc, exec, s[0:1]
	s_cbranch_vccz .LBB128_68
; %bb.66:
	v_bfrev_b32_e32 v2, -2
	s_waitcnt vmcnt(5)
	v_cmp_gt_i32_e32 vcc, 0, v11
	v_mov_b32_e32 v1, 0
	ds_write2st64_b32 v8, v1, v1 offset1:16
	ds_write2st64_b32 v8, v1, v1 offset0:32 offset1:48
	v_cndmask_b32_e64 v3, v2, 0, vcc
	s_waitcnt vmcnt(4)
	v_cmp_gt_i32_e32 vcc, 0, v10
	v_xor_b32_e32 v3, v3, v11
	s_brev_b32 s0, 1
	v_cndmask_b32_e64 v8, v2, 0, vcc
	s_waitcnt vmcnt(3)
	v_cmp_gt_i32_e32 vcc, 0, v7
	v_xor_b32_e32 v8, v8, v10
	s_movk_i32 s1, 0xff0
	v_cndmask_b32_e64 v9, v2, 0, vcc
	s_waitcnt vmcnt(2)
	v_cmp_gt_i32_e32 vcc, 0, v6
	v_xor_b32_e32 v7, v9, v7
	v_mov_b32_e32 v11, 1
	v_cndmask_b32_e64 v9, v2, 0, vcc
	s_waitcnt vmcnt(1)
	v_cmp_gt_i32_e32 vcc, 0, v4
	v_xor_b32_e32 v6, v9, v6
	s_waitcnt lgkmcnt(0)
	v_cndmask_b32_e64 v9, v2, 0, vcc
	s_waitcnt vmcnt(0)
	v_cmp_gt_i32_e32 vcc, 0, v5
	v_xor_b32_e32 v4, v9, v4
	s_barrier
	v_cndmask_b32_e64 v9, v2, 0, vcc
	v_cmp_ne_u32_e32 vcc, s0, v3
	v_xor_b32_e32 v5, v9, v5
	v_and_b32_e32 v9, 3, v0
	v_cndmask_b32_e32 v3, v2, v3, vcc
	v_lshlrev_b32_e32 v10, 4, v3
	v_lshlrev_b32_e32 v9, 2, v9
	v_and_or_b32 v10, v10, s1, v9
	ds_add_u32 v10, v11
	v_bfe_u32 v10, v3, 8, 8
	v_lshl_or_b32 v10, v10, 4, v9
	ds_add_u32 v10, v11 offset:4096
	v_bfe_u32 v10, v3, 16, 8
	v_lshl_or_b32 v10, v10, 4, v9
	v_lshrrev_b32_e32 v3, 24, v3
	ds_add_u32 v10, v11 offset:8192
	v_lshl_or_b32 v3, v3, 4, v9
	v_cmp_ne_u32_e32 vcc, s0, v8
	ds_add_u32 v3, v11 offset:12288
	s_nop 0
	v_cndmask_b32_e32 v3, v2, v8, vcc
	v_lshlrev_b32_e32 v8, 4, v3
	v_and_or_b32 v8, v8, s1, v9
	ds_add_u32 v8, v11
	v_bfe_u32 v8, v3, 8, 8
	v_lshl_or_b32 v8, v8, 4, v9
	ds_add_u32 v8, v11 offset:4096
	v_bfe_u32 v8, v3, 16, 8
	v_lshl_or_b32 v8, v8, 4, v9
	v_lshrrev_b32_e32 v3, 24, v3
	ds_add_u32 v8, v11 offset:8192
	v_lshl_or_b32 v3, v3, 4, v9
	v_cmp_ne_u32_e32 vcc, s0, v7
	ds_add_u32 v3, v11 offset:12288
	s_nop 0
	v_cndmask_b32_e32 v3, v2, v7, vcc
	;; [unrolled: 15-line block ×4, first 2 shown]
	v_lshlrev_b32_e32 v4, 4, v3
	v_and_or_b32 v4, v4, s1, v9
	ds_add_u32 v4, v11
	v_bfe_u32 v4, v3, 8, 8
	v_lshl_or_b32 v4, v4, 4, v9
	ds_add_u32 v4, v11 offset:4096
	v_bfe_u32 v4, v3, 16, 8
	v_lshl_or_b32 v4, v4, 4, v9
	v_lshrrev_b32_e32 v3, 24, v3
	v_cmp_ne_u32_e32 vcc, s0, v5
	ds_add_u32 v4, v11 offset:8192
	v_lshl_or_b32 v3, v3, 4, v9
	v_cndmask_b32_e32 v2, v2, v5, vcc
	ds_add_u32 v3, v11 offset:12288
	v_lshlrev_b32_e32 v3, 4, v2
	v_and_or_b32 v3, v3, s1, v9
	ds_add_u32 v3, v11
	v_bfe_u32 v3, v2, 8, 8
	v_lshl_or_b32 v3, v3, 4, v9
	ds_add_u32 v3, v11 offset:4096
	v_bfe_u32 v3, v2, 16, 8
	v_lshl_or_b32 v3, v3, 4, v9
	v_lshrrev_b32_e32 v2, 24, v2
	ds_add_u32 v3, v11 offset:8192
	v_lshl_or_b32 v2, v2, 4, v9
	ds_add_u32 v2, v11 offset:12288
	s_movk_i32 s0, 0x100
	v_cmp_gt_u32_e32 vcc, s0, v0
	s_waitcnt lgkmcnt(0)
	s_barrier
	s_and_saveexec_b64 s[0:1], vcc
	s_cbranch_execz .LBB128_68
; %bb.67:
	v_lshlrev_b32_e32 v8, 4, v0
	ds_read2_b32 v[2:3], v8 offset1:1
	ds_read2_b32 v[4:5], v8 offset0:2 offset1:3
	v_lshlrev_b32_e32 v0, 3, v0
	v_mov_b32_e32 v7, v1
	v_add_u32_e32 v9, 0x1000, v8
	s_waitcnt lgkmcnt(1)
	v_add_u32_e32 v2, v3, v2
	s_waitcnt lgkmcnt(0)
	v_add3_u32 v6, v2, v4, v5
	global_atomic_add_x2 v0, v[6:7], s[14:15]
	v_add_u32_e32 v4, 0x1008, v8
	ds_read2_b32 v[2:3], v9 offset1:1
	ds_read2_b32 v[4:5], v4 offset1:1
	v_add_u32_e32 v9, 0x2000, v8
	s_movk_i32 s0, 0x1000
	s_waitcnt lgkmcnt(1)
	v_add_u32_e32 v2, v3, v2
	s_waitcnt lgkmcnt(0)
	v_add3_u32 v6, v2, v4, v5
	global_atomic_add_x2 v0, v[6:7], s[14:15] offset:2048
	v_add_u32_e32 v4, 0x2008, v8
	ds_read2_b32 v[2:3], v9 offset1:1
	ds_read2_b32 v[4:5], v4 offset1:1
	v_lshl_add_u64 v[6:7], s[14:15], 0, v[0:1]
	s_waitcnt lgkmcnt(1)
	v_add_u32_e32 v0, v3, v2
	v_add_co_u32_e32 v2, vcc, s0, v6
	s_waitcnt lgkmcnt(0)
	v_add3_u32 v0, v0, v4, v5
	v_addc_co_u32_e32 v3, vcc, 0, v7, vcc
	global_atomic_add_x2 v[2:3], v[0:1], off
	v_add_u32_e32 v0, 0x3000, v8
	v_add_u32_e32 v6, 0x3008, v8
	ds_read2_b32 v[4:5], v0 offset1:1
	ds_read2_b32 v[6:7], v6 offset1:1
	s_waitcnt lgkmcnt(1)
	v_add_u32_e32 v0, v5, v4
	s_waitcnt lgkmcnt(0)
	v_add3_u32 v0, v0, v6, v7
	global_atomic_add_x2 v[2:3], v[0:1], off offset:2048
.LBB128_68:
	s_endpgm
	.section	.rodata,"a",@progbits
	.p2align	6, 0x0
	.amdhsa_kernel _ZN7rocprim17ROCPRIM_304000_NS6detail26onesweep_histograms_kernelINS1_34wrapped_radix_sort_onesweep_configINS0_14default_configEfN2at4cuda3cub6detail10OpaqueTypeILi8EEEEELb1EPKfmNS0_19identity_decomposerEEEvT1_PT2_SG_SG_T3_jj
		.amdhsa_group_segment_fixed_size 16384
		.amdhsa_private_segment_fixed_size 0
		.amdhsa_kernarg_size 44
		.amdhsa_user_sgpr_count 2
		.amdhsa_user_sgpr_dispatch_ptr 0
		.amdhsa_user_sgpr_queue_ptr 0
		.amdhsa_user_sgpr_kernarg_segment_ptr 1
		.amdhsa_user_sgpr_dispatch_id 0
		.amdhsa_user_sgpr_kernarg_preload_length 0
		.amdhsa_user_sgpr_kernarg_preload_offset 0
		.amdhsa_user_sgpr_private_segment_size 0
		.amdhsa_uses_dynamic_stack 0
		.amdhsa_enable_private_segment 0
		.amdhsa_system_sgpr_workgroup_id_x 1
		.amdhsa_system_sgpr_workgroup_id_y 0
		.amdhsa_system_sgpr_workgroup_id_z 0
		.amdhsa_system_sgpr_workgroup_info 0
		.amdhsa_system_vgpr_workitem_id 0
		.amdhsa_next_free_vgpr 20
		.amdhsa_next_free_sgpr 26
		.amdhsa_accum_offset 20
		.amdhsa_reserve_vcc 1
		.amdhsa_float_round_mode_32 0
		.amdhsa_float_round_mode_16_64 0
		.amdhsa_float_denorm_mode_32 3
		.amdhsa_float_denorm_mode_16_64 3
		.amdhsa_dx10_clamp 1
		.amdhsa_ieee_mode 1
		.amdhsa_fp16_overflow 0
		.amdhsa_tg_split 0
		.amdhsa_exception_fp_ieee_invalid_op 0
		.amdhsa_exception_fp_denorm_src 0
		.amdhsa_exception_fp_ieee_div_zero 0
		.amdhsa_exception_fp_ieee_overflow 0
		.amdhsa_exception_fp_ieee_underflow 0
		.amdhsa_exception_fp_ieee_inexact 0
		.amdhsa_exception_int_div_zero 0
	.end_amdhsa_kernel
	.section	.text._ZN7rocprim17ROCPRIM_304000_NS6detail26onesweep_histograms_kernelINS1_34wrapped_radix_sort_onesweep_configINS0_14default_configEfN2at4cuda3cub6detail10OpaqueTypeILi8EEEEELb1EPKfmNS0_19identity_decomposerEEEvT1_PT2_SG_SG_T3_jj,"axG",@progbits,_ZN7rocprim17ROCPRIM_304000_NS6detail26onesweep_histograms_kernelINS1_34wrapped_radix_sort_onesweep_configINS0_14default_configEfN2at4cuda3cub6detail10OpaqueTypeILi8EEEEELb1EPKfmNS0_19identity_decomposerEEEvT1_PT2_SG_SG_T3_jj,comdat
.Lfunc_end128:
	.size	_ZN7rocprim17ROCPRIM_304000_NS6detail26onesweep_histograms_kernelINS1_34wrapped_radix_sort_onesweep_configINS0_14default_configEfN2at4cuda3cub6detail10OpaqueTypeILi8EEEEELb1EPKfmNS0_19identity_decomposerEEEvT1_PT2_SG_SG_T3_jj, .Lfunc_end128-_ZN7rocprim17ROCPRIM_304000_NS6detail26onesweep_histograms_kernelINS1_34wrapped_radix_sort_onesweep_configINS0_14default_configEfN2at4cuda3cub6detail10OpaqueTypeILi8EEEEELb1EPKfmNS0_19identity_decomposerEEEvT1_PT2_SG_SG_T3_jj
                                        ; -- End function
	.set _ZN7rocprim17ROCPRIM_304000_NS6detail26onesweep_histograms_kernelINS1_34wrapped_radix_sort_onesweep_configINS0_14default_configEfN2at4cuda3cub6detail10OpaqueTypeILi8EEEEELb1EPKfmNS0_19identity_decomposerEEEvT1_PT2_SG_SG_T3_jj.num_vgpr, 20
	.set _ZN7rocprim17ROCPRIM_304000_NS6detail26onesweep_histograms_kernelINS1_34wrapped_radix_sort_onesweep_configINS0_14default_configEfN2at4cuda3cub6detail10OpaqueTypeILi8EEEEELb1EPKfmNS0_19identity_decomposerEEEvT1_PT2_SG_SG_T3_jj.num_agpr, 0
	.set _ZN7rocprim17ROCPRIM_304000_NS6detail26onesweep_histograms_kernelINS1_34wrapped_radix_sort_onesweep_configINS0_14default_configEfN2at4cuda3cub6detail10OpaqueTypeILi8EEEEELb1EPKfmNS0_19identity_decomposerEEEvT1_PT2_SG_SG_T3_jj.numbered_sgpr, 26
	.set _ZN7rocprim17ROCPRIM_304000_NS6detail26onesweep_histograms_kernelINS1_34wrapped_radix_sort_onesweep_configINS0_14default_configEfN2at4cuda3cub6detail10OpaqueTypeILi8EEEEELb1EPKfmNS0_19identity_decomposerEEEvT1_PT2_SG_SG_T3_jj.num_named_barrier, 0
	.set _ZN7rocprim17ROCPRIM_304000_NS6detail26onesweep_histograms_kernelINS1_34wrapped_radix_sort_onesweep_configINS0_14default_configEfN2at4cuda3cub6detail10OpaqueTypeILi8EEEEELb1EPKfmNS0_19identity_decomposerEEEvT1_PT2_SG_SG_T3_jj.private_seg_size, 0
	.set _ZN7rocprim17ROCPRIM_304000_NS6detail26onesweep_histograms_kernelINS1_34wrapped_radix_sort_onesweep_configINS0_14default_configEfN2at4cuda3cub6detail10OpaqueTypeILi8EEEEELb1EPKfmNS0_19identity_decomposerEEEvT1_PT2_SG_SG_T3_jj.uses_vcc, 1
	.set _ZN7rocprim17ROCPRIM_304000_NS6detail26onesweep_histograms_kernelINS1_34wrapped_radix_sort_onesweep_configINS0_14default_configEfN2at4cuda3cub6detail10OpaqueTypeILi8EEEEELb1EPKfmNS0_19identity_decomposerEEEvT1_PT2_SG_SG_T3_jj.uses_flat_scratch, 0
	.set _ZN7rocprim17ROCPRIM_304000_NS6detail26onesweep_histograms_kernelINS1_34wrapped_radix_sort_onesweep_configINS0_14default_configEfN2at4cuda3cub6detail10OpaqueTypeILi8EEEEELb1EPKfmNS0_19identity_decomposerEEEvT1_PT2_SG_SG_T3_jj.has_dyn_sized_stack, 0
	.set _ZN7rocprim17ROCPRIM_304000_NS6detail26onesweep_histograms_kernelINS1_34wrapped_radix_sort_onesweep_configINS0_14default_configEfN2at4cuda3cub6detail10OpaqueTypeILi8EEEEELb1EPKfmNS0_19identity_decomposerEEEvT1_PT2_SG_SG_T3_jj.has_recursion, 0
	.set _ZN7rocprim17ROCPRIM_304000_NS6detail26onesweep_histograms_kernelINS1_34wrapped_radix_sort_onesweep_configINS0_14default_configEfN2at4cuda3cub6detail10OpaqueTypeILi8EEEEELb1EPKfmNS0_19identity_decomposerEEEvT1_PT2_SG_SG_T3_jj.has_indirect_call, 0
	.section	.AMDGPU.csdata,"",@progbits
; Kernel info:
; codeLenInByte = 3452
; TotalNumSgprs: 32
; NumVgprs: 20
; NumAgprs: 0
; TotalNumVgprs: 20
; ScratchSize: 0
; MemoryBound: 0
; FloatMode: 240
; IeeeMode: 1
; LDSByteSize: 16384 bytes/workgroup (compile time only)
; SGPRBlocks: 3
; VGPRBlocks: 2
; NumSGPRsForWavesPerEU: 32
; NumVGPRsForWavesPerEU: 20
; AccumOffset: 20
; Occupancy: 8
; WaveLimiterHint : 1
; COMPUTE_PGM_RSRC2:SCRATCH_EN: 0
; COMPUTE_PGM_RSRC2:USER_SGPR: 2
; COMPUTE_PGM_RSRC2:TRAP_HANDLER: 0
; COMPUTE_PGM_RSRC2:TGID_X_EN: 1
; COMPUTE_PGM_RSRC2:TGID_Y_EN: 0
; COMPUTE_PGM_RSRC2:TGID_Z_EN: 0
; COMPUTE_PGM_RSRC2:TIDIG_COMP_CNT: 0
; COMPUTE_PGM_RSRC3_GFX90A:ACCUM_OFFSET: 4
; COMPUTE_PGM_RSRC3_GFX90A:TG_SPLIT: 0
	.section	.text._ZN7rocprim17ROCPRIM_304000_NS6detail31onesweep_scan_histograms_kernelINS1_34wrapped_radix_sort_onesweep_configINS0_14default_configEfN2at4cuda3cub6detail10OpaqueTypeILi8EEEEEmEEvPT0_,"axG",@progbits,_ZN7rocprim17ROCPRIM_304000_NS6detail31onesweep_scan_histograms_kernelINS1_34wrapped_radix_sort_onesweep_configINS0_14default_configEfN2at4cuda3cub6detail10OpaqueTypeILi8EEEEEmEEvPT0_,comdat
	.protected	_ZN7rocprim17ROCPRIM_304000_NS6detail31onesweep_scan_histograms_kernelINS1_34wrapped_radix_sort_onesweep_configINS0_14default_configEfN2at4cuda3cub6detail10OpaqueTypeILi8EEEEEmEEvPT0_ ; -- Begin function _ZN7rocprim17ROCPRIM_304000_NS6detail31onesweep_scan_histograms_kernelINS1_34wrapped_radix_sort_onesweep_configINS0_14default_configEfN2at4cuda3cub6detail10OpaqueTypeILi8EEEEEmEEvPT0_
	.globl	_ZN7rocprim17ROCPRIM_304000_NS6detail31onesweep_scan_histograms_kernelINS1_34wrapped_radix_sort_onesweep_configINS0_14default_configEfN2at4cuda3cub6detail10OpaqueTypeILi8EEEEEmEEvPT0_
	.p2align	8
	.type	_ZN7rocprim17ROCPRIM_304000_NS6detail31onesweep_scan_histograms_kernelINS1_34wrapped_radix_sort_onesweep_configINS0_14default_configEfN2at4cuda3cub6detail10OpaqueTypeILi8EEEEEmEEvPT0_,@function
_ZN7rocprim17ROCPRIM_304000_NS6detail31onesweep_scan_histograms_kernelINS1_34wrapped_radix_sort_onesweep_configINS0_14default_configEfN2at4cuda3cub6detail10OpaqueTypeILi8EEEEEmEEvPT0_: ; @_ZN7rocprim17ROCPRIM_304000_NS6detail31onesweep_scan_histograms_kernelINS1_34wrapped_radix_sort_onesweep_configINS0_14default_configEfN2at4cuda3cub6detail10OpaqueTypeILi8EEEEEmEEvPT0_
; %bb.0:
	s_load_dwordx2 s[0:1], s[0:1], 0x0
	s_lshl_b32 s2, s2, 8
	s_mov_b32 s3, 0
	s_lshl_b64 s[2:3], s[2:3], 3
	v_lshlrev_b32_e32 v8, 3, v0
	s_waitcnt lgkmcnt(0)
	s_add_u32 s14, s0, s2
	s_movk_i32 s0, 0x100
	s_addc_u32 s15, s1, s3
	v_cmp_gt_u32_e32 vcc, s0, v0
                                        ; implicit-def: $vgpr2_vgpr3
	s_and_saveexec_b64 s[0:1], vcc
	s_cbranch_execz .LBB129_2
; %bb.1:
	global_load_dwordx2 v[2:3], v8, s[14:15]
.LBB129_2:
	s_or_b64 exec, exec, s[0:1]
	v_mbcnt_lo_u32_b32 v1, -1, 0
	v_mov_b32_e32 v6, 0
	v_mbcnt_hi_u32_b32 v9, -1, v1
	s_waitcnt vmcnt(0)
	v_mov_b32_dpp v4, v2 row_shr:1 row_mask:0xf bank_mask:0xf
	v_mov_b32_e32 v5, v6
	v_and_b32_e32 v1, 15, v9
	v_mov_b32_dpp v7, v3 row_shr:1 row_mask:0xf bank_mask:0xf
	v_lshl_add_u64 v[4:5], v[2:3], 0, v[4:5]
	v_lshl_add_u64 v[6:7], v[6:7], 0, v[4:5]
	v_cmp_eq_u32_e64 s[4:5], 0, v1
	v_cmp_lt_u32_e64 s[6:7], 1, v1
	v_cmp_lt_u32_e64 s[2:3], 3, v1
	v_cndmask_b32_e64 v10, v4, v2, s[4:5]
	v_cndmask_b32_e64 v5, v7, v3, s[4:5]
	v_cndmask_b32_e64 v4, v6, v2, s[4:5]
	v_mov_b32_dpp v6, v10 row_shr:2 row_mask:0xf bank_mask:0xf
	v_mov_b32_dpp v7, v5 row_shr:2 row_mask:0xf bank_mask:0xf
	v_lshl_add_u64 v[6:7], v[6:7], 0, v[4:5]
	v_cndmask_b32_e64 v10, v10, v6, s[6:7]
	v_cndmask_b32_e64 v5, v5, v7, s[6:7]
	v_cndmask_b32_e64 v4, v4, v6, s[6:7]
	v_mov_b32_dpp v6, v10 row_shr:4 row_mask:0xf bank_mask:0xf
	v_mov_b32_dpp v7, v5 row_shr:4 row_mask:0xf bank_mask:0xf
	v_lshl_add_u64 v[6:7], v[6:7], 0, v[4:5]
	v_cndmask_b32_e64 v10, v10, v6, s[2:3]
	v_cndmask_b32_e64 v5, v5, v7, s[2:3]
	v_cndmask_b32_e64 v4, v4, v6, s[2:3]
	v_mov_b32_dpp v6, v10 row_shr:8 row_mask:0xf bank_mask:0xf
	v_mov_b32_dpp v7, v5 row_shr:8 row_mask:0xf bank_mask:0xf
	v_lshl_add_u64 v[6:7], v[6:7], 0, v[4:5]
	v_cmp_lt_u32_e64 s[8:9], 7, v1
	v_cmp_eq_u32_e64 s[0:1], 0, v9
	v_cmp_ne_u32_e64 s[12:13], 0, v9
	v_cndmask_b32_e64 v1, v10, v6, s[8:9]
	v_cndmask_b32_e64 v5, v5, v7, s[8:9]
	;; [unrolled: 1-line block ×3, first 2 shown]
	v_mov_b32_dpp v6, v1 row_bcast:15 row_mask:0xf bank_mask:0xf
	v_mov_b32_dpp v7, v5 row_bcast:15 row_mask:0xf bank_mask:0xf
	v_and_b32_e32 v10, 16, v9
	v_lshl_add_u64 v[6:7], v[6:7], 0, v[4:5]
	v_cmp_eq_u32_e64 s[10:11], 0, v10
	s_nop 1
	v_cndmask_b32_e64 v10, v7, v5, s[10:11]
	v_cndmask_b32_e64 v1, v6, v1, s[10:11]
	s_nop 0
	v_mov_b32_dpp v10, v10 row_bcast:31 row_mask:0xf bank_mask:0xf
	v_mov_b32_dpp v1, v1 row_bcast:31 row_mask:0xf bank_mask:0xf
	s_and_saveexec_b64 s[16:17], s[12:13]
; %bb.3:
	v_cndmask_b32_e64 v3, v7, v5, s[10:11]
	v_cndmask_b32_e64 v2, v6, v4, s[10:11]
	v_cmp_lt_u32_e64 s[10:11], 31, v9
	s_nop 1
	v_cndmask_b32_e64 v5, 0, v10, s[10:11]
	v_cndmask_b32_e64 v4, 0, v1, s[10:11]
	v_lshl_add_u64 v[2:3], v[4:5], 0, v[2:3]
; %bb.4:
	s_or_b64 exec, exec, s[16:17]
	v_and_b32_e32 v1, 63, v0
	v_lshrrev_b32_e32 v4, 6, v0
	v_cmp_eq_u32_e64 s[10:11], 63, v1
	s_and_saveexec_b64 s[12:13], s[10:11]
; %bb.5:
	v_lshlrev_b32_e32 v1, 3, v4
	ds_write_b64 v1, v[2:3]
; %bb.6:
	s_or_b64 exec, exec, s[12:13]
	v_cmp_gt_u32_e64 s[10:11], 16, v0
	s_waitcnt lgkmcnt(0)
	s_barrier
	s_and_saveexec_b64 s[12:13], s[10:11]
	s_cbranch_execz .LBB129_8
; %bb.7:
	ds_read_b64 v[6:7], v8
	v_mov_b32_e32 v10, 0
	v_mov_b32_e32 v13, v10
	s_waitcnt lgkmcnt(0)
	v_mov_b32_dpp v12, v6 row_shr:1 row_mask:0xf bank_mask:0xf
	v_mov_b32_dpp v11, v7 row_shr:1 row_mask:0xf bank_mask:0xf
	v_lshl_add_u64 v[12:13], v[6:7], 0, v[12:13]
	v_lshl_add_u64 v[14:15], v[10:11], 0, v[12:13]
	v_cndmask_b32_e64 v1, v12, v6, s[4:5]
	v_cndmask_b32_e64 v15, v15, v7, s[4:5]
	;; [unrolled: 1-line block ×3, first 2 shown]
	v_mov_b32_dpp v6, v1 row_shr:2 row_mask:0xf bank_mask:0xf
	v_mov_b32_e32 v7, v10
	v_mov_b32_dpp v11, v15 row_shr:2 row_mask:0xf bank_mask:0xf
	v_lshl_add_u64 v[6:7], v[14:15], 0, v[6:7]
	v_lshl_add_u64 v[12:13], v[6:7], 0, v[10:11]
	v_cndmask_b32_e64 v1, v1, v6, s[6:7]
	v_cndmask_b32_e64 v7, v15, v13, s[6:7]
	;; [unrolled: 1-line block ×3, first 2 shown]
	v_mov_b32_dpp v12, v1 row_shr:4 row_mask:0xf bank_mask:0xf
	v_mov_b32_e32 v13, v10
	v_mov_b32_dpp v11, v7 row_shr:4 row_mask:0xf bank_mask:0xf
	v_lshl_add_u64 v[12:13], v[6:7], 0, v[12:13]
	v_lshl_add_u64 v[10:11], v[12:13], 0, v[10:11]
	v_cndmask_b32_e64 v7, v7, v11, s[2:3]
	v_cndmask_b32_e64 v1, v1, v12, s[2:3]
	;; [unrolled: 1-line block ×3, first 2 shown]
	v_mov_b32_dpp v5, v7 row_shr:8 row_mask:0xf bank_mask:0xf
	v_mov_b32_dpp v1, v1 row_shr:8 row_mask:0xf bank_mask:0xf
	v_cndmask_b32_e64 v10, 0, v1, s[8:9]
	v_cndmask_b32_e64 v11, 0, v5, s[8:9]
	v_lshl_add_u64 v[6:7], v[10:11], 0, v[6:7]
	ds_write_b64 v8, v[6:7]
.LBB129_8:
	s_or_b64 exec, exec, s[12:13]
	v_cmp_lt_u32_e64 s[2:3], 63, v0
	v_mov_b64_e32 v[0:1], 0
	s_waitcnt lgkmcnt(0)
	s_barrier
	s_and_saveexec_b64 s[4:5], s[2:3]
; %bb.9:
	v_lshl_add_u32 v0, v4, 3, -8
	ds_read_b64 v[0:1], v0
; %bb.10:
	s_or_b64 exec, exec, s[4:5]
	v_add_u32_e32 v4, -1, v9
	v_and_b32_e32 v5, 64, v9
	v_cmp_lt_i32_e64 s[2:3], v4, v5
	s_waitcnt lgkmcnt(0)
	v_lshl_add_u64 v[2:3], v[0:1], 0, v[2:3]
	v_cndmask_b32_e64 v4, v4, v9, s[2:3]
	v_lshlrev_b32_e32 v4, 2, v4
	ds_bpermute_b32 v2, v4, v2
	ds_bpermute_b32 v3, v4, v3
	s_and_saveexec_b64 s[2:3], vcc
	s_cbranch_execz .LBB129_12
; %bb.11:
	s_waitcnt lgkmcnt(0)
	v_cndmask_b32_e64 v1, v3, v1, s[0:1]
	v_cndmask_b32_e64 v0, v2, v0, s[0:1]
	global_store_dwordx2 v8, v[0:1], s[14:15]
.LBB129_12:
	s_endpgm
	.section	.rodata,"a",@progbits
	.p2align	6, 0x0
	.amdhsa_kernel _ZN7rocprim17ROCPRIM_304000_NS6detail31onesweep_scan_histograms_kernelINS1_34wrapped_radix_sort_onesweep_configINS0_14default_configEfN2at4cuda3cub6detail10OpaqueTypeILi8EEEEEmEEvPT0_
		.amdhsa_group_segment_fixed_size 128
		.amdhsa_private_segment_fixed_size 0
		.amdhsa_kernarg_size 8
		.amdhsa_user_sgpr_count 2
		.amdhsa_user_sgpr_dispatch_ptr 0
		.amdhsa_user_sgpr_queue_ptr 0
		.amdhsa_user_sgpr_kernarg_segment_ptr 1
		.amdhsa_user_sgpr_dispatch_id 0
		.amdhsa_user_sgpr_kernarg_preload_length 0
		.amdhsa_user_sgpr_kernarg_preload_offset 0
		.amdhsa_user_sgpr_private_segment_size 0
		.amdhsa_uses_dynamic_stack 0
		.amdhsa_enable_private_segment 0
		.amdhsa_system_sgpr_workgroup_id_x 1
		.amdhsa_system_sgpr_workgroup_id_y 0
		.amdhsa_system_sgpr_workgroup_id_z 0
		.amdhsa_system_sgpr_workgroup_info 0
		.amdhsa_system_vgpr_workitem_id 0
		.amdhsa_next_free_vgpr 16
		.amdhsa_next_free_sgpr 18
		.amdhsa_accum_offset 16
		.amdhsa_reserve_vcc 1
		.amdhsa_float_round_mode_32 0
		.amdhsa_float_round_mode_16_64 0
		.amdhsa_float_denorm_mode_32 3
		.amdhsa_float_denorm_mode_16_64 3
		.amdhsa_dx10_clamp 1
		.amdhsa_ieee_mode 1
		.amdhsa_fp16_overflow 0
		.amdhsa_tg_split 0
		.amdhsa_exception_fp_ieee_invalid_op 0
		.amdhsa_exception_fp_denorm_src 0
		.amdhsa_exception_fp_ieee_div_zero 0
		.amdhsa_exception_fp_ieee_overflow 0
		.amdhsa_exception_fp_ieee_underflow 0
		.amdhsa_exception_fp_ieee_inexact 0
		.amdhsa_exception_int_div_zero 0
	.end_amdhsa_kernel
	.section	.text._ZN7rocprim17ROCPRIM_304000_NS6detail31onesweep_scan_histograms_kernelINS1_34wrapped_radix_sort_onesweep_configINS0_14default_configEfN2at4cuda3cub6detail10OpaqueTypeILi8EEEEEmEEvPT0_,"axG",@progbits,_ZN7rocprim17ROCPRIM_304000_NS6detail31onesweep_scan_histograms_kernelINS1_34wrapped_radix_sort_onesweep_configINS0_14default_configEfN2at4cuda3cub6detail10OpaqueTypeILi8EEEEEmEEvPT0_,comdat
.Lfunc_end129:
	.size	_ZN7rocprim17ROCPRIM_304000_NS6detail31onesweep_scan_histograms_kernelINS1_34wrapped_radix_sort_onesweep_configINS0_14default_configEfN2at4cuda3cub6detail10OpaqueTypeILi8EEEEEmEEvPT0_, .Lfunc_end129-_ZN7rocprim17ROCPRIM_304000_NS6detail31onesweep_scan_histograms_kernelINS1_34wrapped_radix_sort_onesweep_configINS0_14default_configEfN2at4cuda3cub6detail10OpaqueTypeILi8EEEEEmEEvPT0_
                                        ; -- End function
	.set _ZN7rocprim17ROCPRIM_304000_NS6detail31onesweep_scan_histograms_kernelINS1_34wrapped_radix_sort_onesweep_configINS0_14default_configEfN2at4cuda3cub6detail10OpaqueTypeILi8EEEEEmEEvPT0_.num_vgpr, 16
	.set _ZN7rocprim17ROCPRIM_304000_NS6detail31onesweep_scan_histograms_kernelINS1_34wrapped_radix_sort_onesweep_configINS0_14default_configEfN2at4cuda3cub6detail10OpaqueTypeILi8EEEEEmEEvPT0_.num_agpr, 0
	.set _ZN7rocprim17ROCPRIM_304000_NS6detail31onesweep_scan_histograms_kernelINS1_34wrapped_radix_sort_onesweep_configINS0_14default_configEfN2at4cuda3cub6detail10OpaqueTypeILi8EEEEEmEEvPT0_.numbered_sgpr, 18
	.set _ZN7rocprim17ROCPRIM_304000_NS6detail31onesweep_scan_histograms_kernelINS1_34wrapped_radix_sort_onesweep_configINS0_14default_configEfN2at4cuda3cub6detail10OpaqueTypeILi8EEEEEmEEvPT0_.num_named_barrier, 0
	.set _ZN7rocprim17ROCPRIM_304000_NS6detail31onesweep_scan_histograms_kernelINS1_34wrapped_radix_sort_onesweep_configINS0_14default_configEfN2at4cuda3cub6detail10OpaqueTypeILi8EEEEEmEEvPT0_.private_seg_size, 0
	.set _ZN7rocprim17ROCPRIM_304000_NS6detail31onesweep_scan_histograms_kernelINS1_34wrapped_radix_sort_onesweep_configINS0_14default_configEfN2at4cuda3cub6detail10OpaqueTypeILi8EEEEEmEEvPT0_.uses_vcc, 1
	.set _ZN7rocprim17ROCPRIM_304000_NS6detail31onesweep_scan_histograms_kernelINS1_34wrapped_radix_sort_onesweep_configINS0_14default_configEfN2at4cuda3cub6detail10OpaqueTypeILi8EEEEEmEEvPT0_.uses_flat_scratch, 0
	.set _ZN7rocprim17ROCPRIM_304000_NS6detail31onesweep_scan_histograms_kernelINS1_34wrapped_radix_sort_onesweep_configINS0_14default_configEfN2at4cuda3cub6detail10OpaqueTypeILi8EEEEEmEEvPT0_.has_dyn_sized_stack, 0
	.set _ZN7rocprim17ROCPRIM_304000_NS6detail31onesweep_scan_histograms_kernelINS1_34wrapped_radix_sort_onesweep_configINS0_14default_configEfN2at4cuda3cub6detail10OpaqueTypeILi8EEEEEmEEvPT0_.has_recursion, 0
	.set _ZN7rocprim17ROCPRIM_304000_NS6detail31onesweep_scan_histograms_kernelINS1_34wrapped_radix_sort_onesweep_configINS0_14default_configEfN2at4cuda3cub6detail10OpaqueTypeILi8EEEEEmEEvPT0_.has_indirect_call, 0
	.section	.AMDGPU.csdata,"",@progbits
; Kernel info:
; codeLenInByte = 928
; TotalNumSgprs: 24
; NumVgprs: 16
; NumAgprs: 0
; TotalNumVgprs: 16
; ScratchSize: 0
; MemoryBound: 0
; FloatMode: 240
; IeeeMode: 1
; LDSByteSize: 128 bytes/workgroup (compile time only)
; SGPRBlocks: 2
; VGPRBlocks: 1
; NumSGPRsForWavesPerEU: 24
; NumVGPRsForWavesPerEU: 16
; AccumOffset: 16
; Occupancy: 8
; WaveLimiterHint : 0
; COMPUTE_PGM_RSRC2:SCRATCH_EN: 0
; COMPUTE_PGM_RSRC2:USER_SGPR: 2
; COMPUTE_PGM_RSRC2:TRAP_HANDLER: 0
; COMPUTE_PGM_RSRC2:TGID_X_EN: 1
; COMPUTE_PGM_RSRC2:TGID_Y_EN: 0
; COMPUTE_PGM_RSRC2:TGID_Z_EN: 0
; COMPUTE_PGM_RSRC2:TIDIG_COMP_CNT: 0
; COMPUTE_PGM_RSRC3_GFX90A:ACCUM_OFFSET: 3
; COMPUTE_PGM_RSRC3_GFX90A:TG_SPLIT: 0
	.section	.text._ZN7rocprim17ROCPRIM_304000_NS6detail16transform_kernelINS1_24wrapped_transform_configINS0_14default_configEfEEfPKfPfNS0_8identityIfEEEEvT1_mT2_T3_,"axG",@progbits,_ZN7rocprim17ROCPRIM_304000_NS6detail16transform_kernelINS1_24wrapped_transform_configINS0_14default_configEfEEfPKfPfNS0_8identityIfEEEEvT1_mT2_T3_,comdat
	.protected	_ZN7rocprim17ROCPRIM_304000_NS6detail16transform_kernelINS1_24wrapped_transform_configINS0_14default_configEfEEfPKfPfNS0_8identityIfEEEEvT1_mT2_T3_ ; -- Begin function _ZN7rocprim17ROCPRIM_304000_NS6detail16transform_kernelINS1_24wrapped_transform_configINS0_14default_configEfEEfPKfPfNS0_8identityIfEEEEvT1_mT2_T3_
	.globl	_ZN7rocprim17ROCPRIM_304000_NS6detail16transform_kernelINS1_24wrapped_transform_configINS0_14default_configEfEEfPKfPfNS0_8identityIfEEEEvT1_mT2_T3_
	.p2align	8
	.type	_ZN7rocprim17ROCPRIM_304000_NS6detail16transform_kernelINS1_24wrapped_transform_configINS0_14default_configEfEEfPKfPfNS0_8identityIfEEEEvT1_mT2_T3_,@function
_ZN7rocprim17ROCPRIM_304000_NS6detail16transform_kernelINS1_24wrapped_transform_configINS0_14default_configEfEEfPKfPfNS0_8identityIfEEEEvT1_mT2_T3_: ; @_ZN7rocprim17ROCPRIM_304000_NS6detail16transform_kernelINS1_24wrapped_transform_configINS0_14default_configEfEEfPKfPfNS0_8identityIfEEEEvT1_mT2_T3_
; %bb.0:
	s_load_dword s3, s[0:1], 0x20
	s_load_dwordx4 s[4:7], s[0:1], 0x0
	s_load_dwordx2 s[8:9], s[0:1], 0x10
	s_lshl_b32 s0, s2, 8
	s_mov_b32 s1, 0
	s_waitcnt lgkmcnt(0)
	s_add_i32 s3, s3, -1
	s_lshl_b64 s[10:11], s[0:1], 2
	s_add_u32 s4, s4, s10
	s_addc_u32 s5, s5, s11
	v_mov_b32_e32 v3, 0
	v_lshlrev_b32_e32 v2, 2, v0
	s_cmp_lg_u32 s2, s3
	v_lshl_add_u64 v[4:5], s[4:5], 0, v[2:3]
	s_cbranch_scc0 .LBB130_2
; %bb.1:
	global_load_dword v3, v[4:5], off
	global_load_dword v1, v[4:5], off offset:512
	s_add_u32 s2, s8, s10
	s_addc_u32 s3, s9, s11
	s_waitcnt vmcnt(1)
	global_store_dword v2, v3, s[2:3]
	s_mov_b64 s[2:3], -1
	s_cbranch_execz .LBB130_3
	s_branch .LBB130_10
.LBB130_2:
	s_mov_b64 s[2:3], 0
                                        ; implicit-def: $vgpr1
.LBB130_3:
	s_sub_i32 s4, s6, s0
	v_mov_b32_e32 v6, 0
	v_cmp_gt_u32_e32 vcc, s4, v0
	v_mov_b32_e32 v7, v6
	s_and_saveexec_b64 s[0:1], vcc
	s_cbranch_execz .LBB130_5
; %bb.4:
	global_load_dword v8, v[4:5], off
	v_mov_b32_e32 v9, v6
	s_waitcnt vmcnt(0)
	v_mov_b64_e32 v[6:7], v[8:9]
.LBB130_5:
	s_or_b64 exec, exec, s[0:1]
	v_or_b32_e32 v0, 0x80, v0
	v_cmp_gt_u32_e64 s[0:1], s4, v0
	s_and_saveexec_b64 s[4:5], s[0:1]
	s_cbranch_execnz .LBB130_13
; %bb.6:
	s_or_b64 exec, exec, s[4:5]
	v_cndmask_b32_e32 v0, 0, v6, vcc
	s_and_saveexec_b64 s[4:5], vcc
	s_cbranch_execnz .LBB130_14
.LBB130_7:
	s_or_b64 exec, exec, s[4:5]
                                        ; implicit-def: $vgpr1
	s_and_saveexec_b64 s[4:5], s[0:1]
	s_cbranch_execz .LBB130_9
.LBB130_8:
	s_waitcnt vmcnt(0)
	v_cndmask_b32_e64 v1, 0, v7, s[0:1]
	s_or_b64 s[2:3], s[2:3], exec
.LBB130_9:
	s_or_b64 exec, exec, s[4:5]
.LBB130_10:
	s_and_saveexec_b64 s[0:1], s[2:3]
	s_cbranch_execnz .LBB130_12
; %bb.11:
	s_endpgm
.LBB130_12:
	s_add_u32 s0, s8, s10
	s_addc_u32 s1, s9, s11
	s_waitcnt vmcnt(1)
	global_store_dword v2, v1, s[0:1] offset:512
	s_endpgm
.LBB130_13:
	global_load_dword v7, v[4:5], off offset:512
	s_or_b64 exec, exec, s[4:5]
	v_cndmask_b32_e32 v0, 0, v6, vcc
	s_and_saveexec_b64 s[4:5], vcc
	s_cbranch_execz .LBB130_7
.LBB130_14:
	s_add_u32 s6, s8, s10
	s_addc_u32 s7, s9, s11
	global_store_dword v2, v0, s[6:7]
	s_or_b64 exec, exec, s[4:5]
                                        ; implicit-def: $vgpr1
	s_and_saveexec_b64 s[4:5], s[0:1]
	s_cbranch_execnz .LBB130_8
	s_branch .LBB130_9
	.section	.rodata,"a",@progbits
	.p2align	6, 0x0
	.amdhsa_kernel _ZN7rocprim17ROCPRIM_304000_NS6detail16transform_kernelINS1_24wrapped_transform_configINS0_14default_configEfEEfPKfPfNS0_8identityIfEEEEvT1_mT2_T3_
		.amdhsa_group_segment_fixed_size 0
		.amdhsa_private_segment_fixed_size 0
		.amdhsa_kernarg_size 288
		.amdhsa_user_sgpr_count 2
		.amdhsa_user_sgpr_dispatch_ptr 0
		.amdhsa_user_sgpr_queue_ptr 0
		.amdhsa_user_sgpr_kernarg_segment_ptr 1
		.amdhsa_user_sgpr_dispatch_id 0
		.amdhsa_user_sgpr_kernarg_preload_length 0
		.amdhsa_user_sgpr_kernarg_preload_offset 0
		.amdhsa_user_sgpr_private_segment_size 0
		.amdhsa_uses_dynamic_stack 0
		.amdhsa_enable_private_segment 0
		.amdhsa_system_sgpr_workgroup_id_x 1
		.amdhsa_system_sgpr_workgroup_id_y 0
		.amdhsa_system_sgpr_workgroup_id_z 0
		.amdhsa_system_sgpr_workgroup_info 0
		.amdhsa_system_vgpr_workitem_id 0
		.amdhsa_next_free_vgpr 10
		.amdhsa_next_free_sgpr 12
		.amdhsa_accum_offset 12
		.amdhsa_reserve_vcc 1
		.amdhsa_float_round_mode_32 0
		.amdhsa_float_round_mode_16_64 0
		.amdhsa_float_denorm_mode_32 3
		.amdhsa_float_denorm_mode_16_64 3
		.amdhsa_dx10_clamp 1
		.amdhsa_ieee_mode 1
		.amdhsa_fp16_overflow 0
		.amdhsa_tg_split 0
		.amdhsa_exception_fp_ieee_invalid_op 0
		.amdhsa_exception_fp_denorm_src 0
		.amdhsa_exception_fp_ieee_div_zero 0
		.amdhsa_exception_fp_ieee_overflow 0
		.amdhsa_exception_fp_ieee_underflow 0
		.amdhsa_exception_fp_ieee_inexact 0
		.amdhsa_exception_int_div_zero 0
	.end_amdhsa_kernel
	.section	.text._ZN7rocprim17ROCPRIM_304000_NS6detail16transform_kernelINS1_24wrapped_transform_configINS0_14default_configEfEEfPKfPfNS0_8identityIfEEEEvT1_mT2_T3_,"axG",@progbits,_ZN7rocprim17ROCPRIM_304000_NS6detail16transform_kernelINS1_24wrapped_transform_configINS0_14default_configEfEEfPKfPfNS0_8identityIfEEEEvT1_mT2_T3_,comdat
.Lfunc_end130:
	.size	_ZN7rocprim17ROCPRIM_304000_NS6detail16transform_kernelINS1_24wrapped_transform_configINS0_14default_configEfEEfPKfPfNS0_8identityIfEEEEvT1_mT2_T3_, .Lfunc_end130-_ZN7rocprim17ROCPRIM_304000_NS6detail16transform_kernelINS1_24wrapped_transform_configINS0_14default_configEfEEfPKfPfNS0_8identityIfEEEEvT1_mT2_T3_
                                        ; -- End function
	.set _ZN7rocprim17ROCPRIM_304000_NS6detail16transform_kernelINS1_24wrapped_transform_configINS0_14default_configEfEEfPKfPfNS0_8identityIfEEEEvT1_mT2_T3_.num_vgpr, 10
	.set _ZN7rocprim17ROCPRIM_304000_NS6detail16transform_kernelINS1_24wrapped_transform_configINS0_14default_configEfEEfPKfPfNS0_8identityIfEEEEvT1_mT2_T3_.num_agpr, 0
	.set _ZN7rocprim17ROCPRIM_304000_NS6detail16transform_kernelINS1_24wrapped_transform_configINS0_14default_configEfEEfPKfPfNS0_8identityIfEEEEvT1_mT2_T3_.numbered_sgpr, 12
	.set _ZN7rocprim17ROCPRIM_304000_NS6detail16transform_kernelINS1_24wrapped_transform_configINS0_14default_configEfEEfPKfPfNS0_8identityIfEEEEvT1_mT2_T3_.num_named_barrier, 0
	.set _ZN7rocprim17ROCPRIM_304000_NS6detail16transform_kernelINS1_24wrapped_transform_configINS0_14default_configEfEEfPKfPfNS0_8identityIfEEEEvT1_mT2_T3_.private_seg_size, 0
	.set _ZN7rocprim17ROCPRIM_304000_NS6detail16transform_kernelINS1_24wrapped_transform_configINS0_14default_configEfEEfPKfPfNS0_8identityIfEEEEvT1_mT2_T3_.uses_vcc, 1
	.set _ZN7rocprim17ROCPRIM_304000_NS6detail16transform_kernelINS1_24wrapped_transform_configINS0_14default_configEfEEfPKfPfNS0_8identityIfEEEEvT1_mT2_T3_.uses_flat_scratch, 0
	.set _ZN7rocprim17ROCPRIM_304000_NS6detail16transform_kernelINS1_24wrapped_transform_configINS0_14default_configEfEEfPKfPfNS0_8identityIfEEEEvT1_mT2_T3_.has_dyn_sized_stack, 0
	.set _ZN7rocprim17ROCPRIM_304000_NS6detail16transform_kernelINS1_24wrapped_transform_configINS0_14default_configEfEEfPKfPfNS0_8identityIfEEEEvT1_mT2_T3_.has_recursion, 0
	.set _ZN7rocprim17ROCPRIM_304000_NS6detail16transform_kernelINS1_24wrapped_transform_configINS0_14default_configEfEEfPKfPfNS0_8identityIfEEEEvT1_mT2_T3_.has_indirect_call, 0
	.section	.AMDGPU.csdata,"",@progbits
; Kernel info:
; codeLenInByte = 340
; TotalNumSgprs: 18
; NumVgprs: 10
; NumAgprs: 0
; TotalNumVgprs: 10
; ScratchSize: 0
; MemoryBound: 0
; FloatMode: 240
; IeeeMode: 1
; LDSByteSize: 0 bytes/workgroup (compile time only)
; SGPRBlocks: 2
; VGPRBlocks: 1
; NumSGPRsForWavesPerEU: 18
; NumVGPRsForWavesPerEU: 10
; AccumOffset: 12
; Occupancy: 8
; WaveLimiterHint : 1
; COMPUTE_PGM_RSRC2:SCRATCH_EN: 0
; COMPUTE_PGM_RSRC2:USER_SGPR: 2
; COMPUTE_PGM_RSRC2:TRAP_HANDLER: 0
; COMPUTE_PGM_RSRC2:TGID_X_EN: 1
; COMPUTE_PGM_RSRC2:TGID_Y_EN: 0
; COMPUTE_PGM_RSRC2:TGID_Z_EN: 0
; COMPUTE_PGM_RSRC2:TIDIG_COMP_CNT: 0
; COMPUTE_PGM_RSRC3_GFX90A:ACCUM_OFFSET: 2
; COMPUTE_PGM_RSRC3_GFX90A:TG_SPLIT: 0
	.section	.text._ZN7rocprim17ROCPRIM_304000_NS6detail25onesweep_iteration_kernelINS1_34wrapped_radix_sort_onesweep_configINS0_14default_configEfN2at4cuda3cub6detail10OpaqueTypeILi8EEEEELb1EPKfPfPKSA_PSA_mNS0_19identity_decomposerEEEvT1_T2_T3_T4_jPT5_SO_PNS1_23onesweep_lookback_stateET6_jjj,"axG",@progbits,_ZN7rocprim17ROCPRIM_304000_NS6detail25onesweep_iteration_kernelINS1_34wrapped_radix_sort_onesweep_configINS0_14default_configEfN2at4cuda3cub6detail10OpaqueTypeILi8EEEEELb1EPKfPfPKSA_PSA_mNS0_19identity_decomposerEEEvT1_T2_T3_T4_jPT5_SO_PNS1_23onesweep_lookback_stateET6_jjj,comdat
	.protected	_ZN7rocprim17ROCPRIM_304000_NS6detail25onesweep_iteration_kernelINS1_34wrapped_radix_sort_onesweep_configINS0_14default_configEfN2at4cuda3cub6detail10OpaqueTypeILi8EEEEELb1EPKfPfPKSA_PSA_mNS0_19identity_decomposerEEEvT1_T2_T3_T4_jPT5_SO_PNS1_23onesweep_lookback_stateET6_jjj ; -- Begin function _ZN7rocprim17ROCPRIM_304000_NS6detail25onesweep_iteration_kernelINS1_34wrapped_radix_sort_onesweep_configINS0_14default_configEfN2at4cuda3cub6detail10OpaqueTypeILi8EEEEELb1EPKfPfPKSA_PSA_mNS0_19identity_decomposerEEEvT1_T2_T3_T4_jPT5_SO_PNS1_23onesweep_lookback_stateET6_jjj
	.globl	_ZN7rocprim17ROCPRIM_304000_NS6detail25onesweep_iteration_kernelINS1_34wrapped_radix_sort_onesweep_configINS0_14default_configEfN2at4cuda3cub6detail10OpaqueTypeILi8EEEEELb1EPKfPfPKSA_PSA_mNS0_19identity_decomposerEEEvT1_T2_T3_T4_jPT5_SO_PNS1_23onesweep_lookback_stateET6_jjj
	.p2align	8
	.type	_ZN7rocprim17ROCPRIM_304000_NS6detail25onesweep_iteration_kernelINS1_34wrapped_radix_sort_onesweep_configINS0_14default_configEfN2at4cuda3cub6detail10OpaqueTypeILi8EEEEELb1EPKfPfPKSA_PSA_mNS0_19identity_decomposerEEEvT1_T2_T3_T4_jPT5_SO_PNS1_23onesweep_lookback_stateET6_jjj,@function
_ZN7rocprim17ROCPRIM_304000_NS6detail25onesweep_iteration_kernelINS1_34wrapped_radix_sort_onesweep_configINS0_14default_configEfN2at4cuda3cub6detail10OpaqueTypeILi8EEEEELb1EPKfPfPKSA_PSA_mNS0_19identity_decomposerEEEvT1_T2_T3_T4_jPT5_SO_PNS1_23onesweep_lookback_stateET6_jjj: ; @_ZN7rocprim17ROCPRIM_304000_NS6detail25onesweep_iteration_kernelINS1_34wrapped_radix_sort_onesweep_configINS0_14default_configEfN2at4cuda3cub6detail10OpaqueTypeILi8EEEEELb1EPKfPfPKSA_PSA_mNS0_19identity_decomposerEEEvT1_T2_T3_T4_jPT5_SO_PNS1_23onesweep_lookback_stateET6_jjj
; %bb.0:
	s_load_dwordx4 s[48:51], s[0:1], 0x44
	s_load_dwordx8 s[36:43], s[0:1], 0x0
	s_load_dwordx4 s[44:47], s[0:1], 0x28
	s_load_dwordx2 s[34:35], s[0:1], 0x38
	s_mov_b64 s[4:5], -1
	s_waitcnt lgkmcnt(0)
	s_cmp_ge_u32 s2, s50
	s_mul_i32 s30, s2, 0x1800
	v_mbcnt_lo_u32_b32 v1, -1, 0
	s_cbranch_scc0 .LBB131_96
; %bb.1:
	s_load_dword s3, s[0:1], 0x20
	s_mul_i32 s33, s50, 0xffffe800
	s_mov_b32 s31, 0
	s_lshl_b64 s[4:5], s[30:31], 2
	v_mbcnt_hi_u32_b32 v9, -1, v1
	s_waitcnt lgkmcnt(0)
	s_add_i32 s33, s33, s3
	s_add_u32 s4, s36, s4
	v_and_b32_e32 v2, 0x3c0, v0
	s_addc_u32 s5, s37, s5
	v_mul_u32_u24_e32 v18, 6, v2
	v_mov_b32_e32 v3, 0
	v_lshlrev_b32_e32 v2, 2, v9
	v_lshl_add_u64 v[4:5], s[4:5], 0, v[2:3]
	v_lshlrev_b32_e32 v2, 2, v18
	v_lshl_add_u64 v[10:11], v[4:5], 0, v[2:3]
	v_or_b32_e32 v12, v9, v18
	v_mov_b32_e32 v2, -1
	v_cmp_gt_u32_e32 vcc, s33, v12
	v_mov_b32_e32 v3, v2
	v_mov_b32_e32 v4, v2
	v_mov_b32_e32 v5, v2
	v_mov_b32_e32 v6, v2
	v_mov_b32_e32 v7, v2
	s_and_saveexec_b64 s[4:5], vcc
	s_cbranch_execz .LBB131_3
; %bb.2:
	global_load_dword v20, v[10:11], off
	v_mov_b32_e32 v21, v2
	v_mov_b32_e32 v22, v2
	;; [unrolled: 1-line block ×5, first 2 shown]
	s_waitcnt vmcnt(0)
	v_mov_b64_e32 v[2:3], v[20:21]
	v_mov_b64_e32 v[4:5], v[22:23]
	;; [unrolled: 1-line block ×3, first 2 shown]
.LBB131_3:
	s_or_b64 exec, exec, s[4:5]
	v_add_u32_e32 v8, 64, v12
	v_cmp_gt_u32_e64 s[26:27], s33, v8
	s_and_saveexec_b64 s[4:5], s[26:27]
	s_cbranch_execz .LBB131_5
; %bb.4:
	global_load_dword v3, v[10:11], off offset:256
.LBB131_5:
	s_or_b64 exec, exec, s[4:5]
	v_add_u32_e32 v8, 0x80, v12
	v_cmp_gt_u32_e64 s[4:5], s33, v8
	s_and_saveexec_b64 s[6:7], s[4:5]
	s_cbranch_execz .LBB131_7
; %bb.6:
	global_load_dword v4, v[10:11], off offset:512
.LBB131_7:
	;; [unrolled: 8-line block ×4, first 2 shown]
	s_or_b64 exec, exec, s[10:11]
	v_add_u32_e32 v12, 0x140, v12
	v_and_b32_e32 v8, 0x3ff, v0
	v_cmp_gt_u32_e64 s[10:11], s33, v12
	s_and_saveexec_b64 s[12:13], s[10:11]
	s_cbranch_execz .LBB131_13
; %bb.12:
	global_load_dword v7, v[10:11], off offset:1280
.LBB131_13:
	s_or_b64 exec, exec, s[12:13]
	s_load_dword s12, s[0:1], 0x5c
	s_load_dword s3, s[0:1], 0x50
	s_add_u32 s13, s0, 0x50
	s_addc_u32 s14, s1, 0
	v_mov_b32_e32 v11, 0
	s_waitcnt lgkmcnt(0)
	s_lshr_b32 s15, s12, 16
	s_cmp_lt_u32 s2, s3
	s_cselect_b32 s12, 12, 18
	s_add_u32 s12, s13, s12
	s_addc_u32 s13, s14, 0
	global_load_ushort v30, v11, s[12:13]
	v_bfrev_b32_e32 v19, -2
	v_cmp_gt_i32_e64 s[12:13], 0, v2
	s_brev_b32 s28, 1
	v_bfe_u32 v10, v0, 10, 10
	v_cndmask_b32_e64 v15, v19, 0, s[12:13]
	v_xor_b32_e32 v15, v15, v2
	v_cmp_ne_u32_e64 s[12:13], s28, v15
	v_bfe_u32 v13, v0, 20, 10
	v_mad_u32_u24 v31, v13, s15, v10
	v_cndmask_b32_e64 v2, v19, v15, s[12:13]
	v_lshrrev_b32_e32 v2, s48, v2
	s_lshl_b32 s12, -1, s49
	v_bitop3_b32 v2, v2, s12, v2 bitop3:0x30
	v_and_b32_e32 v10, 1, v2
	v_lshlrev_b32_e32 v13, 30, v2
	v_mov_b32_e32 v12, v11
	v_mov_b32_e32 v20, v11
	s_not_b32 s52, s12
	v_lshlrev_b32_e32 v17, 29, v2
	v_lshlrev_b32_e32 v21, 28, v2
	v_lshl_add_u64 v[28:29], v[10:11], 0, -1
	v_cmp_ne_u32_e64 s[12:13], 0, v10
	v_not_b32_e32 v10, v13
	v_mov_b32_e32 v16, v11
	v_mov_b32_e32 v22, v11
	v_lshlrev_b32_e32 v23, 27, v2
	v_cmp_gt_i64_e64 s[14:15], 0, v[12:13]
	v_not_b32_e32 v12, v17
	v_cmp_gt_i64_e64 s[18:19], 0, v[20:21]
	v_xor_b32_e32 v20, s13, v29
	v_ashrrev_i32_e32 v10, 31, v10
	v_cmp_gt_i64_e64 s[16:17], 0, v[16:17]
	v_not_b32_e32 v13, v21
	v_cmp_gt_i64_e64 s[20:21], 0, v[22:23]
	v_xor_b32_e32 v21, s12, v28
	v_ashrrev_i32_e32 v12, 31, v12
	v_and_b32_e32 v20, exec_hi, v20
	v_xor_b32_e32 v22, s15, v10
	v_mov_b32_e32 v24, v11
	v_lshlrev_b32_e32 v25, 26, v2
	v_not_b32_e32 v16, v23
	v_ashrrev_i32_e32 v13, 31, v13
	v_and_b32_e32 v21, exec_lo, v21
	v_xor_b32_e32 v10, s14, v10
	v_xor_b32_e32 v23, s17, v12
	v_and_b32_e32 v20, v20, v22
	v_cmp_gt_i64_e64 s[22:23], 0, v[24:25]
	v_not_b32_e32 v17, v25
	v_ashrrev_i32_e32 v16, 31, v16
	v_xor_b32_e32 v12, s16, v12
	v_xor_b32_e32 v24, s19, v13
	v_and_b32_e32 v10, v21, v10
	v_and_b32_e32 v20, v20, v23
	v_mov_b32_e32 v26, v11
	v_lshlrev_b32_e32 v27, 25, v2
	v_ashrrev_i32_e32 v17, 31, v17
	v_xor_b32_e32 v13, s18, v13
	v_xor_b32_e32 v25, s21, v16
	v_and_b32_e32 v10, v10, v12
	v_and_b32_e32 v12, v20, v24
	v_cmp_gt_i64_e64 s[24:25], 0, v[26:27]
	v_xor_b32_e32 v16, s20, v16
	v_xor_b32_e32 v26, s23, v17
	v_and_b32_e32 v10, v10, v13
	v_and_b32_e32 v12, v12, v25
	;; [unrolled: 1-line block ×4, first 2 shown]
	v_xor_b32_e32 v17, s22, v17
	s_movk_i32 s29, 0x44
	v_and_b32_e32 v10, v10, v17
	v_mul_lo_u32 v32, v2, s29
	v_mul_u32_u24_e32 v14, 20, v8
	ds_write2_b32 v14, v11, v11 offset0:16 offset1:17
	ds_write2_b32 v14, v11, v11 offset0:18 offset1:19
	ds_write_b32 v14, v11 offset:80
	s_waitcnt lgkmcnt(0)
	s_barrier
	s_waitcnt vmcnt(0)
	; wave barrier
	v_mad_u64_u32 v[12:13], s[12:13], v31, v30, v[8:9]
	v_lshrrev_b32_e32 v12, 4, v12
	v_and_b32_e32 v25, 0xffffffc, v12
	v_not_b32_e32 v12, v27
	v_ashrrev_i32_e32 v12, 31, v12
	v_xor_b32_e32 v13, s25, v12
	v_xor_b32_e32 v12, s24, v12
	v_and_b32_e32 v16, v16, v13
	v_lshlrev_b32_e32 v13, 24, v2
	v_and_b32_e32 v10, v10, v12
	v_mov_b32_e32 v12, v11
	v_not_b32_e32 v2, v13
	v_cmp_gt_i64_e64 s[12:13], 0, v[12:13]
	v_ashrrev_i32_e32 v2, 31, v2
	v_add_u32_e32 v17, v25, v32
	v_xor_b32_e32 v12, s13, v2
	v_xor_b32_e32 v2, s12, v2
	v_and_b32_e32 v13, v16, v12
	v_and_b32_e32 v12, v10, v2
	v_mbcnt_lo_u32_b32 v2, v12, 0
	v_mbcnt_hi_u32_b32 v16, v13, v2
	v_cmp_eq_u32_e64 s[12:13], 0, v16
	v_cmp_ne_u64_e64 s[14:15], 0, v[12:13]
	s_and_b64 s[14:15], s[14:15], s[12:13]
	s_and_saveexec_b64 s[12:13], s[14:15]
; %bb.14:
	v_bcnt_u32_b32 v2, v12, 0
	v_bcnt_u32_b32 v2, v13, v2
	ds_write_b32 v17, v2 offset:64
; %bb.15:
	s_or_b64 exec, exec, s[12:13]
	v_cmp_gt_i32_e64 s[12:13], 0, v3
	; wave barrier
	s_nop 1
	v_cndmask_b32_e64 v2, v19, 0, s[12:13]
	v_xor_b32_e32 v12, v2, v3
	v_cmp_ne_u32_e64 s[12:13], s28, v12
	s_nop 1
	v_cndmask_b32_e64 v2, v19, v12, s[12:13]
	v_lshrrev_b32_e32 v2, s48, v2
	v_and_b32_e32 v20, s52, v2
	v_mul_lo_u32 v2, v20, s29
	v_and_b32_e32 v10, 1, v20
	v_add_u32_e32 v19, v25, v2
	v_lshl_add_u64 v[2:3], v[10:11], 0, -1
	v_cmp_ne_u32_e64 s[12:13], 0, v10
	ds_read_b32 v13, v19 offset:64
	s_nop 0
	v_xor_b32_e32 v3, s13, v3
	v_xor_b32_e32 v2, s12, v2
	v_and_b32_e32 v10, exec_hi, v3
	v_and_b32_e32 v21, exec_lo, v2
	v_lshlrev_b32_e32 v3, 30, v20
	v_mov_b32_e32 v2, v11
	v_cmp_gt_i64_e64 s[12:13], 0, v[2:3]
	v_not_b32_e32 v2, v3
	v_ashrrev_i32_e32 v2, 31, v2
	v_xor_b32_e32 v3, s13, v2
	v_xor_b32_e32 v2, s12, v2
	v_and_b32_e32 v10, v10, v3
	v_and_b32_e32 v21, v21, v2
	v_lshlrev_b32_e32 v3, 29, v20
	v_mov_b32_e32 v2, v11
	v_cmp_gt_i64_e64 s[12:13], 0, v[2:3]
	v_not_b32_e32 v2, v3
	v_ashrrev_i32_e32 v2, 31, v2
	v_xor_b32_e32 v3, s13, v2
	v_xor_b32_e32 v2, s12, v2
	v_and_b32_e32 v10, v10, v3
	v_and_b32_e32 v21, v21, v2
	;; [unrolled: 9-line block ×7, first 2 shown]
	v_mbcnt_lo_u32_b32 v10, v2, 0
	v_mbcnt_hi_u32_b32 v20, v3, v10
	v_cmp_eq_u32_e64 s[12:13], 0, v20
	v_cmp_ne_u64_e64 s[14:15], 0, v[2:3]
	s_and_b64 s[14:15], s[14:15], s[12:13]
	; wave barrier
	s_and_saveexec_b64 s[12:13], s[14:15]
	s_cbranch_execz .LBB131_17
; %bb.16:
	v_bcnt_u32_b32 v2, v2, 0
	v_bcnt_u32_b32 v2, v3, v2
	s_waitcnt lgkmcnt(0)
	v_add_u32_e32 v2, v13, v2
	ds_write_b32 v19, v2 offset:64
.LBB131_17:
	s_or_b64 exec, exec, s[12:13]
	v_bfrev_b32_e32 v26, -2
	v_cmp_gt_i32_e64 s[12:13], 0, v4
	s_brev_b32 s16, 1
	s_movk_i32 s17, 0x44
	v_cndmask_b32_e64 v2, v26, 0, s[12:13]
	v_xor_b32_e32 v21, v2, v4
	v_cmp_ne_u32_e64 s[12:13], s16, v21
	v_mov_b32_e32 v3, 0
	s_nop 0
	v_cndmask_b32_e64 v2, v26, v21, s[12:13]
	v_lshrrev_b32_e32 v2, s48, v2
	v_and_b32_e32 v4, s52, v2
	v_mul_lo_u32 v2, v4, s17
	v_add_u32_e32 v23, v25, v2
	v_and_b32_e32 v2, 1, v4
	v_lshl_add_u64 v[10:11], v[2:3], 0, -1
	v_cmp_ne_u32_e64 s[12:13], 0, v2
	; wave barrier
	ds_read_b32 v22, v23 offset:64
	s_nop 0
	v_xor_b32_e32 v10, s12, v10
	v_xor_b32_e32 v2, s13, v11
	v_and_b32_e32 v24, exec_lo, v10
	v_lshlrev_b32_e32 v11, 30, v4
	v_mov_b32_e32 v10, v3
	v_cmp_gt_i64_e64 s[12:13], 0, v[10:11]
	v_not_b32_e32 v10, v11
	v_ashrrev_i32_e32 v10, 31, v10
	v_and_b32_e32 v2, exec_hi, v2
	v_xor_b32_e32 v11, s13, v10
	v_xor_b32_e32 v10, s12, v10
	v_and_b32_e32 v2, v2, v11
	v_and_b32_e32 v24, v24, v10
	v_lshlrev_b32_e32 v11, 29, v4
	v_mov_b32_e32 v10, v3
	v_cmp_gt_i64_e64 s[12:13], 0, v[10:11]
	v_not_b32_e32 v10, v11
	v_ashrrev_i32_e32 v10, 31, v10
	v_xor_b32_e32 v11, s13, v10
	v_xor_b32_e32 v10, s12, v10
	v_and_b32_e32 v2, v2, v11
	v_and_b32_e32 v24, v24, v10
	v_lshlrev_b32_e32 v11, 28, v4
	v_mov_b32_e32 v10, v3
	v_cmp_gt_i64_e64 s[12:13], 0, v[10:11]
	v_not_b32_e32 v10, v11
	v_ashrrev_i32_e32 v10, 31, v10
	;; [unrolled: 9-line block ×5, first 2 shown]
	v_xor_b32_e32 v11, s13, v10
	v_xor_b32_e32 v10, s12, v10
	v_and_b32_e32 v2, v2, v11
	v_lshlrev_b32_e32 v11, 24, v4
	v_and_b32_e32 v24, v24, v10
	v_mov_b32_e32 v10, v3
	v_not_b32_e32 v4, v11
	v_cmp_gt_i64_e64 s[12:13], 0, v[10:11]
	v_ashrrev_i32_e32 v4, 31, v4
	s_nop 0
	v_xor_b32_e32 v10, s13, v4
	v_xor_b32_e32 v4, s12, v4
	v_and_b32_e32 v11, v2, v10
	v_and_b32_e32 v10, v24, v4
	v_mbcnt_lo_u32_b32 v2, v10, 0
	v_mbcnt_hi_u32_b32 v24, v11, v2
	v_cmp_eq_u32_e64 s[12:13], 0, v24
	v_cmp_ne_u64_e64 s[14:15], 0, v[10:11]
	s_and_b64 s[14:15], s[14:15], s[12:13]
	; wave barrier
	s_and_saveexec_b64 s[12:13], s[14:15]
	s_cbranch_execz .LBB131_19
; %bb.18:
	v_bcnt_u32_b32 v2, v10, 0
	v_bcnt_u32_b32 v2, v11, v2
	s_waitcnt lgkmcnt(0)
	v_add_u32_e32 v2, v22, v2
	ds_write_b32 v23, v2 offset:64
.LBB131_19:
	s_or_b64 exec, exec, s[12:13]
	v_cmp_gt_i32_e64 s[12:13], 0, v5
	; wave barrier
	s_nop 1
	v_cndmask_b32_e64 v2, v26, 0, s[12:13]
	v_xor_b32_e32 v11, v2, v5
	v_cmp_ne_u32_e64 s[12:13], s16, v11
	s_nop 1
	v_cndmask_b32_e64 v2, v26, v11, s[12:13]
	v_lshrrev_b32_e32 v2, s48, v2
	v_and_b32_e32 v10, s52, v2
	v_mul_lo_u32 v2, v10, s17
	v_add_u32_e32 v26, v25, v2
	v_and_b32_e32 v2, 1, v10
	v_lshl_add_u64 v[4:5], v[2:3], 0, -1
	v_cmp_ne_u32_e64 s[12:13], 0, v2
	ds_read_b32 v28, v26 offset:64
	s_nop 0
	v_xor_b32_e32 v4, s12, v4
	v_xor_b32_e32 v2, s13, v5
	v_and_b32_e32 v27, exec_lo, v4
	v_lshlrev_b32_e32 v5, 30, v10
	v_mov_b32_e32 v4, v3
	v_cmp_gt_i64_e64 s[12:13], 0, v[4:5]
	v_not_b32_e32 v4, v5
	v_ashrrev_i32_e32 v4, 31, v4
	v_and_b32_e32 v2, exec_hi, v2
	v_xor_b32_e32 v5, s13, v4
	v_xor_b32_e32 v4, s12, v4
	v_and_b32_e32 v2, v2, v5
	v_and_b32_e32 v27, v27, v4
	v_lshlrev_b32_e32 v5, 29, v10
	v_mov_b32_e32 v4, v3
	v_cmp_gt_i64_e64 s[12:13], 0, v[4:5]
	v_not_b32_e32 v4, v5
	v_ashrrev_i32_e32 v4, 31, v4
	v_xor_b32_e32 v5, s13, v4
	v_xor_b32_e32 v4, s12, v4
	v_and_b32_e32 v2, v2, v5
	v_and_b32_e32 v27, v27, v4
	v_lshlrev_b32_e32 v5, 28, v10
	v_mov_b32_e32 v4, v3
	v_cmp_gt_i64_e64 s[12:13], 0, v[4:5]
	v_not_b32_e32 v4, v5
	v_ashrrev_i32_e32 v4, 31, v4
	;; [unrolled: 9-line block ×5, first 2 shown]
	v_xor_b32_e32 v5, s13, v4
	v_xor_b32_e32 v4, s12, v4
	v_and_b32_e32 v2, v2, v5
	v_lshlrev_b32_e32 v5, 24, v10
	v_and_b32_e32 v27, v27, v4
	v_mov_b32_e32 v4, v3
	v_not_b32_e32 v3, v5
	v_cmp_gt_i64_e64 s[12:13], 0, v[4:5]
	v_ashrrev_i32_e32 v3, 31, v3
	; wave barrier
	s_nop 0
	v_xor_b32_e32 v4, s13, v3
	v_xor_b32_e32 v5, s12, v3
	v_and_b32_e32 v3, v2, v4
	v_and_b32_e32 v2, v27, v5
	v_mbcnt_lo_u32_b32 v4, v2, 0
	v_mbcnt_hi_u32_b32 v29, v3, v4
	v_cmp_eq_u32_e64 s[12:13], 0, v29
	v_cmp_ne_u64_e64 s[14:15], 0, v[2:3]
	s_and_b64 s[14:15], s[14:15], s[12:13]
	s_and_saveexec_b64 s[12:13], s[14:15]
	s_cbranch_execz .LBB131_21
; %bb.20:
	v_bcnt_u32_b32 v2, v2, 0
	v_bcnt_u32_b32 v2, v3, v2
	s_waitcnt lgkmcnt(0)
	v_add_u32_e32 v2, v28, v2
	ds_write_b32 v26, v2 offset:64
.LBB131_21:
	s_or_b64 exec, exec, s[12:13]
	v_bfrev_b32_e32 v10, -2
	v_cmp_gt_i32_e64 s[12:13], 0, v6
	v_mov_b32_e32 v3, 0
	s_nop 0
	v_cndmask_b32_e64 v2, v10, 0, s[12:13]
	v_xor_b32_e32 v6, v2, v6
	v_cmp_ne_u32_e64 s[12:13], s16, v6
	; wave barrier
	s_nop 1
	v_cndmask_b32_e64 v2, v10, v6, s[12:13]
	v_lshrrev_b32_e32 v2, s48, v2
	v_and_b32_e32 v31, s52, v2
	v_mul_lo_u32 v2, v31, s17
	v_add_u32_e32 v27, v25, v2
	v_and_b32_e32 v2, 1, v31
	v_lshl_add_u64 v[4:5], v[2:3], 0, -1
	v_cmp_ne_u32_e64 s[12:13], 0, v2
	ds_read_b32 v30, v27 offset:64
	s_nop 0
	v_xor_b32_e32 v4, s12, v4
	v_xor_b32_e32 v2, s13, v5
	v_and_b32_e32 v32, exec_lo, v4
	v_lshlrev_b32_e32 v5, 30, v31
	v_mov_b32_e32 v4, v3
	v_cmp_gt_i64_e64 s[12:13], 0, v[4:5]
	v_not_b32_e32 v4, v5
	v_ashrrev_i32_e32 v4, 31, v4
	v_and_b32_e32 v2, exec_hi, v2
	v_xor_b32_e32 v5, s13, v4
	v_xor_b32_e32 v4, s12, v4
	v_and_b32_e32 v2, v2, v5
	v_and_b32_e32 v32, v32, v4
	v_lshlrev_b32_e32 v5, 29, v31
	v_mov_b32_e32 v4, v3
	v_cmp_gt_i64_e64 s[12:13], 0, v[4:5]
	v_not_b32_e32 v4, v5
	v_ashrrev_i32_e32 v4, 31, v4
	v_xor_b32_e32 v5, s13, v4
	v_xor_b32_e32 v4, s12, v4
	v_and_b32_e32 v2, v2, v5
	v_and_b32_e32 v32, v32, v4
	v_lshlrev_b32_e32 v5, 28, v31
	v_mov_b32_e32 v4, v3
	v_cmp_gt_i64_e64 s[12:13], 0, v[4:5]
	v_not_b32_e32 v4, v5
	v_ashrrev_i32_e32 v4, 31, v4
	;; [unrolled: 9-line block ×6, first 2 shown]
	v_xor_b32_e32 v5, s13, v4
	v_xor_b32_e32 v4, s12, v4
	v_and_b32_e32 v4, v32, v4
	v_and_b32_e32 v5, v2, v5
	v_mbcnt_lo_u32_b32 v2, v4, 0
	v_mbcnt_hi_u32_b32 v31, v5, v2
	v_cmp_eq_u32_e64 s[12:13], 0, v31
	v_cmp_ne_u64_e64 s[14:15], 0, v[4:5]
	s_and_b64 s[14:15], s[14:15], s[12:13]
	; wave barrier
	s_and_saveexec_b64 s[12:13], s[14:15]
	s_cbranch_execz .LBB131_23
; %bb.22:
	v_bcnt_u32_b32 v2, v4, 0
	v_bcnt_u32_b32 v2, v5, v2
	s_waitcnt lgkmcnt(0)
	v_add_u32_e32 v2, v30, v2
	ds_write_b32 v27, v2 offset:64
.LBB131_23:
	s_or_b64 exec, exec, s[12:13]
	v_cmp_gt_i32_e64 s[12:13], 0, v7
	; wave barrier
	s_nop 1
	v_cndmask_b32_e64 v2, v10, 0, s[12:13]
	v_xor_b32_e32 v32, v2, v7
	v_cmp_ne_u32_e64 s[12:13], s16, v32
	s_nop 1
	v_cndmask_b32_e64 v2, v10, v32, s[12:13]
	v_lshrrev_b32_e32 v2, s48, v2
	v_and_b32_e32 v10, s52, v2
	v_mul_lo_u32 v2, v10, s17
	v_add_u32_e32 v7, v25, v2
	v_and_b32_e32 v2, 1, v10
	v_lshl_add_u64 v[4:5], v[2:3], 0, -1
	v_cmp_ne_u32_e64 s[12:13], 0, v2
	ds_read_b32 v33, v7 offset:64
	s_nop 0
	v_xor_b32_e32 v4, s12, v4
	v_xor_b32_e32 v2, s13, v5
	v_and_b32_e32 v25, exec_lo, v4
	v_lshlrev_b32_e32 v5, 30, v10
	v_mov_b32_e32 v4, v3
	v_cmp_gt_i64_e64 s[12:13], 0, v[4:5]
	v_not_b32_e32 v4, v5
	v_ashrrev_i32_e32 v4, 31, v4
	v_and_b32_e32 v2, exec_hi, v2
	v_xor_b32_e32 v5, s13, v4
	v_xor_b32_e32 v4, s12, v4
	v_and_b32_e32 v2, v2, v5
	v_and_b32_e32 v25, v25, v4
	v_lshlrev_b32_e32 v5, 29, v10
	v_mov_b32_e32 v4, v3
	v_cmp_gt_i64_e64 s[12:13], 0, v[4:5]
	v_not_b32_e32 v4, v5
	v_ashrrev_i32_e32 v4, 31, v4
	v_xor_b32_e32 v5, s13, v4
	v_xor_b32_e32 v4, s12, v4
	v_and_b32_e32 v2, v2, v5
	v_and_b32_e32 v25, v25, v4
	v_lshlrev_b32_e32 v5, 28, v10
	v_mov_b32_e32 v4, v3
	v_cmp_gt_i64_e64 s[12:13], 0, v[4:5]
	v_not_b32_e32 v4, v5
	v_ashrrev_i32_e32 v4, 31, v4
	;; [unrolled: 9-line block ×5, first 2 shown]
	v_xor_b32_e32 v5, s13, v4
	v_xor_b32_e32 v4, s12, v4
	v_and_b32_e32 v2, v2, v5
	v_lshlrev_b32_e32 v5, 24, v10
	v_and_b32_e32 v25, v25, v4
	v_mov_b32_e32 v4, v3
	v_not_b32_e32 v3, v5
	v_cmp_gt_i64_e64 s[12:13], 0, v[4:5]
	v_ashrrev_i32_e32 v3, 31, v3
	; wave barrier
	s_nop 0
	v_xor_b32_e32 v4, s13, v3
	v_xor_b32_e32 v5, s12, v3
	v_and_b32_e32 v3, v2, v4
	v_and_b32_e32 v2, v25, v5
	v_mbcnt_lo_u32_b32 v4, v2, 0
	v_mbcnt_hi_u32_b32 v34, v3, v4
	v_cmp_eq_u32_e64 s[12:13], 0, v34
	v_cmp_ne_u64_e64 s[14:15], 0, v[2:3]
	s_and_b64 s[14:15], s[14:15], s[12:13]
	s_and_saveexec_b64 s[12:13], s[14:15]
	s_cbranch_execz .LBB131_25
; %bb.24:
	v_bcnt_u32_b32 v2, v2, 0
	v_bcnt_u32_b32 v2, v3, v2
	s_waitcnt lgkmcnt(0)
	v_add_u32_e32 v2, v33, v2
	ds_write_b32 v7, v2 offset:64
.LBB131_25:
	s_or_b64 exec, exec, s[12:13]
	; wave barrier
	s_waitcnt lgkmcnt(0)
	s_barrier
	ds_read2_b32 v[4:5], v14 offset0:16 offset1:17
	ds_read2_b32 v[2:3], v14 offset0:18 offset1:19
	ds_read_b32 v10, v14 offset:80
	v_cmp_lt_u32_e64 s[20:21], 31, v9
	s_waitcnt lgkmcnt(1)
	v_add3_u32 v25, v5, v4, v2
	s_waitcnt lgkmcnt(0)
	v_add3_u32 v10, v25, v3, v10
	v_and_b32_e32 v25, 15, v9
	v_cmp_eq_u32_e64 s[12:13], 0, v25
	v_mov_b32_dpp v35, v10 row_shr:1 row_mask:0xf bank_mask:0xf
	v_cmp_lt_u32_e64 s[14:15], 1, v25
	v_cndmask_b32_e64 v35, v35, 0, s[12:13]
	v_add_u32_e32 v10, v35, v10
	v_cmp_lt_u32_e64 s[16:17], 3, v25
	v_cmp_lt_u32_e64 s[18:19], 7, v25
	v_mov_b32_dpp v35, v10 row_shr:2 row_mask:0xf bank_mask:0xf
	v_cndmask_b32_e64 v35, 0, v35, s[14:15]
	v_add_u32_e32 v10, v10, v35
	s_nop 1
	v_mov_b32_dpp v35, v10 row_shr:4 row_mask:0xf bank_mask:0xf
	v_cndmask_b32_e64 v35, 0, v35, s[16:17]
	v_add_u32_e32 v10, v10, v35
	s_nop 1
	v_mov_b32_dpp v35, v10 row_shr:8 row_mask:0xf bank_mask:0xf
	v_cndmask_b32_e64 v25, 0, v35, s[18:19]
	v_add_u32_e32 v10, v10, v25
	v_bfe_i32 v35, v9, 4, 1
	s_nop 0
	v_mov_b32_dpp v25, v10 row_bcast:15 row_mask:0xf bank_mask:0xf
	v_and_b32_e32 v25, v35, v25
	v_add_u32_e32 v10, v10, v25
	v_lshrrev_b32_e32 v35, 6, v8
	s_nop 0
	v_mov_b32_dpp v25, v10 row_bcast:31 row_mask:0xf bank_mask:0xf
	v_cndmask_b32_e64 v25, 0, v25, s[20:21]
	v_add_u32_e32 v25, v10, v25
	v_and_b32_e32 v10, 63, v8
	v_cmp_eq_u32_e64 s[20:21], 63, v10
	s_and_saveexec_b64 s[22:23], s[20:21]
; %bb.26:
	v_lshlrev_b32_e32 v10, 2, v35
	ds_write_b32 v10, v25
; %bb.27:
	s_or_b64 exec, exec, s[22:23]
	v_cmp_gt_u32_e64 s[20:21], 16, v8
	v_lshlrev_b32_e32 v10, 2, v8
	s_waitcnt lgkmcnt(0)
	s_barrier
	s_and_saveexec_b64 s[22:23], s[20:21]
	s_cbranch_execz .LBB131_29
; %bb.28:
	ds_read_b32 v36, v10
	s_waitcnt lgkmcnt(0)
	s_nop 0
	v_mov_b32_dpp v37, v36 row_shr:1 row_mask:0xf bank_mask:0xf
	v_cndmask_b32_e64 v37, v37, 0, s[12:13]
	v_add_u32_e32 v36, v37, v36
	s_nop 1
	v_mov_b32_dpp v37, v36 row_shr:2 row_mask:0xf bank_mask:0xf
	v_cndmask_b32_e64 v37, 0, v37, s[14:15]
	v_add_u32_e32 v36, v36, v37
	;; [unrolled: 4-line block ×4, first 2 shown]
	ds_write_b32 v10, v36
.LBB131_29:
	s_or_b64 exec, exec, s[22:23]
	v_cmp_lt_u32_e64 s[12:13], 63, v8
	v_mov_b32_e32 v36, 0
	s_waitcnt lgkmcnt(0)
	s_barrier
	s_and_saveexec_b64 s[14:15], s[12:13]
; %bb.30:
	v_lshl_add_u32 v35, v35, 2, -4
	ds_read_b32 v36, v35
; %bb.31:
	s_or_b64 exec, exec, s[14:15]
	v_add_u32_e32 v35, -1, v9
	v_and_b32_e32 v37, 64, v9
	v_cmp_lt_i32_e64 s[12:13], v35, v37
	s_waitcnt lgkmcnt(0)
	v_add_u32_e32 v25, v36, v25
	s_movk_i32 s16, 0x100
	v_cndmask_b32_e64 v35, v35, v9, s[12:13]
	v_lshlrev_b32_e32 v35, 2, v35
	ds_bpermute_b32 v25, v35, v25
	v_cmp_eq_u32_e64 s[12:13], 0, v9
	v_cmp_gt_u32_e64 s[14:15], s16, v8
	s_waitcnt lgkmcnt(0)
	v_cndmask_b32_e64 v25, v25, v36, s[12:13]
	v_cmp_ne_u32_e64 s[12:13], 0, v8
	s_nop 1
	v_cndmask_b32_e64 v25, 0, v25, s[12:13]
	v_add_u32_e32 v4, v25, v4
	v_add_u32_e32 v5, v4, v5
	;; [unrolled: 1-line block ×4, first 2 shown]
	ds_write2_b32 v14, v25, v4 offset0:16 offset1:17
	ds_write2_b32 v14, v5, v2 offset0:18 offset1:19
	ds_write_b32 v14, v3 offset:80
	s_waitcnt lgkmcnt(0)
	s_barrier
	ds_read_b32 v5, v17 offset:64
	ds_read_b32 v14, v19 offset:64
	;; [unrolled: 1-line block ×6, first 2 shown]
	s_movk_i32 s12, 0xff
	v_cmp_lt_u32_e64 s[12:13], s12, v8
	v_mov_b64_e32 v[2:3], 0
                                        ; implicit-def: $vgpr4
	s_and_saveexec_b64 s[18:19], s[14:15]
	s_cbranch_execz .LBB131_35
; %bb.32:
	v_mul_u32_u24_e32 v2, 0x44, v8
	ds_read_b32 v2, v2 offset:64
	v_add_u32_e32 v4, 1, v8
	v_cmp_ne_u32_e64 s[16:17], s16, v4
	v_mov_b32_e32 v3, 0x1800
	s_and_saveexec_b64 s[20:21], s[16:17]
; %bb.33:
	v_mul_u32_u24_e32 v3, 0x44, v4
	ds_read_b32 v3, v3 offset:64
; %bb.34:
	s_or_b64 exec, exec, s[20:21]
	s_waitcnt lgkmcnt(0)
	v_sub_u32_e32 v4, v3, v2
	v_mov_b32_e32 v3, 0
.LBB131_35:
	s_or_b64 exec, exec, s[18:19]
	s_waitcnt lgkmcnt(5)
	v_add_u32_e32 v27, v5, v16
	s_waitcnt lgkmcnt(4)
	v_add3_u32 v26, v20, v13, v14
	v_lshlrev_b32_e32 v13, 2, v27
	s_waitcnt lgkmcnt(3)
	v_add3_u32 v25, v24, v22, v17
	s_waitcnt lgkmcnt(0)
	s_barrier
	ds_write_b32 v13, v15 offset:2048
	v_lshlrev_b32_e32 v13, 2, v26
	v_add3_u32 v24, v29, v28, v19
	ds_write_b32 v13, v12 offset:2048
	v_lshlrev_b32_e32 v12, 2, v25
	v_add3_u32 v7, v31, v30, v23
	ds_write_b32 v12, v21 offset:2048
	v_lshlrev_b32_e32 v12, 2, v24
	v_add3_u32 v5, v34, v33, v35
	ds_write_b32 v12, v11 offset:2048
	v_lshlrev_b32_e32 v11, 2, v7
	ds_write_b32 v11, v6 offset:2048
	v_lshlrev_b32_e32 v6, 2, v5
	ds_write_b32 v6, v32 offset:2048
	v_mov_b32_e32 v13, 0
	v_lshlrev_b32_e32 v6, 3, v8
	s_waitcnt lgkmcnt(0)
	s_barrier
	s_and_saveexec_b64 s[16:17], s[14:15]
	s_cbranch_execz .LBB131_45
; %bb.36:
	v_lshl_add_u32 v12, s2, 8, v8
	v_lshl_add_u64 v[14:15], v[12:13], 2, s[34:35]
	v_or_b32_e32 v11, 2.0, v4
	global_store_dword v[14:15], v11, off sc1
	s_mov_b64 s[18:19], 0
	s_brev_b32 s24, -4
	s_mov_b32 s25, s2
	v_mov_b32_e32 v11, 0
                                        ; implicit-def: $sgpr14_sgpr15
	s_branch .LBB131_39
.LBB131_37:                             ;   in Loop: Header=BB131_39 Depth=1
	s_or_b64 exec, exec, s[22:23]
.LBB131_38:                             ;   in Loop: Header=BB131_39 Depth=1
	s_or_b64 exec, exec, s[20:21]
	v_and_b32_e32 v16, 0x3fffffff, v12
	v_add_u32_e32 v11, v16, v11
	v_cmp_gt_i32_e64 s[14:15], -2.0, v12
	s_and_b64 s[20:21], exec, s[14:15]
	s_or_b64 s[18:19], s[20:21], s[18:19]
	s_andn2_b64 exec, exec, s[18:19]
	s_cbranch_execz .LBB131_44
.LBB131_39:                             ; =>This Loop Header: Depth=1
                                        ;     Child Loop BB131_42 Depth 2
	s_or_b64 s[14:15], s[14:15], exec
	s_cmp_eq_u32 s25, 0
	s_cbranch_scc1 .LBB131_43
; %bb.40:                               ;   in Loop: Header=BB131_39 Depth=1
	s_add_i32 s25, s25, -1
	v_lshl_or_b32 v12, s25, 8, v8
	v_lshl_add_u64 v[16:17], v[12:13], 2, s[34:35]
	global_load_dword v12, v[16:17], off sc1
	s_waitcnt vmcnt(0)
	v_cmp_gt_u32_e64 s[14:15], 2.0, v12
	s_and_saveexec_b64 s[20:21], s[14:15]
	s_cbranch_execz .LBB131_38
; %bb.41:                               ;   in Loop: Header=BB131_39 Depth=1
	s_mov_b64 s[22:23], 0
.LBB131_42:                             ;   Parent Loop BB131_39 Depth=1
                                        ; =>  This Inner Loop Header: Depth=2
	global_load_dword v12, v[16:17], off sc1
	s_waitcnt vmcnt(0)
	v_cmp_lt_u32_e64 s[14:15], s24, v12
	s_or_b64 s[22:23], s[14:15], s[22:23]
	s_andn2_b64 exec, exec, s[22:23]
	s_cbranch_execnz .LBB131_42
	s_branch .LBB131_37
.LBB131_43:                             ;   in Loop: Header=BB131_39 Depth=1
                                        ; implicit-def: $sgpr25
	s_and_b64 s[20:21], exec, s[14:15]
	s_or_b64 s[18:19], s[20:21], s[18:19]
	s_andn2_b64 exec, exec, s[18:19]
	s_cbranch_execnz .LBB131_39
.LBB131_44:
	s_or_b64 exec, exec, s[18:19]
	v_add_u32_e32 v12, v11, v4
	v_or_b32_e32 v12, 0x80000000, v12
	global_store_dword v[14:15], v12, off sc1
	global_load_dwordx2 v[12:13], v6, s[44:45]
	v_sub_co_u32_e64 v14, s[14:15], v11, v2
	s_nop 1
	v_subb_co_u32_e64 v15, s[14:15], 0, v3, s[14:15]
	s_waitcnt vmcnt(0)
	v_lshl_add_u64 v[12:13], v[14:15], 0, v[12:13]
	ds_write_b64 v6, v[12:13]
.LBB131_45:
	s_or_b64 exec, exec, s[16:17]
	v_cmp_gt_u32_e64 s[14:15], s33, v8
	s_waitcnt lgkmcnt(0)
	s_barrier
	s_and_saveexec_b64 s[18:19], s[14:15]
	s_cbranch_execz .LBB131_47
; %bb.46:
	v_sub_u32_e32 v11, v6, v10
	ds_read_b32 v11, v11 offset:2048
	s_brev_b32 s16, 1
	v_bfrev_b32_e32 v14, -2
	s_waitcnt lgkmcnt(0)
	v_cmp_ne_u32_e64 s[16:17], s16, v11
	s_nop 1
	v_cndmask_b32_e64 v12, v14, v11, s[16:17]
	v_lshrrev_b32_e32 v12, s48, v12
	v_and_b32_e32 v12, s52, v12
	v_lshlrev_b32_e32 v12, 3, v12
	ds_read_b64 v[12:13], v12
	v_cmp_gt_i32_e64 s[16:17], 0, v11
	s_waitcnt lgkmcnt(0)
	v_lshl_add_u64 v[12:13], v[12:13], 2, s[38:39]
	v_cndmask_b32_e64 v14, v14, 0, s[16:17]
	v_xor_b32_e32 v14, v14, v11
	v_mov_b32_e32 v11, 0
	v_lshl_add_u64 v[12:13], v[12:13], 0, v[10:11]
	global_store_dword v[12:13], v14, off
.LBB131_47:
	s_or_b64 exec, exec, s[18:19]
	v_or_b32_e32 v11, 0x400, v8
	v_cmp_gt_u32_e64 s[16:17], s33, v11
	s_and_saveexec_b64 s[20:21], s[16:17]
	s_cbranch_execz .LBB131_49
; %bb.48:
	v_sub_u32_e32 v12, v6, v10
	ds_read_b32 v15, v12 offset:6144
	s_brev_b32 s18, 1
	v_bfrev_b32_e32 v16, -2
	v_lshlrev_b32_e32 v14, 2, v11
	s_waitcnt lgkmcnt(0)
	v_cmp_ne_u32_e64 s[18:19], s18, v15
	s_nop 1
	v_cndmask_b32_e64 v12, v16, v15, s[18:19]
	v_lshrrev_b32_e32 v12, s48, v12
	v_and_b32_e32 v12, s52, v12
	v_lshlrev_b32_e32 v12, 3, v12
	ds_read_b64 v[12:13], v12
	v_cmp_gt_i32_e64 s[18:19], 0, v15
	s_waitcnt lgkmcnt(0)
	v_lshl_add_u64 v[12:13], v[12:13], 2, s[38:39]
	v_cndmask_b32_e64 v16, v16, 0, s[18:19]
	v_xor_b32_e32 v16, v16, v15
	v_mov_b32_e32 v15, 0
	v_lshl_add_u64 v[12:13], v[12:13], 0, v[14:15]
	global_store_dword v[12:13], v16, off
.LBB131_49:
	s_or_b64 exec, exec, s[20:21]
	v_or_b32_e32 v28, 0x800, v8
	v_cmp_gt_u32_e64 s[18:19], s33, v28
	s_and_saveexec_b64 s[22:23], s[18:19]
	s_cbranch_execz .LBB131_51
; %bb.50:
	v_sub_u32_e32 v12, v6, v10
	ds_read_b32 v15, v12 offset:10240
	s_brev_b32 s20, 1
	v_bfrev_b32_e32 v16, -2
	v_lshlrev_b32_e32 v14, 2, v28
	s_waitcnt lgkmcnt(0)
	v_cmp_ne_u32_e64 s[20:21], s20, v15
	s_nop 1
	v_cndmask_b32_e64 v12, v16, v15, s[20:21]
	v_lshrrev_b32_e32 v12, s48, v12
	v_and_b32_e32 v12, s52, v12
	v_lshlrev_b32_e32 v12, 3, v12
	ds_read_b64 v[12:13], v12
	v_cmp_gt_i32_e64 s[20:21], 0, v15
	s_waitcnt lgkmcnt(0)
	v_lshl_add_u64 v[12:13], v[12:13], 2, s[38:39]
	v_cndmask_b32_e64 v16, v16, 0, s[20:21]
	v_xor_b32_e32 v16, v16, v15
	v_mov_b32_e32 v15, 0
	v_lshl_add_u64 v[12:13], v[12:13], 0, v[14:15]
	global_store_dword v[12:13], v16, off
.LBB131_51:
	;; [unrolled: 28-line block ×5, first 2 shown]
	s_or_b64 exec, exec, s[50:51]
	s_lshl_b64 s[28:29], s[30:31], 3
	s_add_u32 s28, s40, s28
	s_addc_u32 s29, s41, s29
	v_lshlrev_b32_e32 v8, 3, v9
	v_mov_b32_e32 v9, 0
	v_lshl_add_u64 v[12:13], s[28:29], 0, v[8:9]
	v_lshlrev_b32_e32 v8, 3, v18
	v_lshl_add_u64 v[22:23], v[12:13], 0, v[8:9]
                                        ; implicit-def: $vgpr8_vgpr9
	s_and_saveexec_b64 s[28:29], vcc
	s_xor_b64 s[28:29], exec, s[28:29]
	s_cbranch_execz .LBB131_63
; %bb.58:
	global_load_dwordx2 v[8:9], v[22:23], off
	s_or_b64 exec, exec, s[28:29]
                                        ; implicit-def: $vgpr12_vgpr13
	s_and_saveexec_b64 s[28:29], s[26:27]
	s_cbranch_execnz .LBB131_64
.LBB131_59:
	s_or_b64 exec, exec, s[28:29]
                                        ; implicit-def: $vgpr14_vgpr15
	s_and_saveexec_b64 s[26:27], s[4:5]
	s_cbranch_execz .LBB131_65
.LBB131_60:
	global_load_dwordx2 v[14:15], v[22:23], off offset:1024
	s_or_b64 exec, exec, s[26:27]
                                        ; implicit-def: $vgpr16_vgpr17
	s_and_saveexec_b64 s[4:5], s[6:7]
	s_cbranch_execnz .LBB131_66
.LBB131_61:
	s_or_b64 exec, exec, s[4:5]
                                        ; implicit-def: $vgpr18_vgpr19
	s_and_saveexec_b64 s[4:5], s[8:9]
	s_cbranch_execz .LBB131_67
.LBB131_62:
	global_load_dwordx2 v[18:19], v[22:23], off offset:2048
	s_or_b64 exec, exec, s[4:5]
                                        ; implicit-def: $vgpr20_vgpr21
	s_and_saveexec_b64 s[4:5], s[10:11]
	s_cbranch_execnz .LBB131_68
	s_branch .LBB131_69
.LBB131_63:
	s_or_b64 exec, exec, s[28:29]
                                        ; implicit-def: $vgpr12_vgpr13
	s_and_saveexec_b64 s[28:29], s[26:27]
	s_cbranch_execz .LBB131_59
.LBB131_64:
	global_load_dwordx2 v[12:13], v[22:23], off offset:512
	s_or_b64 exec, exec, s[28:29]
                                        ; implicit-def: $vgpr14_vgpr15
	s_and_saveexec_b64 s[26:27], s[4:5]
	s_cbranch_execnz .LBB131_60
.LBB131_65:
	s_or_b64 exec, exec, s[26:27]
                                        ; implicit-def: $vgpr16_vgpr17
	s_and_saveexec_b64 s[4:5], s[6:7]
	s_cbranch_execz .LBB131_61
.LBB131_66:
	global_load_dwordx2 v[16:17], v[22:23], off offset:1536
	s_or_b64 exec, exec, s[4:5]
                                        ; implicit-def: $vgpr18_vgpr19
	s_and_saveexec_b64 s[4:5], s[8:9]
	s_cbranch_execnz .LBB131_62
.LBB131_67:
	s_or_b64 exec, exec, s[4:5]
                                        ; implicit-def: $vgpr20_vgpr21
	s_and_saveexec_b64 s[4:5], s[10:11]
	s_cbranch_execz .LBB131_69
.LBB131_68:
	global_load_dwordx2 v[20:21], v[22:23], off offset:2560
.LBB131_69:
	s_or_b64 exec, exec, s[4:5]
	v_mov_b32_e32 v22, 0
	v_mov_b32_e32 v33, 0
	s_and_saveexec_b64 s[4:5], s[14:15]
	s_cbranch_execz .LBB131_71
; %bb.70:
	v_sub_u32_e32 v23, v6, v10
	ds_read_b32 v23, v23 offset:2048
	s_brev_b32 s6, 1
	v_bfrev_b32_e32 v32, -2
	s_waitcnt lgkmcnt(0)
	v_cmp_ne_u32_e32 vcc, s6, v23
	s_nop 1
	v_cndmask_b32_e32 v23, v32, v23, vcc
	v_lshrrev_b32_e32 v23, s48, v23
	v_and_b32_e32 v33, s52, v23
.LBB131_71:
	s_or_b64 exec, exec, s[4:5]
	s_and_saveexec_b64 s[4:5], s[16:17]
	s_cbranch_execz .LBB131_73
; %bb.72:
	v_sub_u32_e32 v22, v6, v10
	ds_read_b32 v22, v22 offset:6144
	s_brev_b32 s6, 1
	v_bfrev_b32_e32 v23, -2
	s_waitcnt lgkmcnt(0)
	v_cmp_ne_u32_e32 vcc, s6, v22
	s_nop 1
	v_cndmask_b32_e32 v22, v23, v22, vcc
	v_lshrrev_b32_e32 v22, s48, v22
	v_and_b32_e32 v22, s52, v22
.LBB131_73:
	s_or_b64 exec, exec, s[4:5]
	v_mov_b32_e32 v23, 0
	v_mov_b32_e32 v34, 0
	s_and_saveexec_b64 s[4:5], s[18:19]
	s_cbranch_execz .LBB131_75
; %bb.74:
	v_sub_u32_e32 v32, v6, v10
	ds_read_b32 v32, v32 offset:10240
	s_brev_b32 s6, 1
	v_bfrev_b32_e32 v34, -2
	s_waitcnt lgkmcnt(0)
	v_cmp_ne_u32_e32 vcc, s6, v32
	s_nop 1
	v_cndmask_b32_e32 v32, v34, v32, vcc
	v_lshrrev_b32_e32 v32, s48, v32
	v_and_b32_e32 v34, s52, v32
.LBB131_75:
	s_or_b64 exec, exec, s[4:5]
	s_and_saveexec_b64 s[4:5], s[20:21]
	s_cbranch_execz .LBB131_77
; %bb.76:
	v_sub_u32_e32 v23, v6, v10
	ds_read_b32 v23, v23 offset:14336
	s_brev_b32 s6, 1
	v_bfrev_b32_e32 v32, -2
	s_waitcnt lgkmcnt(0)
	v_cmp_ne_u32_e32 vcc, s6, v23
	s_nop 1
	v_cndmask_b32_e32 v23, v32, v23, vcc
	v_lshrrev_b32_e32 v23, s48, v23
	v_and_b32_e32 v23, s52, v23
.LBB131_77:
	;; [unrolled: 32-line block ×3, first 2 shown]
	s_or_b64 exec, exec, s[4:5]
	v_lshlrev_b32_e32 v10, 3, v27
	s_barrier
	s_waitcnt vmcnt(0)
	ds_write_b64 v10, v[8:9] offset:2048
	v_lshlrev_b32_e32 v8, 3, v26
	ds_write_b64 v8, v[12:13] offset:2048
	v_lshlrev_b32_e32 v8, 3, v25
	;; [unrolled: 2-line block ×3, first 2 shown]
	v_lshlrev_b32_e32 v7, 3, v7
	v_lshlrev_b32_e32 v5, 3, v5
	ds_write_b64 v8, v[16:17] offset:2048
	ds_write_b64 v7, v[18:19] offset:2048
	;; [unrolled: 1-line block ×3, first 2 shown]
	s_waitcnt lgkmcnt(0)
	s_barrier
	s_and_saveexec_b64 s[4:5], s[14:15]
	s_cbranch_execz .LBB131_87
; %bb.82:
	v_lshlrev_b32_e32 v5, 3, v33
	ds_read_b64 v[8:9], v5
	ds_read_b64 v[12:13], v6 offset:2048
	v_mov_b32_e32 v7, 0
	s_waitcnt lgkmcnt(1)
	v_lshl_add_u64 v[8:9], v[8:9], 3, s[42:43]
	v_lshl_add_u64 v[8:9], v[8:9], 0, v[6:7]
	s_waitcnt lgkmcnt(0)
	global_store_dwordx2 v[8:9], v[12:13], off
	s_or_b64 exec, exec, s[4:5]
	s_and_saveexec_b64 s[4:5], s[16:17]
	s_cbranch_execnz .LBB131_88
.LBB131_83:
	s_or_b64 exec, exec, s[4:5]
	s_and_saveexec_b64 s[4:5], s[18:19]
	s_cbranch_execz .LBB131_89
.LBB131_84:
	v_lshlrev_b32_e32 v5, 3, v34
	ds_read_b64 v[8:9], v5
	ds_read_b64 v[10:11], v6 offset:18432
	v_lshlrev_b32_e32 v12, 3, v28
	v_mov_b32_e32 v13, 0
	s_waitcnt lgkmcnt(1)
	v_lshl_add_u64 v[8:9], v[8:9], 3, s[42:43]
	v_lshl_add_u64 v[8:9], v[8:9], 0, v[12:13]
	s_waitcnt lgkmcnt(0)
	global_store_dwordx2 v[8:9], v[10:11], off
	s_or_b64 exec, exec, s[4:5]
	s_and_saveexec_b64 s[4:5], s[20:21]
	s_cbranch_execnz .LBB131_90
.LBB131_85:
	s_or_b64 exec, exec, s[4:5]
	s_and_saveexec_b64 s[4:5], s[22:23]
	s_cbranch_execz .LBB131_91
.LBB131_86:
	v_lshlrev_b32_e32 v5, 3, v35
	ds_read_b64 v[8:9], v5
	ds_read_b64 v[10:11], v6 offset:34816
	v_lshlrev_b32_e32 v12, 3, v30
	v_mov_b32_e32 v13, 0
	s_waitcnt lgkmcnt(1)
	v_lshl_add_u64 v[8:9], v[8:9], 3, s[42:43]
	v_lshl_add_u64 v[8:9], v[8:9], 0, v[12:13]
	s_waitcnt lgkmcnt(0)
	global_store_dwordx2 v[8:9], v[10:11], off
	s_or_b64 exec, exec, s[4:5]
	s_and_saveexec_b64 s[4:5], s[24:25]
	s_cbranch_execnz .LBB131_92
	s_branch .LBB131_93
.LBB131_87:
	s_or_b64 exec, exec, s[4:5]
	s_and_saveexec_b64 s[4:5], s[16:17]
	s_cbranch_execz .LBB131_83
.LBB131_88:
	v_lshlrev_b32_e32 v5, 3, v22
	ds_read_b64 v[8:9], v5
	ds_read_b64 v[12:13], v6 offset:10240
	v_lshlrev_b32_e32 v10, 3, v11
	v_mov_b32_e32 v11, 0
	s_waitcnt lgkmcnt(1)
	v_lshl_add_u64 v[8:9], v[8:9], 3, s[42:43]
	v_lshl_add_u64 v[8:9], v[8:9], 0, v[10:11]
	s_waitcnt lgkmcnt(0)
	global_store_dwordx2 v[8:9], v[12:13], off
	s_or_b64 exec, exec, s[4:5]
	s_and_saveexec_b64 s[4:5], s[18:19]
	s_cbranch_execnz .LBB131_84
.LBB131_89:
	s_or_b64 exec, exec, s[4:5]
	s_and_saveexec_b64 s[4:5], s[20:21]
	s_cbranch_execz .LBB131_85
.LBB131_90:
	v_lshlrev_b32_e32 v5, 3, v23
	ds_read_b64 v[8:9], v5
	ds_read_b64 v[10:11], v6 offset:26624
	v_lshlrev_b32_e32 v12, 3, v29
	v_mov_b32_e32 v13, 0
	s_waitcnt lgkmcnt(1)
	v_lshl_add_u64 v[8:9], v[8:9], 3, s[42:43]
	v_lshl_add_u64 v[8:9], v[8:9], 0, v[12:13]
	s_waitcnt lgkmcnt(0)
	global_store_dwordx2 v[8:9], v[10:11], off
	s_or_b64 exec, exec, s[4:5]
	s_and_saveexec_b64 s[4:5], s[22:23]
	s_cbranch_execnz .LBB131_86
.LBB131_91:
	s_or_b64 exec, exec, s[4:5]
	s_and_saveexec_b64 s[4:5], s[24:25]
	s_cbranch_execz .LBB131_93
.LBB131_92:
	v_lshlrev_b32_e32 v5, 3, v32
	ds_read_b64 v[8:9], v5
	ds_read_b64 v[10:11], v6 offset:43008
	v_lshlrev_b32_e32 v12, 3, v31
	v_mov_b32_e32 v13, 0
	s_waitcnt lgkmcnt(1)
	v_lshl_add_u64 v[8:9], v[8:9], 3, s[42:43]
	v_lshl_add_u64 v[8:9], v[8:9], 0, v[12:13]
	s_waitcnt lgkmcnt(0)
	global_store_dwordx2 v[8:9], v[10:11], off
.LBB131_93:
	s_or_b64 exec, exec, s[4:5]
	s_add_i32 s3, s3, -1
	s_cmp_eq_u32 s2, s3
	s_cselect_b64 s[4:5], -1, 0
	s_xor_b64 s[6:7], s[12:13], -1
	s_and_b64 s[6:7], s[6:7], s[4:5]
	s_and_saveexec_b64 s[4:5], s[6:7]
	s_cbranch_execz .LBB131_95
; %bb.94:
	ds_read_b64 v[8:9], v6
	v_mov_b32_e32 v5, 0
	v_lshl_add_u64 v[2:3], v[2:3], 0, v[4:5]
	s_waitcnt lgkmcnt(0)
	v_lshl_add_u64 v[2:3], v[2:3], 0, v[8:9]
	global_store_dwordx2 v6, v[2:3], s[46:47]
.LBB131_95:
	s_or_b64 exec, exec, s[4:5]
	s_mov_b64 s[4:5], 0
.LBB131_96:
	s_and_b64 vcc, exec, s[4:5]
	s_cbranch_vccz .LBB131_131
; %bb.97:
	s_mov_b32 s31, 0
	s_lshl_b64 s[4:5], s[30:31], 2
	s_add_u32 s4, s36, s4
	v_mbcnt_hi_u32_b32 v9, -1, v1
	s_addc_u32 s5, s37, s5
	v_and_b32_e32 v1, 0x3c0, v0
	v_mov_b32_e32 v5, 0
	v_lshlrev_b32_e32 v4, 2, v9
	v_mul_u32_u24_e32 v3, 6, v1
	v_lshl_add_u64 v[6:7], s[4:5], 0, v[4:5]
	s_load_dword s3, s[0:1], 0x50
	s_load_dword s4, s[0:1], 0x5c
	v_lshlrev_b32_e32 v4, 2, v3
	v_lshl_add_u64 v[18:19], v[6:7], 0, v[4:5]
	global_load_dword v1, v[18:19], off
	s_add_u32 s0, s0, 0x50
	s_addc_u32 s1, s1, 0
	s_waitcnt lgkmcnt(0)
	s_lshr_b32 s4, s4, 16
	s_cmp_lt_u32 s2, s3
	s_cselect_b32 s5, 12, 18
	s_add_u32 s0, s0, s5
	s_addc_u32 s1, s1, 0
	global_load_ushort v4, v5, s[0:1]
	v_and_b32_e32 v2, 0x3ff, v0
	v_mul_u32_u24_e32 v10, 20, v2
	ds_write2_b32 v10, v5, v5 offset0:16 offset1:17
	ds_write2_b32 v10, v5, v5 offset0:18 offset1:19
	ds_write_b32 v10, v5 offset:80
	global_load_dword v13, v[18:19], off offset:256
	global_load_dword v17, v[18:19], off offset:512
	;; [unrolled: 1-line block ×5, first 2 shown]
	v_bfrev_b32_e32 v14, -2
	v_bfe_u32 v7, v0, 10, 10
	v_bfe_u32 v8, v0, 20, 10
	v_mad_u32_u24 v7, v8, s4, v7
	s_brev_b32 s10, 1
	s_lshl_b32 s4, -1, s49
	v_mov_b32_e32 v0, v5
	v_mov_b32_e32 v24, v5
	;; [unrolled: 1-line block ×3, first 2 shown]
	s_not_b32 s12, s4
	v_mov_b32_e32 v28, v5
	s_movk_i32 s11, 0x44
	s_waitcnt lgkmcnt(0)
	s_barrier
	s_waitcnt vmcnt(6)
	; wave barrier
	v_cmp_gt_i32_e32 vcc, 0, v1
	s_nop 1
	v_cndmask_b32_e64 v8, v14, 0, vcc
	v_xor_b32_e32 v8, v8, v1
	v_cmp_ne_u32_e32 vcc, s10, v8
	s_waitcnt vmcnt(5)
	v_mad_u64_u32 v[18:19], s[0:1], v7, v4, v[2:3]
	v_cndmask_b32_e32 v1, v14, v8, vcc
	v_lshrrev_b32_e32 v1, s48, v1
	v_bitop3_b32 v12, v1, s4, v1 bitop3:0x30
	v_and_b32_e32 v4, 1, v12
	v_lshlrev_b32_e32 v1, 30, v12
	v_lshrrev_b32_e32 v7, 6, v18
	v_lshlrev_b32_e32 v25, 29, v12
	v_lshl_add_u64 v[18:19], v[4:5], 0, -1
	v_cmp_ne_u32_e32 vcc, 0, v4
	v_cmp_gt_i64_e64 s[0:1], 0, v[0:1]
	v_not_b32_e32 v0, v1
	v_lshlrev_b32_e32 v27, 28, v12
	v_not_b32_e32 v1, v25
	v_xor_b32_e32 v16, vcc_hi, v19
	v_xor_b32_e32 v18, vcc_lo, v18
	v_ashrrev_i32_e32 v0, 31, v0
	v_lshlrev_b32_e32 v29, 27, v12
	v_cmp_gt_i64_e64 s[4:5], 0, v[24:25]
	v_not_b32_e32 v4, v27
	v_ashrrev_i32_e32 v1, 31, v1
	v_and_b32_e32 v16, exec_hi, v16
	v_and_b32_e32 v18, exec_lo, v18
	v_xor_b32_e32 v19, s1, v0
	v_xor_b32_e32 v0, s0, v0
	v_cmp_gt_i64_e64 s[6:7], 0, v[26:27]
	v_not_b32_e32 v15, v29
	v_ashrrev_i32_e32 v4, 31, v4
	v_xor_b32_e32 v20, s5, v1
	v_xor_b32_e32 v1, s4, v1
	v_and_b32_e32 v16, v16, v19
	v_and_b32_e32 v0, v18, v0
	v_cmp_gt_i64_e64 s[8:9], 0, v[28:29]
	v_ashrrev_i32_e32 v15, 31, v15
	v_xor_b32_e32 v22, s7, v4
	v_xor_b32_e32 v4, s6, v4
	v_and_b32_e32 v16, v16, v20
	v_and_b32_e32 v0, v0, v1
	v_xor_b32_e32 v24, s9, v15
	v_xor_b32_e32 v15, s8, v15
	v_and_b32_e32 v1, v16, v22
	v_and_b32_e32 v0, v0, v4
	v_and_b32_e32 v4, v1, v24
	v_and_b32_e32 v15, v0, v15
	v_lshlrev_b32_e32 v1, 26, v12
	v_mov_b32_e32 v0, v5
	v_cmp_gt_i64_e32 vcc, 0, v[0:1]
	v_not_b32_e32 v0, v1
	v_ashrrev_i32_e32 v0, 31, v0
	v_xor_b32_e32 v1, vcc_hi, v0
	v_xor_b32_e32 v0, vcc_lo, v0
	v_and_b32_e32 v4, v4, v1
	v_and_b32_e32 v15, v15, v0
	v_lshlrev_b32_e32 v1, 25, v12
	v_mov_b32_e32 v0, v5
	v_cmp_gt_i64_e32 vcc, 0, v[0:1]
	v_not_b32_e32 v0, v1
	v_ashrrev_i32_e32 v0, 31, v0
	v_xor_b32_e32 v1, vcc_hi, v0
	v_xor_b32_e32 v0, vcc_lo, v0
	v_and_b32_e32 v4, v4, v1
	v_and_b32_e32 v15, v15, v0
	;; [unrolled: 9-line block ×3, first 2 shown]
	v_mbcnt_lo_u32_b32 v4, v0, 0
	v_mul_lo_u32 v11, v12, s11
	v_mbcnt_hi_u32_b32 v12, v1, v4
	v_cmp_eq_u32_e32 vcc, 0, v12
	v_cmp_ne_u64_e64 s[0:1], 0, v[0:1]
	v_lshl_add_u32 v11, v7, 2, v11
	s_and_b64 s[4:5], s[0:1], vcc
	s_and_saveexec_b64 s[0:1], s[4:5]
; %bb.98:
	v_bcnt_u32_b32 v0, v0, 0
	v_bcnt_u32_b32 v0, v1, v0
	ds_write_b32 v11, v0 offset:64
; %bb.99:
	s_or_b64 exec, exec, s[0:1]
	s_waitcnt vmcnt(4)
	v_cmp_gt_i32_e32 vcc, 0, v13
	; wave barrier
	s_nop 1
	v_cndmask_b32_e64 v0, v14, 0, vcc
	v_xor_b32_e32 v13, v0, v13
	v_cmp_ne_u32_e32 vcc, s10, v13
	s_nop 1
	v_cndmask_b32_e32 v0, v14, v13, vcc
	v_lshrrev_b32_e32 v0, s48, v0
	v_and_b32_e32 v16, s12, v0
	v_mul_lo_u32 v0, v16, s11
	v_and_b32_e32 v4, 1, v16
	v_lshl_add_u32 v15, v7, 2, v0
	v_lshl_add_u64 v[0:1], v[4:5], 0, -1
	v_cmp_ne_u32_e32 vcc, 0, v4
	ds_read_b32 v14, v15 offset:64
	s_nop 0
	v_xor_b32_e32 v1, vcc_hi, v1
	v_xor_b32_e32 v0, vcc_lo, v0
	v_and_b32_e32 v4, exec_hi, v1
	v_and_b32_e32 v18, exec_lo, v0
	v_lshlrev_b32_e32 v1, 30, v16
	v_mov_b32_e32 v0, v5
	v_cmp_gt_i64_e32 vcc, 0, v[0:1]
	v_not_b32_e32 v0, v1
	v_ashrrev_i32_e32 v0, 31, v0
	v_xor_b32_e32 v1, vcc_hi, v0
	v_xor_b32_e32 v0, vcc_lo, v0
	v_and_b32_e32 v4, v4, v1
	v_and_b32_e32 v18, v18, v0
	v_lshlrev_b32_e32 v1, 29, v16
	v_mov_b32_e32 v0, v5
	v_cmp_gt_i64_e32 vcc, 0, v[0:1]
	v_not_b32_e32 v0, v1
	v_ashrrev_i32_e32 v0, 31, v0
	v_xor_b32_e32 v1, vcc_hi, v0
	v_xor_b32_e32 v0, vcc_lo, v0
	v_and_b32_e32 v4, v4, v1
	v_and_b32_e32 v18, v18, v0
	;; [unrolled: 9-line block ×7, first 2 shown]
	v_mbcnt_lo_u32_b32 v4, v0, 0
	v_mbcnt_hi_u32_b32 v16, v1, v4
	v_cmp_eq_u32_e32 vcc, 0, v16
	v_cmp_ne_u64_e64 s[0:1], 0, v[0:1]
	s_and_b64 s[4:5], s[0:1], vcc
	; wave barrier
	s_and_saveexec_b64 s[0:1], s[4:5]
	s_cbranch_execz .LBB131_101
; %bb.100:
	v_bcnt_u32_b32 v0, v0, 0
	v_bcnt_u32_b32 v0, v1, v0
	s_waitcnt lgkmcnt(0)
	v_add_u32_e32 v0, v14, v0
	ds_write_b32 v15, v0 offset:64
.LBB131_101:
	s_or_b64 exec, exec, s[0:1]
	v_bfrev_b32_e32 v22, -2
	s_waitcnt vmcnt(3)
	v_cmp_gt_i32_e32 vcc, 0, v17
	s_brev_b32 s4, 1
	s_movk_i32 s5, 0x44
	v_cndmask_b32_e64 v0, v22, 0, vcc
	v_xor_b32_e32 v17, v0, v17
	v_cmp_ne_u32_e32 vcc, s4, v17
	v_mov_b32_e32 v1, 0
	s_nop 0
	v_cndmask_b32_e32 v0, v22, v17, vcc
	v_lshrrev_b32_e32 v0, s48, v0
	v_and_b32_e32 v20, s12, v0
	v_mul_lo_u32 v0, v20, s5
	v_lshl_add_u32 v19, v7, 2, v0
	v_and_b32_e32 v0, 1, v20
	v_lshl_add_u64 v[4:5], v[0:1], 0, -1
	v_cmp_ne_u32_e32 vcc, 0, v0
	; wave barrier
	ds_read_b32 v18, v19 offset:64
	s_nop 0
	v_xor_b32_e32 v4, vcc_lo, v4
	v_xor_b32_e32 v0, vcc_hi, v5
	v_and_b32_e32 v24, exec_lo, v4
	v_lshlrev_b32_e32 v5, 30, v20
	v_mov_b32_e32 v4, v1
	v_cmp_gt_i64_e32 vcc, 0, v[4:5]
	v_not_b32_e32 v4, v5
	v_ashrrev_i32_e32 v4, 31, v4
	v_and_b32_e32 v0, exec_hi, v0
	v_xor_b32_e32 v5, vcc_hi, v4
	v_xor_b32_e32 v4, vcc_lo, v4
	v_and_b32_e32 v0, v0, v5
	v_and_b32_e32 v24, v24, v4
	v_lshlrev_b32_e32 v5, 29, v20
	v_mov_b32_e32 v4, v1
	v_cmp_gt_i64_e32 vcc, 0, v[4:5]
	v_not_b32_e32 v4, v5
	v_ashrrev_i32_e32 v4, 31, v4
	v_xor_b32_e32 v5, vcc_hi, v4
	v_xor_b32_e32 v4, vcc_lo, v4
	v_and_b32_e32 v0, v0, v5
	v_and_b32_e32 v24, v24, v4
	v_lshlrev_b32_e32 v5, 28, v20
	v_mov_b32_e32 v4, v1
	v_cmp_gt_i64_e32 vcc, 0, v[4:5]
	v_not_b32_e32 v4, v5
	v_ashrrev_i32_e32 v4, 31, v4
	;; [unrolled: 9-line block ×6, first 2 shown]
	v_xor_b32_e32 v5, vcc_hi, v4
	v_xor_b32_e32 v4, vcc_lo, v4
	v_and_b32_e32 v4, v24, v4
	v_and_b32_e32 v5, v0, v5
	v_mbcnt_lo_u32_b32 v0, v4, 0
	v_mbcnt_hi_u32_b32 v20, v5, v0
	v_cmp_eq_u32_e32 vcc, 0, v20
	v_cmp_ne_u64_e64 s[0:1], 0, v[4:5]
	s_and_b64 s[6:7], s[0:1], vcc
	; wave barrier
	s_and_saveexec_b64 s[0:1], s[6:7]
	s_cbranch_execz .LBB131_103
; %bb.102:
	v_bcnt_u32_b32 v0, v4, 0
	v_bcnt_u32_b32 v0, v5, v0
	s_waitcnt lgkmcnt(0)
	v_add_u32_e32 v0, v18, v0
	ds_write_b32 v19, v0 offset:64
.LBB131_103:
	s_or_b64 exec, exec, s[0:1]
	s_waitcnt vmcnt(2)
	v_cmp_gt_i32_e32 vcc, 0, v21
	; wave barrier
	s_nop 1
	v_cndmask_b32_e64 v0, v22, 0, vcc
	v_xor_b32_e32 v21, v0, v21
	v_cmp_ne_u32_e32 vcc, s4, v21
	s_nop 1
	v_cndmask_b32_e32 v0, v22, v21, vcc
	v_lshrrev_b32_e32 v0, s48, v0
	v_and_b32_e32 v25, s12, v0
	v_mul_lo_u32 v0, v25, s5
	v_lshl_add_u32 v24, v7, 2, v0
	v_and_b32_e32 v0, 1, v25
	v_lshl_add_u64 v[4:5], v[0:1], 0, -1
	v_cmp_ne_u32_e32 vcc, 0, v0
	ds_read_b32 v22, v24 offset:64
	s_nop 0
	v_xor_b32_e32 v4, vcc_lo, v4
	v_xor_b32_e32 v0, vcc_hi, v5
	v_and_b32_e32 v26, exec_lo, v4
	v_lshlrev_b32_e32 v5, 30, v25
	v_mov_b32_e32 v4, v1
	v_cmp_gt_i64_e32 vcc, 0, v[4:5]
	v_not_b32_e32 v4, v5
	v_ashrrev_i32_e32 v4, 31, v4
	v_and_b32_e32 v0, exec_hi, v0
	v_xor_b32_e32 v5, vcc_hi, v4
	v_xor_b32_e32 v4, vcc_lo, v4
	v_and_b32_e32 v0, v0, v5
	v_and_b32_e32 v26, v26, v4
	v_lshlrev_b32_e32 v5, 29, v25
	v_mov_b32_e32 v4, v1
	v_cmp_gt_i64_e32 vcc, 0, v[4:5]
	v_not_b32_e32 v4, v5
	v_ashrrev_i32_e32 v4, 31, v4
	v_xor_b32_e32 v5, vcc_hi, v4
	v_xor_b32_e32 v4, vcc_lo, v4
	v_and_b32_e32 v0, v0, v5
	v_and_b32_e32 v26, v26, v4
	v_lshlrev_b32_e32 v5, 28, v25
	v_mov_b32_e32 v4, v1
	v_cmp_gt_i64_e32 vcc, 0, v[4:5]
	v_not_b32_e32 v4, v5
	v_ashrrev_i32_e32 v4, 31, v4
	;; [unrolled: 9-line block ×5, first 2 shown]
	v_xor_b32_e32 v5, vcc_hi, v4
	v_xor_b32_e32 v4, vcc_lo, v4
	v_and_b32_e32 v0, v0, v5
	v_lshlrev_b32_e32 v5, 24, v25
	v_and_b32_e32 v26, v26, v4
	v_mov_b32_e32 v4, v1
	v_not_b32_e32 v1, v5
	v_cmp_gt_i64_e32 vcc, 0, v[4:5]
	v_ashrrev_i32_e32 v1, 31, v1
	; wave barrier
	s_nop 0
	v_xor_b32_e32 v4, vcc_hi, v1
	v_xor_b32_e32 v5, vcc_lo, v1
	v_and_b32_e32 v1, v0, v4
	v_and_b32_e32 v0, v26, v5
	v_mbcnt_lo_u32_b32 v4, v0, 0
	v_mbcnt_hi_u32_b32 v25, v1, v4
	v_cmp_eq_u32_e32 vcc, 0, v25
	v_cmp_ne_u64_e64 s[0:1], 0, v[0:1]
	s_and_b64 s[4:5], s[0:1], vcc
	s_and_saveexec_b64 s[0:1], s[4:5]
	s_cbranch_execz .LBB131_105
; %bb.104:
	v_bcnt_u32_b32 v0, v0, 0
	v_bcnt_u32_b32 v0, v1, v0
	s_waitcnt lgkmcnt(0)
	v_add_u32_e32 v0, v22, v0
	ds_write_b32 v24, v0 offset:64
.LBB131_105:
	s_or_b64 exec, exec, s[0:1]
	v_bfrev_b32_e32 v30, -2
	s_waitcnt vmcnt(1)
	v_cmp_gt_i32_e32 vcc, 0, v23
	s_brev_b32 s4, 1
	s_movk_i32 s5, 0x44
	v_cndmask_b32_e64 v0, v30, 0, vcc
	v_xor_b32_e32 v23, v0, v23
	v_cmp_ne_u32_e32 vcc, s4, v23
	v_mov_b32_e32 v1, 0
	s_nop 0
	v_cndmask_b32_e32 v0, v30, v23, vcc
	v_lshrrev_b32_e32 v0, s48, v0
	v_and_b32_e32 v28, s12, v0
	v_mul_lo_u32 v0, v28, s5
	v_lshl_add_u32 v27, v7, 2, v0
	v_and_b32_e32 v0, 1, v28
	v_lshl_add_u64 v[4:5], v[0:1], 0, -1
	v_cmp_ne_u32_e32 vcc, 0, v0
	; wave barrier
	ds_read_b32 v26, v27 offset:64
	s_nop 0
	v_xor_b32_e32 v4, vcc_lo, v4
	v_xor_b32_e32 v0, vcc_hi, v5
	v_and_b32_e32 v29, exec_lo, v4
	v_lshlrev_b32_e32 v5, 30, v28
	v_mov_b32_e32 v4, v1
	v_cmp_gt_i64_e32 vcc, 0, v[4:5]
	v_not_b32_e32 v4, v5
	v_ashrrev_i32_e32 v4, 31, v4
	v_and_b32_e32 v0, exec_hi, v0
	v_xor_b32_e32 v5, vcc_hi, v4
	v_xor_b32_e32 v4, vcc_lo, v4
	v_and_b32_e32 v0, v0, v5
	v_and_b32_e32 v29, v29, v4
	v_lshlrev_b32_e32 v5, 29, v28
	v_mov_b32_e32 v4, v1
	v_cmp_gt_i64_e32 vcc, 0, v[4:5]
	v_not_b32_e32 v4, v5
	v_ashrrev_i32_e32 v4, 31, v4
	v_xor_b32_e32 v5, vcc_hi, v4
	v_xor_b32_e32 v4, vcc_lo, v4
	v_and_b32_e32 v0, v0, v5
	v_and_b32_e32 v29, v29, v4
	v_lshlrev_b32_e32 v5, 28, v28
	v_mov_b32_e32 v4, v1
	v_cmp_gt_i64_e32 vcc, 0, v[4:5]
	v_not_b32_e32 v4, v5
	v_ashrrev_i32_e32 v4, 31, v4
	v_xor_b32_e32 v5, vcc_hi, v4
	v_xor_b32_e32 v4, vcc_lo, v4
	v_and_b32_e32 v0, v0, v5
	v_and_b32_e32 v29, v29, v4
	v_lshlrev_b32_e32 v5, 27, v28
	v_mov_b32_e32 v4, v1
	v_cmp_gt_i64_e32 vcc, 0, v[4:5]
	v_not_b32_e32 v4, v5
	v_ashrrev_i32_e32 v4, 31, v4
	v_xor_b32_e32 v5, vcc_hi, v4
	v_xor_b32_e32 v4, vcc_lo, v4
	v_and_b32_e32 v0, v0, v5
	v_and_b32_e32 v29, v29, v4
	v_lshlrev_b32_e32 v5, 26, v28
	v_mov_b32_e32 v4, v1
	v_cmp_gt_i64_e32 vcc, 0, v[4:5]
	v_not_b32_e32 v4, v5
	v_ashrrev_i32_e32 v4, 31, v4
	v_xor_b32_e32 v5, vcc_hi, v4
	v_xor_b32_e32 v4, vcc_lo, v4
	v_and_b32_e32 v0, v0, v5
	v_and_b32_e32 v29, v29, v4
	v_lshlrev_b32_e32 v5, 25, v28
	v_mov_b32_e32 v4, v1
	v_cmp_gt_i64_e32 vcc, 0, v[4:5]
	v_not_b32_e32 v4, v5
	v_ashrrev_i32_e32 v4, 31, v4
	v_xor_b32_e32 v5, vcc_hi, v4
	v_xor_b32_e32 v4, vcc_lo, v4
	v_and_b32_e32 v0, v0, v5
	v_and_b32_e32 v29, v29, v4
	v_lshlrev_b32_e32 v5, 24, v28
	v_mov_b32_e32 v4, v1
	v_cmp_gt_i64_e32 vcc, 0, v[4:5]
	v_not_b32_e32 v4, v5
	v_ashrrev_i32_e32 v4, 31, v4
	v_xor_b32_e32 v5, vcc_hi, v4
	v_xor_b32_e32 v4, vcc_lo, v4
	v_and_b32_e32 v4, v29, v4
	v_and_b32_e32 v5, v0, v5
	v_mbcnt_lo_u32_b32 v0, v4, 0
	v_mbcnt_hi_u32_b32 v28, v5, v0
	v_cmp_eq_u32_e32 vcc, 0, v28
	v_cmp_ne_u64_e64 s[0:1], 0, v[4:5]
	s_and_b64 s[6:7], s[0:1], vcc
	; wave barrier
	s_and_saveexec_b64 s[0:1], s[6:7]
	s_cbranch_execz .LBB131_107
; %bb.106:
	v_bcnt_u32_b32 v0, v4, 0
	v_bcnt_u32_b32 v0, v5, v0
	s_waitcnt lgkmcnt(0)
	v_add_u32_e32 v0, v26, v0
	ds_write_b32 v27, v0 offset:64
.LBB131_107:
	s_or_b64 exec, exec, s[0:1]
	s_waitcnt vmcnt(0)
	v_cmp_gt_i32_e32 vcc, 0, v6
	; wave barrier
	s_nop 1
	v_cndmask_b32_e64 v0, v30, 0, vcc
	v_xor_b32_e32 v29, v0, v6
	v_cmp_ne_u32_e32 vcc, s4, v29
	s_nop 1
	v_cndmask_b32_e32 v0, v30, v29, vcc
	v_lshrrev_b32_e32 v0, s48, v0
	v_and_b32_e32 v6, s12, v0
	v_mul_lo_u32 v0, v6, s5
	v_lshl_add_u32 v31, v7, 2, v0
	v_and_b32_e32 v0, 1, v6
	v_lshl_add_u64 v[4:5], v[0:1], 0, -1
	v_cmp_ne_u32_e32 vcc, 0, v0
	ds_read_b32 v30, v31 offset:64
	s_nop 0
	v_xor_b32_e32 v4, vcc_lo, v4
	v_xor_b32_e32 v0, vcc_hi, v5
	v_and_b32_e32 v7, exec_lo, v4
	v_lshlrev_b32_e32 v5, 30, v6
	v_mov_b32_e32 v4, v1
	v_cmp_gt_i64_e32 vcc, 0, v[4:5]
	v_not_b32_e32 v4, v5
	v_ashrrev_i32_e32 v4, 31, v4
	v_and_b32_e32 v0, exec_hi, v0
	v_xor_b32_e32 v5, vcc_hi, v4
	v_xor_b32_e32 v4, vcc_lo, v4
	v_and_b32_e32 v0, v0, v5
	v_and_b32_e32 v7, v7, v4
	v_lshlrev_b32_e32 v5, 29, v6
	v_mov_b32_e32 v4, v1
	v_cmp_gt_i64_e32 vcc, 0, v[4:5]
	v_not_b32_e32 v4, v5
	v_ashrrev_i32_e32 v4, 31, v4
	v_xor_b32_e32 v5, vcc_hi, v4
	v_xor_b32_e32 v4, vcc_lo, v4
	v_and_b32_e32 v0, v0, v5
	v_and_b32_e32 v7, v7, v4
	v_lshlrev_b32_e32 v5, 28, v6
	v_mov_b32_e32 v4, v1
	v_cmp_gt_i64_e32 vcc, 0, v[4:5]
	v_not_b32_e32 v4, v5
	v_ashrrev_i32_e32 v4, 31, v4
	;; [unrolled: 9-line block ×5, first 2 shown]
	v_xor_b32_e32 v5, vcc_hi, v4
	v_xor_b32_e32 v4, vcc_lo, v4
	v_and_b32_e32 v0, v0, v5
	v_lshlrev_b32_e32 v5, 24, v6
	v_and_b32_e32 v7, v7, v4
	v_mov_b32_e32 v4, v1
	v_not_b32_e32 v1, v5
	v_cmp_gt_i64_e32 vcc, 0, v[4:5]
	v_ashrrev_i32_e32 v1, 31, v1
	; wave barrier
	s_nop 0
	v_xor_b32_e32 v4, vcc_hi, v1
	v_xor_b32_e32 v5, vcc_lo, v1
	v_and_b32_e32 v1, v0, v4
	v_and_b32_e32 v0, v7, v5
	v_mbcnt_lo_u32_b32 v4, v0, 0
	v_mbcnt_hi_u32_b32 v32, v1, v4
	v_cmp_eq_u32_e32 vcc, 0, v32
	v_cmp_ne_u64_e64 s[0:1], 0, v[0:1]
	s_and_b64 s[4:5], s[0:1], vcc
	s_and_saveexec_b64 s[0:1], s[4:5]
	s_cbranch_execz .LBB131_109
; %bb.108:
	v_bcnt_u32_b32 v0, v0, 0
	v_bcnt_u32_b32 v0, v1, v0
	s_waitcnt lgkmcnt(0)
	v_add_u32_e32 v0, v30, v0
	ds_write_b32 v31, v0 offset:64
.LBB131_109:
	s_or_b64 exec, exec, s[0:1]
	; wave barrier
	s_waitcnt lgkmcnt(0)
	s_barrier
	ds_read2_b32 v[6:7], v10 offset0:16 offset1:17
	ds_read2_b32 v[4:5], v10 offset0:18 offset1:19
	ds_read_b32 v0, v10 offset:80
	v_cmp_lt_u32_e64 s[8:9], 31, v9
	s_waitcnt lgkmcnt(1)
	v_add3_u32 v1, v7, v6, v4
	s_waitcnt lgkmcnt(0)
	v_add3_u32 v0, v1, v5, v0
	v_and_b32_e32 v1, 15, v9
	v_cmp_eq_u32_e32 vcc, 0, v1
	v_mov_b32_dpp v33, v0 row_shr:1 row_mask:0xf bank_mask:0xf
	v_cmp_lt_u32_e64 s[0:1], 1, v1
	v_cndmask_b32_e64 v33, v33, 0, vcc
	v_add_u32_e32 v0, v33, v0
	v_cmp_lt_u32_e64 s[6:7], 3, v1
	v_cmp_lt_u32_e64 s[4:5], 7, v1
	v_mov_b32_dpp v33, v0 row_shr:2 row_mask:0xf bank_mask:0xf
	v_cndmask_b32_e64 v33, 0, v33, s[0:1]
	v_add_u32_e32 v0, v0, v33
	s_nop 1
	v_mov_b32_dpp v33, v0 row_shr:4 row_mask:0xf bank_mask:0xf
	v_cndmask_b32_e64 v33, 0, v33, s[6:7]
	v_add_u32_e32 v0, v0, v33
	s_nop 1
	v_mov_b32_dpp v33, v0 row_shr:8 row_mask:0xf bank_mask:0xf
	v_cndmask_b32_e64 v1, 0, v33, s[4:5]
	v_add_u32_e32 v0, v0, v1
	v_bfe_i32 v33, v9, 4, 1
	s_nop 0
	v_mov_b32_dpp v1, v0 row_bcast:15 row_mask:0xf bank_mask:0xf
	v_and_b32_e32 v1, v33, v1
	v_add_u32_e32 v0, v0, v1
	v_lshrrev_b32_e32 v33, 6, v2
	s_nop 0
	v_mov_b32_dpp v1, v0 row_bcast:31 row_mask:0xf bank_mask:0xf
	v_cndmask_b32_e64 v1, 0, v1, s[8:9]
	v_add_u32_e32 v1, v0, v1
	v_and_b32_e32 v0, 63, v2
	v_cmp_eq_u32_e64 s[8:9], 63, v0
	s_and_saveexec_b64 s[10:11], s[8:9]
; %bb.110:
	v_lshlrev_b32_e32 v0, 2, v33
	ds_write_b32 v0, v1
; %bb.111:
	s_or_b64 exec, exec, s[10:11]
	v_cmp_gt_u32_e64 s[8:9], 16, v2
	v_lshlrev_b32_e32 v0, 2, v2
	s_waitcnt lgkmcnt(0)
	s_barrier
	s_and_saveexec_b64 s[10:11], s[8:9]
	s_cbranch_execz .LBB131_113
; %bb.112:
	ds_read_b32 v34, v0
	s_waitcnt lgkmcnt(0)
	s_nop 0
	v_mov_b32_dpp v35, v34 row_shr:1 row_mask:0xf bank_mask:0xf
	v_cndmask_b32_e64 v35, v35, 0, vcc
	v_add_u32_e32 v34, v35, v34
	s_nop 1
	v_mov_b32_dpp v35, v34 row_shr:2 row_mask:0xf bank_mask:0xf
	v_cndmask_b32_e64 v35, 0, v35, s[0:1]
	v_add_u32_e32 v34, v34, v35
	s_nop 1
	v_mov_b32_dpp v35, v34 row_shr:4 row_mask:0xf bank_mask:0xf
	v_cndmask_b32_e64 v35, 0, v35, s[6:7]
	;; [unrolled: 4-line block ×3, first 2 shown]
	v_add_u32_e32 v34, v34, v35
	ds_write_b32 v0, v34
.LBB131_113:
	s_or_b64 exec, exec, s[10:11]
	v_cmp_lt_u32_e32 vcc, 63, v2
	v_mov_b32_e32 v34, 0
	s_waitcnt lgkmcnt(0)
	s_barrier
	s_and_saveexec_b64 s[0:1], vcc
; %bb.114:
	v_lshl_add_u32 v33, v33, 2, -4
	ds_read_b32 v34, v33
; %bb.115:
	s_or_b64 exec, exec, s[0:1]
	v_add_u32_e32 v33, -1, v9
	v_and_b32_e32 v35, 64, v9
	v_cmp_lt_i32_e32 vcc, v33, v35
	s_waitcnt lgkmcnt(0)
	v_add_u32_e32 v1, v34, v1
	s_movk_i32 s0, 0xff
	v_cndmask_b32_e32 v33, v33, v9, vcc
	v_lshlrev_b32_e32 v33, 2, v33
	ds_bpermute_b32 v1, v33, v1
	v_cmp_eq_u32_e32 vcc, 0, v9
	s_movk_i32 s4, 0x100
	s_waitcnt lgkmcnt(0)
	v_cndmask_b32_e32 v1, v1, v34, vcc
	v_cmp_ne_u32_e32 vcc, 0, v2
	s_nop 1
	v_cndmask_b32_e32 v1, 0, v1, vcc
	v_add_u32_e32 v6, v1, v6
	v_add_u32_e32 v7, v6, v7
	;; [unrolled: 1-line block ×4, first 2 shown]
	ds_write2_b32 v10, v1, v6 offset0:16 offset1:17
	ds_write2_b32 v10, v7, v4 offset0:18 offset1:19
	ds_write_b32 v10, v5 offset:80
	s_waitcnt lgkmcnt(0)
	s_barrier
	ds_read_b32 v1, v11 offset:64
	ds_read_b32 v7, v15 offset:64
	;; [unrolled: 1-line block ×6, first 2 shown]
	v_cmp_lt_u32_e32 vcc, s0, v2
	v_cmp_gt_u32_e64 s[0:1], s4, v2
	v_mov_b64_e32 v[4:5], 0
                                        ; implicit-def: $vgpr6
	s_and_saveexec_b64 s[6:7], s[0:1]
	s_cbranch_execz .LBB131_119
; %bb.116:
	v_mul_u32_u24_e32 v4, 0x44, v2
	ds_read_b32 v4, v4 offset:64
	v_add_u32_e32 v6, 1, v2
	v_cmp_ne_u32_e64 s[4:5], s4, v6
	v_mov_b32_e32 v5, 0x1800
	s_and_saveexec_b64 s[8:9], s[4:5]
; %bb.117:
	v_mul_u32_u24_e32 v5, 0x44, v6
	ds_read_b32 v5, v5 offset:64
; %bb.118:
	s_or_b64 exec, exec, s[8:9]
	s_waitcnt lgkmcnt(0)
	v_sub_u32_e32 v6, v5, v4
	v_mov_b32_e32 v5, 0
.LBB131_119:
	s_or_b64 exec, exec, s[6:7]
	s_waitcnt lgkmcnt(5)
	v_add_u32_e32 v27, v1, v12
	s_waitcnt lgkmcnt(4)
	v_add3_u32 v24, v16, v14, v7
	v_lshlrev_b32_e32 v1, 2, v27
	s_waitcnt lgkmcnt(3)
	v_add3_u32 v19, v20, v18, v10
	s_waitcnt lgkmcnt(0)
	s_barrier
	ds_write_b32 v1, v8 offset:2048
	v_lshlrev_b32_e32 v1, 2, v24
	v_add3_u32 v18, v25, v22, v11
	ds_write_b32 v1, v13 offset:2048
	v_lshlrev_b32_e32 v1, 2, v19
	v_add3_u32 v16, v28, v26, v15
	;; [unrolled: 3-line block ×3, first 2 shown]
	ds_write_b32 v1, v21 offset:2048
	v_lshlrev_b32_e32 v1, 2, v16
	ds_write_b32 v1, v23 offset:2048
	v_lshlrev_b32_e32 v1, 2, v7
	v_mov_b32_e32 v11, 0
	v_lshlrev_b32_e32 v8, 3, v2
	ds_write_b32 v1, v29 offset:2048
	s_waitcnt lgkmcnt(0)
	s_barrier
	s_and_saveexec_b64 s[4:5], s[0:1]
	s_cbranch_execz .LBB131_129
; %bb.120:
	v_lshl_add_u32 v10, s2, 8, v2
	v_lshl_add_u64 v[12:13], v[10:11], 2, s[34:35]
	v_or_b32_e32 v1, 2.0, v6
	global_store_dword v[12:13], v1, off sc1
	s_mov_b64 s[6:7], 0
	s_brev_b32 s13, -4
	s_mov_b32 s14, s2
	v_mov_b32_e32 v1, 0
                                        ; implicit-def: $sgpr0_sgpr1
	s_branch .LBB131_123
.LBB131_121:                            ;   in Loop: Header=BB131_123 Depth=1
	s_or_b64 exec, exec, s[10:11]
.LBB131_122:                            ;   in Loop: Header=BB131_123 Depth=1
	s_or_b64 exec, exec, s[8:9]
	v_and_b32_e32 v14, 0x3fffffff, v10
	v_add_u32_e32 v1, v14, v1
	v_cmp_gt_i32_e64 s[0:1], -2.0, v10
	s_and_b64 s[8:9], exec, s[0:1]
	s_or_b64 s[6:7], s[8:9], s[6:7]
	s_andn2_b64 exec, exec, s[6:7]
	s_cbranch_execz .LBB131_128
.LBB131_123:                            ; =>This Loop Header: Depth=1
                                        ;     Child Loop BB131_126 Depth 2
	s_or_b64 s[0:1], s[0:1], exec
	s_cmp_eq_u32 s14, 0
	s_cbranch_scc1 .LBB131_127
; %bb.124:                              ;   in Loop: Header=BB131_123 Depth=1
	s_add_i32 s14, s14, -1
	v_lshl_or_b32 v10, s14, 8, v2
	v_lshl_add_u64 v[14:15], v[10:11], 2, s[34:35]
	global_load_dword v10, v[14:15], off sc1
	s_waitcnt vmcnt(0)
	v_cmp_gt_u32_e64 s[0:1], 2.0, v10
	s_and_saveexec_b64 s[8:9], s[0:1]
	s_cbranch_execz .LBB131_122
; %bb.125:                              ;   in Loop: Header=BB131_123 Depth=1
	s_mov_b64 s[10:11], 0
.LBB131_126:                            ;   Parent Loop BB131_123 Depth=1
                                        ; =>  This Inner Loop Header: Depth=2
	global_load_dword v10, v[14:15], off sc1
	s_waitcnt vmcnt(0)
	v_cmp_lt_u32_e64 s[0:1], s13, v10
	s_or_b64 s[10:11], s[0:1], s[10:11]
	s_andn2_b64 exec, exec, s[10:11]
	s_cbranch_execnz .LBB131_126
	s_branch .LBB131_121
.LBB131_127:                            ;   in Loop: Header=BB131_123 Depth=1
                                        ; implicit-def: $sgpr14
	s_and_b64 s[8:9], exec, s[0:1]
	s_or_b64 s[6:7], s[8:9], s[6:7]
	s_andn2_b64 exec, exec, s[6:7]
	s_cbranch_execnz .LBB131_123
.LBB131_128:
	s_or_b64 exec, exec, s[6:7]
	v_add_u32_e32 v10, v1, v6
	v_or_b32_e32 v10, 0x80000000, v10
	global_store_dword v[12:13], v10, off sc1
	global_load_dwordx2 v[10:11], v8, s[44:45]
	v_sub_co_u32_e64 v12, s[0:1], v1, v4
	s_nop 1
	v_subb_co_u32_e64 v13, s[0:1], 0, v5, s[0:1]
	s_waitcnt vmcnt(0)
	v_lshl_add_u64 v[10:11], v[12:13], 0, v[10:11]
	ds_write_b64 v8, v[10:11]
.LBB131_129:
	s_or_b64 exec, exec, s[4:5]
	v_sub_u32_e32 v17, v8, v0
	s_waitcnt lgkmcnt(0)
	s_barrier
	ds_read2st64_b32 v[10:11], v17 offset0:8 offset1:24
	s_brev_b32 s4, 1
	v_bfrev_b32_e32 v25, -2
	v_or_b32_e32 v51, 0x400, v2
	v_or_b32_e32 v52, 0x800, v2
	s_waitcnt lgkmcnt(0)
	v_cmp_ne_u32_e64 s[0:1], s4, v10
	v_or_b32_e32 v53, 0xc00, v2
	v_or_b32_e32 v54, 0x1000, v2
	v_cndmask_b32_e64 v1, v25, v10, s[0:1]
	v_lshrrev_b32_e32 v1, s48, v1
	v_and_b32_e32 v1, s12, v1
	v_lshlrev_b32_e32 v26, 3, v1
	ds_read_b64 v[12:13], v26
	ds_read2st64_b32 v[14:15], v17 offset0:40 offset1:56
	v_cmp_ne_u32_e64 s[0:1], s4, v11
	v_or_b32_e32 v57, 0x1400, v2
	s_waitcnt lgkmcnt(1)
	v_lshl_add_u64 v[12:13], v[12:13], 2, s[38:39]
	v_cndmask_b32_e64 v1, v25, v11, s[0:1]
	v_lshrrev_b32_e32 v1, s48, v1
	v_and_b32_e32 v1, s12, v1
	s_waitcnt lgkmcnt(0)
	v_cmp_ne_u32_e64 s[0:1], s4, v14
	v_lshlrev_b32_e32 v48, 3, v1
	s_nop 0
	v_cndmask_b32_e64 v1, v25, v14, s[0:1]
	v_lshrrev_b32_e32 v1, s48, v1
	v_and_b32_e32 v1, s12, v1
	v_cmp_ne_u32_e64 s[0:1], s4, v15
	v_lshlrev_b32_e32 v49, 3, v1
	s_nop 0
	v_cndmask_b32_e64 v1, v25, v15, s[0:1]
	v_lshrrev_b32_e32 v1, s48, v1
	v_and_b32_e32 v1, s12, v1
	v_lshlrev_b32_e32 v50, 3, v1
	ds_read_b64 v[20:21], v48
	ds_read_b64 v[22:23], v49
	ds_read_b64 v[28:29], v50
	ds_read2st64_b32 v[30:31], v17 offset0:72 offset1:88
	v_mov_b32_e32 v1, 0
	v_lshl_add_u64 v[12:13], v[12:13], 0, v[0:1]
	s_waitcnt lgkmcnt(3)
	v_lshl_add_u64 v[20:21], v[20:21], 2, s[38:39]
	v_lshlrev_b32_e32 v0, 2, v51
	v_lshl_add_u64 v[20:21], v[20:21], 0, v[0:1]
	s_waitcnt lgkmcnt(2)
	v_lshl_add_u64 v[22:23], v[22:23], 2, s[38:39]
	v_lshlrev_b32_e32 v0, 2, v52
	;; [unrolled: 4-line block ×3, first 2 shown]
	s_waitcnt lgkmcnt(0)
	v_cmp_ne_u32_e64 s[0:1], s4, v30
	v_lshl_add_u64 v[28:29], v[28:29], 0, v[0:1]
	s_nop 0
	v_cndmask_b32_e64 v0, v25, v30, s[0:1]
	v_lshrrev_b32_e32 v0, s48, v0
	v_and_b32_e32 v0, s12, v0
	v_cmp_ne_u32_e64 s[0:1], s4, v31
	v_lshlrev_b32_e32 v55, 3, v0
	ds_read_b64 v[32:33], v55
	v_cndmask_b32_e64 v0, v25, v31, s[0:1]
	v_lshrrev_b32_e32 v0, s48, v0
	v_and_b32_e32 v0, s12, v0
	v_lshlrev_b32_e32 v56, 3, v0
	ds_read_b64 v[34:35], v56
	s_waitcnt lgkmcnt(1)
	v_lshl_add_u64 v[32:33], v[32:33], 2, s[38:39]
	v_lshlrev_b32_e32 v0, 2, v54
	s_lshl_b64 s[0:1], s[30:31], 3
	v_lshl_add_u64 v[32:33], v[32:33], 0, v[0:1]
	s_waitcnt lgkmcnt(0)
	v_lshl_add_u64 v[34:35], v[34:35], 2, s[38:39]
	v_lshlrev_b32_e32 v0, 2, v57
	s_add_u32 s0, s40, s0
	v_lshl_add_u64 v[34:35], v[34:35], 0, v[0:1]
	s_addc_u32 s1, s41, s1
	v_lshlrev_b32_e32 v0, 3, v9
	v_lshl_add_u64 v[36:37], s[0:1], 0, v[0:1]
	v_lshlrev_b32_e32 v0, 3, v3
	v_lshl_add_u64 v[2:3], v[36:37], 0, v[0:1]
	global_load_dwordx2 v[36:37], v[2:3], off
	global_load_dwordx2 v[38:39], v[2:3], off offset:512
	global_load_dwordx2 v[40:41], v[2:3], off offset:1024
	;; [unrolled: 1-line block ×5, first 2 shown]
	v_cmp_gt_i32_e64 s[0:1], 0, v10
	v_mov_b32_e32 v9, v1
	s_add_i32 s3, s3, -1
	v_cndmask_b32_e64 v0, v25, 0, s[0:1]
	v_xor_b32_e32 v0, v0, v10
	v_cmp_gt_i32_e64 s[0:1], 0, v11
	global_store_dword v[12:13], v0, off
	s_cmp_eq_u32 s2, s3
	v_cndmask_b32_e64 v0, v25, 0, s[0:1]
	v_xor_b32_e32 v0, v0, v11
	v_cmp_gt_i32_e64 s[0:1], 0, v14
	global_store_dword v[20:21], v0, off
	s_nop 0
	v_cndmask_b32_e64 v0, v25, 0, s[0:1]
	v_xor_b32_e32 v0, v0, v14
	v_cmp_gt_i32_e64 s[0:1], 0, v15
	global_store_dword v[22:23], v0, off
	s_nop 0
	;; [unrolled: 5-line block ×4, first 2 shown]
	v_cndmask_b32_e64 v0, v25, 0, s[0:1]
	v_xor_b32_e32 v0, v0, v31
	global_store_dword v[34:35], v0, off
	v_lshlrev_b32_e32 v0, 3, v27
	s_barrier
	s_cselect_b64 s[0:1], -1, 0
	s_xor_b64 s[2:3], vcc, -1
	s_and_b64 s[0:1], s[2:3], s[0:1]
	s_waitcnt vmcnt(11)
	ds_write_b64 v0, v[36:37] offset:2048
	v_lshlrev_b32_e32 v0, 3, v24
	s_waitcnt vmcnt(10)
	ds_write_b64 v0, v[38:39] offset:2048
	v_lshlrev_b32_e32 v0, 3, v19
	;; [unrolled: 3-line block ×5, first 2 shown]
	s_waitcnt vmcnt(6)
	ds_write_b64 v0, v[46:47] offset:2048
	s_waitcnt lgkmcnt(0)
	s_barrier
	ds_read_b64 v[2:3], v26
	ds_read2st64_b64 v[10:13], v8 offset0:4 offset1:20
	ds_read_b64 v[14:15], v48
	ds_read_b64 v[18:19], v49
	ds_read_b64 v[20:21], v50
	s_waitcnt lgkmcnt(4)
	v_lshl_add_u64 v[2:3], v[2:3], 3, s[42:43]
	v_lshl_add_u64 v[2:3], v[2:3], 0, v[8:9]
	s_waitcnt lgkmcnt(3)
	global_store_dwordx2 v[2:3], v[10:11], off
	s_waitcnt lgkmcnt(2)
	v_lshl_add_u64 v[2:3], v[14:15], 3, s[42:43]
	ds_read2st64_b64 v[14:17], v8 offset0:36 offset1:52
	v_lshlrev_b32_e32 v0, 3, v51
	v_lshl_add_u64 v[2:3], v[2:3], 0, v[0:1]
	global_store_dwordx2 v[2:3], v[12:13], off
	s_waitcnt lgkmcnt(2)
	v_lshl_add_u64 v[2:3], v[18:19], 3, s[42:43]
	v_lshlrev_b32_e32 v0, 3, v52
	v_lshl_add_u64 v[2:3], v[2:3], 0, v[0:1]
	s_waitcnt lgkmcnt(0)
	global_store_dwordx2 v[2:3], v[14:15], off
	v_lshl_add_u64 v[2:3], v[20:21], 3, s[42:43]
	v_lshlrev_b32_e32 v0, 3, v53
	v_lshl_add_u64 v[2:3], v[2:3], 0, v[0:1]
	ds_read_b64 v[14:15], v55
	global_store_dwordx2 v[2:3], v[16:17], off
	ds_read2st64_b64 v[10:13], v8 offset0:68 offset1:84
	ds_read_b64 v[2:3], v56
	v_lshlrev_b32_e32 v0, 3, v54
	s_waitcnt lgkmcnt(2)
	v_lshl_add_u64 v[14:15], v[14:15], 3, s[42:43]
	v_lshl_add_u64 v[14:15], v[14:15], 0, v[0:1]
	s_waitcnt lgkmcnt(0)
	v_lshl_add_u64 v[2:3], v[2:3], 3, s[42:43]
	v_lshlrev_b32_e32 v0, 3, v57
	v_lshl_add_u64 v[2:3], v[2:3], 0, v[0:1]
	global_store_dwordx2 v[14:15], v[10:11], off
	global_store_dwordx2 v[2:3], v[12:13], off
	s_and_saveexec_b64 s[2:3], s[0:1]
	s_cbranch_execz .LBB131_131
; %bb.130:
	ds_read_b64 v[2:3], v8
	v_mov_b32_e32 v7, v1
	v_lshl_add_u64 v[0:1], v[4:5], 0, v[6:7]
	s_waitcnt lgkmcnt(0)
	v_lshl_add_u64 v[0:1], v[0:1], 0, v[2:3]
	global_store_dwordx2 v8, v[0:1], s[46:47]
.LBB131_131:
	s_endpgm
	.section	.rodata,"a",@progbits
	.p2align	6, 0x0
	.amdhsa_kernel _ZN7rocprim17ROCPRIM_304000_NS6detail25onesweep_iteration_kernelINS1_34wrapped_radix_sort_onesweep_configINS0_14default_configEfN2at4cuda3cub6detail10OpaqueTypeILi8EEEEELb1EPKfPfPKSA_PSA_mNS0_19identity_decomposerEEEvT1_T2_T3_T4_jPT5_SO_PNS1_23onesweep_lookback_stateET6_jjj
		.amdhsa_group_segment_fixed_size 51200
		.amdhsa_private_segment_fixed_size 0
		.amdhsa_kernarg_size 336
		.amdhsa_user_sgpr_count 2
		.amdhsa_user_sgpr_dispatch_ptr 0
		.amdhsa_user_sgpr_queue_ptr 0
		.amdhsa_user_sgpr_kernarg_segment_ptr 1
		.amdhsa_user_sgpr_dispatch_id 0
		.amdhsa_user_sgpr_kernarg_preload_length 0
		.amdhsa_user_sgpr_kernarg_preload_offset 0
		.amdhsa_user_sgpr_private_segment_size 0
		.amdhsa_uses_dynamic_stack 0
		.amdhsa_enable_private_segment 0
		.amdhsa_system_sgpr_workgroup_id_x 1
		.amdhsa_system_sgpr_workgroup_id_y 0
		.amdhsa_system_sgpr_workgroup_id_z 0
		.amdhsa_system_sgpr_workgroup_info 0
		.amdhsa_system_vgpr_workitem_id 2
		.amdhsa_next_free_vgpr 58
		.amdhsa_next_free_sgpr 53
		.amdhsa_accum_offset 60
		.amdhsa_reserve_vcc 1
		.amdhsa_float_round_mode_32 0
		.amdhsa_float_round_mode_16_64 0
		.amdhsa_float_denorm_mode_32 3
		.amdhsa_float_denorm_mode_16_64 3
		.amdhsa_dx10_clamp 1
		.amdhsa_ieee_mode 1
		.amdhsa_fp16_overflow 0
		.amdhsa_tg_split 0
		.amdhsa_exception_fp_ieee_invalid_op 0
		.amdhsa_exception_fp_denorm_src 0
		.amdhsa_exception_fp_ieee_div_zero 0
		.amdhsa_exception_fp_ieee_overflow 0
		.amdhsa_exception_fp_ieee_underflow 0
		.amdhsa_exception_fp_ieee_inexact 0
		.amdhsa_exception_int_div_zero 0
	.end_amdhsa_kernel
	.section	.text._ZN7rocprim17ROCPRIM_304000_NS6detail25onesweep_iteration_kernelINS1_34wrapped_radix_sort_onesweep_configINS0_14default_configEfN2at4cuda3cub6detail10OpaqueTypeILi8EEEEELb1EPKfPfPKSA_PSA_mNS0_19identity_decomposerEEEvT1_T2_T3_T4_jPT5_SO_PNS1_23onesweep_lookback_stateET6_jjj,"axG",@progbits,_ZN7rocprim17ROCPRIM_304000_NS6detail25onesweep_iteration_kernelINS1_34wrapped_radix_sort_onesweep_configINS0_14default_configEfN2at4cuda3cub6detail10OpaqueTypeILi8EEEEELb1EPKfPfPKSA_PSA_mNS0_19identity_decomposerEEEvT1_T2_T3_T4_jPT5_SO_PNS1_23onesweep_lookback_stateET6_jjj,comdat
.Lfunc_end131:
	.size	_ZN7rocprim17ROCPRIM_304000_NS6detail25onesweep_iteration_kernelINS1_34wrapped_radix_sort_onesweep_configINS0_14default_configEfN2at4cuda3cub6detail10OpaqueTypeILi8EEEEELb1EPKfPfPKSA_PSA_mNS0_19identity_decomposerEEEvT1_T2_T3_T4_jPT5_SO_PNS1_23onesweep_lookback_stateET6_jjj, .Lfunc_end131-_ZN7rocprim17ROCPRIM_304000_NS6detail25onesweep_iteration_kernelINS1_34wrapped_radix_sort_onesweep_configINS0_14default_configEfN2at4cuda3cub6detail10OpaqueTypeILi8EEEEELb1EPKfPfPKSA_PSA_mNS0_19identity_decomposerEEEvT1_T2_T3_T4_jPT5_SO_PNS1_23onesweep_lookback_stateET6_jjj
                                        ; -- End function
	.set _ZN7rocprim17ROCPRIM_304000_NS6detail25onesweep_iteration_kernelINS1_34wrapped_radix_sort_onesweep_configINS0_14default_configEfN2at4cuda3cub6detail10OpaqueTypeILi8EEEEELb1EPKfPfPKSA_PSA_mNS0_19identity_decomposerEEEvT1_T2_T3_T4_jPT5_SO_PNS1_23onesweep_lookback_stateET6_jjj.num_vgpr, 58
	.set _ZN7rocprim17ROCPRIM_304000_NS6detail25onesweep_iteration_kernelINS1_34wrapped_radix_sort_onesweep_configINS0_14default_configEfN2at4cuda3cub6detail10OpaqueTypeILi8EEEEELb1EPKfPfPKSA_PSA_mNS0_19identity_decomposerEEEvT1_T2_T3_T4_jPT5_SO_PNS1_23onesweep_lookback_stateET6_jjj.num_agpr, 0
	.set _ZN7rocprim17ROCPRIM_304000_NS6detail25onesweep_iteration_kernelINS1_34wrapped_radix_sort_onesweep_configINS0_14default_configEfN2at4cuda3cub6detail10OpaqueTypeILi8EEEEELb1EPKfPfPKSA_PSA_mNS0_19identity_decomposerEEEvT1_T2_T3_T4_jPT5_SO_PNS1_23onesweep_lookback_stateET6_jjj.numbered_sgpr, 53
	.set _ZN7rocprim17ROCPRIM_304000_NS6detail25onesweep_iteration_kernelINS1_34wrapped_radix_sort_onesweep_configINS0_14default_configEfN2at4cuda3cub6detail10OpaqueTypeILi8EEEEELb1EPKfPfPKSA_PSA_mNS0_19identity_decomposerEEEvT1_T2_T3_T4_jPT5_SO_PNS1_23onesweep_lookback_stateET6_jjj.num_named_barrier, 0
	.set _ZN7rocprim17ROCPRIM_304000_NS6detail25onesweep_iteration_kernelINS1_34wrapped_radix_sort_onesweep_configINS0_14default_configEfN2at4cuda3cub6detail10OpaqueTypeILi8EEEEELb1EPKfPfPKSA_PSA_mNS0_19identity_decomposerEEEvT1_T2_T3_T4_jPT5_SO_PNS1_23onesweep_lookback_stateET6_jjj.private_seg_size, 0
	.set _ZN7rocprim17ROCPRIM_304000_NS6detail25onesweep_iteration_kernelINS1_34wrapped_radix_sort_onesweep_configINS0_14default_configEfN2at4cuda3cub6detail10OpaqueTypeILi8EEEEELb1EPKfPfPKSA_PSA_mNS0_19identity_decomposerEEEvT1_T2_T3_T4_jPT5_SO_PNS1_23onesweep_lookback_stateET6_jjj.uses_vcc, 1
	.set _ZN7rocprim17ROCPRIM_304000_NS6detail25onesweep_iteration_kernelINS1_34wrapped_radix_sort_onesweep_configINS0_14default_configEfN2at4cuda3cub6detail10OpaqueTypeILi8EEEEELb1EPKfPfPKSA_PSA_mNS0_19identity_decomposerEEEvT1_T2_T3_T4_jPT5_SO_PNS1_23onesweep_lookback_stateET6_jjj.uses_flat_scratch, 0
	.set _ZN7rocprim17ROCPRIM_304000_NS6detail25onesweep_iteration_kernelINS1_34wrapped_radix_sort_onesweep_configINS0_14default_configEfN2at4cuda3cub6detail10OpaqueTypeILi8EEEEELb1EPKfPfPKSA_PSA_mNS0_19identity_decomposerEEEvT1_T2_T3_T4_jPT5_SO_PNS1_23onesweep_lookback_stateET6_jjj.has_dyn_sized_stack, 0
	.set _ZN7rocprim17ROCPRIM_304000_NS6detail25onesweep_iteration_kernelINS1_34wrapped_radix_sort_onesweep_configINS0_14default_configEfN2at4cuda3cub6detail10OpaqueTypeILi8EEEEELb1EPKfPfPKSA_PSA_mNS0_19identity_decomposerEEEvT1_T2_T3_T4_jPT5_SO_PNS1_23onesweep_lookback_stateET6_jjj.has_recursion, 0
	.set _ZN7rocprim17ROCPRIM_304000_NS6detail25onesweep_iteration_kernelINS1_34wrapped_radix_sort_onesweep_configINS0_14default_configEfN2at4cuda3cub6detail10OpaqueTypeILi8EEEEELb1EPKfPfPKSA_PSA_mNS0_19identity_decomposerEEEvT1_T2_T3_T4_jPT5_SO_PNS1_23onesweep_lookback_stateET6_jjj.has_indirect_call, 0
	.section	.AMDGPU.csdata,"",@progbits
; Kernel info:
; codeLenInByte = 12012
; TotalNumSgprs: 59
; NumVgprs: 58
; NumAgprs: 0
; TotalNumVgprs: 58
; ScratchSize: 0
; MemoryBound: 0
; FloatMode: 240
; IeeeMode: 1
; LDSByteSize: 51200 bytes/workgroup (compile time only)
; SGPRBlocks: 7
; VGPRBlocks: 7
; NumSGPRsForWavesPerEU: 59
; NumVGPRsForWavesPerEU: 58
; AccumOffset: 60
; Occupancy: 8
; WaveLimiterHint : 1
; COMPUTE_PGM_RSRC2:SCRATCH_EN: 0
; COMPUTE_PGM_RSRC2:USER_SGPR: 2
; COMPUTE_PGM_RSRC2:TRAP_HANDLER: 0
; COMPUTE_PGM_RSRC2:TGID_X_EN: 1
; COMPUTE_PGM_RSRC2:TGID_Y_EN: 0
; COMPUTE_PGM_RSRC2:TGID_Z_EN: 0
; COMPUTE_PGM_RSRC2:TIDIG_COMP_CNT: 2
; COMPUTE_PGM_RSRC3_GFX90A:ACCUM_OFFSET: 14
; COMPUTE_PGM_RSRC3_GFX90A:TG_SPLIT: 0
	.section	.text._ZN7rocprim17ROCPRIM_304000_NS6detail25onesweep_iteration_kernelINS1_34wrapped_radix_sort_onesweep_configINS0_14default_configEfN2at4cuda3cub6detail10OpaqueTypeILi8EEEEELb1EPfSC_PSA_SD_mNS0_19identity_decomposerEEEvT1_T2_T3_T4_jPT5_SK_PNS1_23onesweep_lookback_stateET6_jjj,"axG",@progbits,_ZN7rocprim17ROCPRIM_304000_NS6detail25onesweep_iteration_kernelINS1_34wrapped_radix_sort_onesweep_configINS0_14default_configEfN2at4cuda3cub6detail10OpaqueTypeILi8EEEEELb1EPfSC_PSA_SD_mNS0_19identity_decomposerEEEvT1_T2_T3_T4_jPT5_SK_PNS1_23onesweep_lookback_stateET6_jjj,comdat
	.protected	_ZN7rocprim17ROCPRIM_304000_NS6detail25onesweep_iteration_kernelINS1_34wrapped_radix_sort_onesweep_configINS0_14default_configEfN2at4cuda3cub6detail10OpaqueTypeILi8EEEEELb1EPfSC_PSA_SD_mNS0_19identity_decomposerEEEvT1_T2_T3_T4_jPT5_SK_PNS1_23onesweep_lookback_stateET6_jjj ; -- Begin function _ZN7rocprim17ROCPRIM_304000_NS6detail25onesweep_iteration_kernelINS1_34wrapped_radix_sort_onesweep_configINS0_14default_configEfN2at4cuda3cub6detail10OpaqueTypeILi8EEEEELb1EPfSC_PSA_SD_mNS0_19identity_decomposerEEEvT1_T2_T3_T4_jPT5_SK_PNS1_23onesweep_lookback_stateET6_jjj
	.globl	_ZN7rocprim17ROCPRIM_304000_NS6detail25onesweep_iteration_kernelINS1_34wrapped_radix_sort_onesweep_configINS0_14default_configEfN2at4cuda3cub6detail10OpaqueTypeILi8EEEEELb1EPfSC_PSA_SD_mNS0_19identity_decomposerEEEvT1_T2_T3_T4_jPT5_SK_PNS1_23onesweep_lookback_stateET6_jjj
	.p2align	8
	.type	_ZN7rocprim17ROCPRIM_304000_NS6detail25onesweep_iteration_kernelINS1_34wrapped_radix_sort_onesweep_configINS0_14default_configEfN2at4cuda3cub6detail10OpaqueTypeILi8EEEEELb1EPfSC_PSA_SD_mNS0_19identity_decomposerEEEvT1_T2_T3_T4_jPT5_SK_PNS1_23onesweep_lookback_stateET6_jjj,@function
_ZN7rocprim17ROCPRIM_304000_NS6detail25onesweep_iteration_kernelINS1_34wrapped_radix_sort_onesweep_configINS0_14default_configEfN2at4cuda3cub6detail10OpaqueTypeILi8EEEEELb1EPfSC_PSA_SD_mNS0_19identity_decomposerEEEvT1_T2_T3_T4_jPT5_SK_PNS1_23onesweep_lookback_stateET6_jjj: ; @_ZN7rocprim17ROCPRIM_304000_NS6detail25onesweep_iteration_kernelINS1_34wrapped_radix_sort_onesweep_configINS0_14default_configEfN2at4cuda3cub6detail10OpaqueTypeILi8EEEEELb1EPfSC_PSA_SD_mNS0_19identity_decomposerEEEvT1_T2_T3_T4_jPT5_SK_PNS1_23onesweep_lookback_stateET6_jjj
; %bb.0:
	s_load_dwordx4 s[48:51], s[0:1], 0x44
	s_load_dwordx8 s[36:43], s[0:1], 0x0
	s_load_dwordx4 s[44:47], s[0:1], 0x28
	s_load_dwordx2 s[34:35], s[0:1], 0x38
	s_mov_b64 s[4:5], -1
	s_waitcnt lgkmcnt(0)
	s_cmp_ge_u32 s2, s50
	s_mul_i32 s30, s2, 0x1800
	v_mbcnt_lo_u32_b32 v1, -1, 0
	s_cbranch_scc0 .LBB132_96
; %bb.1:
	s_load_dword s3, s[0:1], 0x20
	s_mul_i32 s33, s50, 0xffffe800
	s_mov_b32 s31, 0
	s_lshl_b64 s[4:5], s[30:31], 2
	v_mbcnt_hi_u32_b32 v9, -1, v1
	s_waitcnt lgkmcnt(0)
	s_add_i32 s33, s33, s3
	s_add_u32 s4, s36, s4
	v_and_b32_e32 v2, 0x3c0, v0
	s_addc_u32 s5, s37, s5
	v_mul_u32_u24_e32 v18, 6, v2
	v_mov_b32_e32 v3, 0
	v_lshlrev_b32_e32 v2, 2, v9
	v_lshl_add_u64 v[4:5], s[4:5], 0, v[2:3]
	v_lshlrev_b32_e32 v2, 2, v18
	v_lshl_add_u64 v[10:11], v[4:5], 0, v[2:3]
	v_or_b32_e32 v12, v9, v18
	v_mov_b32_e32 v2, -1
	v_cmp_gt_u32_e32 vcc, s33, v12
	v_mov_b32_e32 v3, v2
	v_mov_b32_e32 v4, v2
	v_mov_b32_e32 v5, v2
	v_mov_b32_e32 v6, v2
	v_mov_b32_e32 v7, v2
	s_and_saveexec_b64 s[4:5], vcc
	s_cbranch_execz .LBB132_3
; %bb.2:
	global_load_dword v20, v[10:11], off
	v_mov_b32_e32 v21, v2
	v_mov_b32_e32 v22, v2
	v_mov_b32_e32 v23, v2
	v_mov_b32_e32 v24, v2
	v_mov_b32_e32 v25, v2
	s_waitcnt vmcnt(0)
	v_mov_b64_e32 v[2:3], v[20:21]
	v_mov_b64_e32 v[4:5], v[22:23]
	v_mov_b64_e32 v[6:7], v[24:25]
.LBB132_3:
	s_or_b64 exec, exec, s[4:5]
	v_add_u32_e32 v8, 64, v12
	v_cmp_gt_u32_e64 s[26:27], s33, v8
	s_and_saveexec_b64 s[4:5], s[26:27]
	s_cbranch_execz .LBB132_5
; %bb.4:
	global_load_dword v3, v[10:11], off offset:256
.LBB132_5:
	s_or_b64 exec, exec, s[4:5]
	v_add_u32_e32 v8, 0x80, v12
	v_cmp_gt_u32_e64 s[4:5], s33, v8
	s_and_saveexec_b64 s[6:7], s[4:5]
	s_cbranch_execz .LBB132_7
; %bb.6:
	global_load_dword v4, v[10:11], off offset:512
.LBB132_7:
	;; [unrolled: 8-line block ×4, first 2 shown]
	s_or_b64 exec, exec, s[10:11]
	v_add_u32_e32 v12, 0x140, v12
	v_and_b32_e32 v8, 0x3ff, v0
	v_cmp_gt_u32_e64 s[10:11], s33, v12
	s_and_saveexec_b64 s[12:13], s[10:11]
	s_cbranch_execz .LBB132_13
; %bb.12:
	global_load_dword v7, v[10:11], off offset:1280
.LBB132_13:
	s_or_b64 exec, exec, s[12:13]
	s_load_dword s12, s[0:1], 0x5c
	s_load_dword s3, s[0:1], 0x50
	s_add_u32 s13, s0, 0x50
	s_addc_u32 s14, s1, 0
	v_mov_b32_e32 v11, 0
	s_waitcnt lgkmcnt(0)
	s_lshr_b32 s15, s12, 16
	s_cmp_lt_u32 s2, s3
	s_cselect_b32 s12, 12, 18
	s_add_u32 s12, s13, s12
	s_addc_u32 s13, s14, 0
	global_load_ushort v30, v11, s[12:13]
	v_bfrev_b32_e32 v19, -2
	v_cmp_gt_i32_e64 s[12:13], 0, v2
	s_brev_b32 s28, 1
	v_bfe_u32 v10, v0, 10, 10
	v_cndmask_b32_e64 v15, v19, 0, s[12:13]
	v_xor_b32_e32 v15, v15, v2
	v_cmp_ne_u32_e64 s[12:13], s28, v15
	v_bfe_u32 v13, v0, 20, 10
	v_mad_u32_u24 v31, v13, s15, v10
	v_cndmask_b32_e64 v2, v19, v15, s[12:13]
	v_lshrrev_b32_e32 v2, s48, v2
	s_lshl_b32 s12, -1, s49
	v_bitop3_b32 v2, v2, s12, v2 bitop3:0x30
	v_and_b32_e32 v10, 1, v2
	v_lshlrev_b32_e32 v13, 30, v2
	v_mov_b32_e32 v12, v11
	v_mov_b32_e32 v20, v11
	s_not_b32 s52, s12
	v_lshlrev_b32_e32 v17, 29, v2
	v_lshlrev_b32_e32 v21, 28, v2
	v_lshl_add_u64 v[28:29], v[10:11], 0, -1
	v_cmp_ne_u32_e64 s[12:13], 0, v10
	v_not_b32_e32 v10, v13
	v_mov_b32_e32 v16, v11
	v_mov_b32_e32 v22, v11
	v_lshlrev_b32_e32 v23, 27, v2
	v_cmp_gt_i64_e64 s[14:15], 0, v[12:13]
	v_not_b32_e32 v12, v17
	v_cmp_gt_i64_e64 s[18:19], 0, v[20:21]
	v_xor_b32_e32 v20, s13, v29
	v_ashrrev_i32_e32 v10, 31, v10
	v_cmp_gt_i64_e64 s[16:17], 0, v[16:17]
	v_not_b32_e32 v13, v21
	v_cmp_gt_i64_e64 s[20:21], 0, v[22:23]
	v_xor_b32_e32 v21, s12, v28
	v_ashrrev_i32_e32 v12, 31, v12
	v_and_b32_e32 v20, exec_hi, v20
	v_xor_b32_e32 v22, s15, v10
	v_mov_b32_e32 v24, v11
	v_lshlrev_b32_e32 v25, 26, v2
	v_not_b32_e32 v16, v23
	v_ashrrev_i32_e32 v13, 31, v13
	v_and_b32_e32 v21, exec_lo, v21
	v_xor_b32_e32 v10, s14, v10
	v_xor_b32_e32 v23, s17, v12
	v_and_b32_e32 v20, v20, v22
	v_cmp_gt_i64_e64 s[22:23], 0, v[24:25]
	v_not_b32_e32 v17, v25
	v_ashrrev_i32_e32 v16, 31, v16
	v_xor_b32_e32 v12, s16, v12
	v_xor_b32_e32 v24, s19, v13
	v_and_b32_e32 v10, v21, v10
	v_and_b32_e32 v20, v20, v23
	v_mov_b32_e32 v26, v11
	v_lshlrev_b32_e32 v27, 25, v2
	v_ashrrev_i32_e32 v17, 31, v17
	v_xor_b32_e32 v13, s18, v13
	v_xor_b32_e32 v25, s21, v16
	v_and_b32_e32 v10, v10, v12
	v_and_b32_e32 v12, v20, v24
	v_cmp_gt_i64_e64 s[24:25], 0, v[26:27]
	v_xor_b32_e32 v16, s20, v16
	v_xor_b32_e32 v26, s23, v17
	v_and_b32_e32 v10, v10, v13
	v_and_b32_e32 v12, v12, v25
	;; [unrolled: 1-line block ×4, first 2 shown]
	v_xor_b32_e32 v17, s22, v17
	s_movk_i32 s29, 0x44
	v_and_b32_e32 v10, v10, v17
	v_mul_lo_u32 v32, v2, s29
	v_mul_u32_u24_e32 v14, 20, v8
	ds_write2_b32 v14, v11, v11 offset0:16 offset1:17
	ds_write2_b32 v14, v11, v11 offset0:18 offset1:19
	ds_write_b32 v14, v11 offset:80
	s_waitcnt lgkmcnt(0)
	s_barrier
	s_waitcnt vmcnt(0)
	; wave barrier
	v_mad_u64_u32 v[12:13], s[12:13], v31, v30, v[8:9]
	v_lshrrev_b32_e32 v12, 4, v12
	v_and_b32_e32 v25, 0xffffffc, v12
	v_not_b32_e32 v12, v27
	v_ashrrev_i32_e32 v12, 31, v12
	v_xor_b32_e32 v13, s25, v12
	v_xor_b32_e32 v12, s24, v12
	v_and_b32_e32 v16, v16, v13
	v_lshlrev_b32_e32 v13, 24, v2
	v_and_b32_e32 v10, v10, v12
	v_mov_b32_e32 v12, v11
	v_not_b32_e32 v2, v13
	v_cmp_gt_i64_e64 s[12:13], 0, v[12:13]
	v_ashrrev_i32_e32 v2, 31, v2
	v_add_u32_e32 v17, v25, v32
	v_xor_b32_e32 v12, s13, v2
	v_xor_b32_e32 v2, s12, v2
	v_and_b32_e32 v13, v16, v12
	v_and_b32_e32 v12, v10, v2
	v_mbcnt_lo_u32_b32 v2, v12, 0
	v_mbcnt_hi_u32_b32 v16, v13, v2
	v_cmp_eq_u32_e64 s[12:13], 0, v16
	v_cmp_ne_u64_e64 s[14:15], 0, v[12:13]
	s_and_b64 s[14:15], s[14:15], s[12:13]
	s_and_saveexec_b64 s[12:13], s[14:15]
; %bb.14:
	v_bcnt_u32_b32 v2, v12, 0
	v_bcnt_u32_b32 v2, v13, v2
	ds_write_b32 v17, v2 offset:64
; %bb.15:
	s_or_b64 exec, exec, s[12:13]
	v_cmp_gt_i32_e64 s[12:13], 0, v3
	; wave barrier
	s_nop 1
	v_cndmask_b32_e64 v2, v19, 0, s[12:13]
	v_xor_b32_e32 v12, v2, v3
	v_cmp_ne_u32_e64 s[12:13], s28, v12
	s_nop 1
	v_cndmask_b32_e64 v2, v19, v12, s[12:13]
	v_lshrrev_b32_e32 v2, s48, v2
	v_and_b32_e32 v20, s52, v2
	v_mul_lo_u32 v2, v20, s29
	v_and_b32_e32 v10, 1, v20
	v_add_u32_e32 v19, v25, v2
	v_lshl_add_u64 v[2:3], v[10:11], 0, -1
	v_cmp_ne_u32_e64 s[12:13], 0, v10
	ds_read_b32 v13, v19 offset:64
	s_nop 0
	v_xor_b32_e32 v3, s13, v3
	v_xor_b32_e32 v2, s12, v2
	v_and_b32_e32 v10, exec_hi, v3
	v_and_b32_e32 v21, exec_lo, v2
	v_lshlrev_b32_e32 v3, 30, v20
	v_mov_b32_e32 v2, v11
	v_cmp_gt_i64_e64 s[12:13], 0, v[2:3]
	v_not_b32_e32 v2, v3
	v_ashrrev_i32_e32 v2, 31, v2
	v_xor_b32_e32 v3, s13, v2
	v_xor_b32_e32 v2, s12, v2
	v_and_b32_e32 v10, v10, v3
	v_and_b32_e32 v21, v21, v2
	v_lshlrev_b32_e32 v3, 29, v20
	v_mov_b32_e32 v2, v11
	v_cmp_gt_i64_e64 s[12:13], 0, v[2:3]
	v_not_b32_e32 v2, v3
	v_ashrrev_i32_e32 v2, 31, v2
	v_xor_b32_e32 v3, s13, v2
	v_xor_b32_e32 v2, s12, v2
	v_and_b32_e32 v10, v10, v3
	v_and_b32_e32 v21, v21, v2
	;; [unrolled: 9-line block ×7, first 2 shown]
	v_mbcnt_lo_u32_b32 v10, v2, 0
	v_mbcnt_hi_u32_b32 v20, v3, v10
	v_cmp_eq_u32_e64 s[12:13], 0, v20
	v_cmp_ne_u64_e64 s[14:15], 0, v[2:3]
	s_and_b64 s[14:15], s[14:15], s[12:13]
	; wave barrier
	s_and_saveexec_b64 s[12:13], s[14:15]
	s_cbranch_execz .LBB132_17
; %bb.16:
	v_bcnt_u32_b32 v2, v2, 0
	v_bcnt_u32_b32 v2, v3, v2
	s_waitcnt lgkmcnt(0)
	v_add_u32_e32 v2, v13, v2
	ds_write_b32 v19, v2 offset:64
.LBB132_17:
	s_or_b64 exec, exec, s[12:13]
	v_bfrev_b32_e32 v26, -2
	v_cmp_gt_i32_e64 s[12:13], 0, v4
	s_brev_b32 s16, 1
	s_movk_i32 s17, 0x44
	v_cndmask_b32_e64 v2, v26, 0, s[12:13]
	v_xor_b32_e32 v21, v2, v4
	v_cmp_ne_u32_e64 s[12:13], s16, v21
	v_mov_b32_e32 v3, 0
	s_nop 0
	v_cndmask_b32_e64 v2, v26, v21, s[12:13]
	v_lshrrev_b32_e32 v2, s48, v2
	v_and_b32_e32 v4, s52, v2
	v_mul_lo_u32 v2, v4, s17
	v_add_u32_e32 v23, v25, v2
	v_and_b32_e32 v2, 1, v4
	v_lshl_add_u64 v[10:11], v[2:3], 0, -1
	v_cmp_ne_u32_e64 s[12:13], 0, v2
	; wave barrier
	ds_read_b32 v22, v23 offset:64
	s_nop 0
	v_xor_b32_e32 v10, s12, v10
	v_xor_b32_e32 v2, s13, v11
	v_and_b32_e32 v24, exec_lo, v10
	v_lshlrev_b32_e32 v11, 30, v4
	v_mov_b32_e32 v10, v3
	v_cmp_gt_i64_e64 s[12:13], 0, v[10:11]
	v_not_b32_e32 v10, v11
	v_ashrrev_i32_e32 v10, 31, v10
	v_and_b32_e32 v2, exec_hi, v2
	v_xor_b32_e32 v11, s13, v10
	v_xor_b32_e32 v10, s12, v10
	v_and_b32_e32 v2, v2, v11
	v_and_b32_e32 v24, v24, v10
	v_lshlrev_b32_e32 v11, 29, v4
	v_mov_b32_e32 v10, v3
	v_cmp_gt_i64_e64 s[12:13], 0, v[10:11]
	v_not_b32_e32 v10, v11
	v_ashrrev_i32_e32 v10, 31, v10
	v_xor_b32_e32 v11, s13, v10
	v_xor_b32_e32 v10, s12, v10
	v_and_b32_e32 v2, v2, v11
	v_and_b32_e32 v24, v24, v10
	v_lshlrev_b32_e32 v11, 28, v4
	v_mov_b32_e32 v10, v3
	v_cmp_gt_i64_e64 s[12:13], 0, v[10:11]
	v_not_b32_e32 v10, v11
	v_ashrrev_i32_e32 v10, 31, v10
	;; [unrolled: 9-line block ×5, first 2 shown]
	v_xor_b32_e32 v11, s13, v10
	v_xor_b32_e32 v10, s12, v10
	v_and_b32_e32 v2, v2, v11
	v_lshlrev_b32_e32 v11, 24, v4
	v_and_b32_e32 v24, v24, v10
	v_mov_b32_e32 v10, v3
	v_not_b32_e32 v4, v11
	v_cmp_gt_i64_e64 s[12:13], 0, v[10:11]
	v_ashrrev_i32_e32 v4, 31, v4
	s_nop 0
	v_xor_b32_e32 v10, s13, v4
	v_xor_b32_e32 v4, s12, v4
	v_and_b32_e32 v11, v2, v10
	v_and_b32_e32 v10, v24, v4
	v_mbcnt_lo_u32_b32 v2, v10, 0
	v_mbcnt_hi_u32_b32 v24, v11, v2
	v_cmp_eq_u32_e64 s[12:13], 0, v24
	v_cmp_ne_u64_e64 s[14:15], 0, v[10:11]
	s_and_b64 s[14:15], s[14:15], s[12:13]
	; wave barrier
	s_and_saveexec_b64 s[12:13], s[14:15]
	s_cbranch_execz .LBB132_19
; %bb.18:
	v_bcnt_u32_b32 v2, v10, 0
	v_bcnt_u32_b32 v2, v11, v2
	s_waitcnt lgkmcnt(0)
	v_add_u32_e32 v2, v22, v2
	ds_write_b32 v23, v2 offset:64
.LBB132_19:
	s_or_b64 exec, exec, s[12:13]
	v_cmp_gt_i32_e64 s[12:13], 0, v5
	; wave barrier
	s_nop 1
	v_cndmask_b32_e64 v2, v26, 0, s[12:13]
	v_xor_b32_e32 v11, v2, v5
	v_cmp_ne_u32_e64 s[12:13], s16, v11
	s_nop 1
	v_cndmask_b32_e64 v2, v26, v11, s[12:13]
	v_lshrrev_b32_e32 v2, s48, v2
	v_and_b32_e32 v10, s52, v2
	v_mul_lo_u32 v2, v10, s17
	v_add_u32_e32 v26, v25, v2
	v_and_b32_e32 v2, 1, v10
	v_lshl_add_u64 v[4:5], v[2:3], 0, -1
	v_cmp_ne_u32_e64 s[12:13], 0, v2
	ds_read_b32 v28, v26 offset:64
	s_nop 0
	v_xor_b32_e32 v4, s12, v4
	v_xor_b32_e32 v2, s13, v5
	v_and_b32_e32 v27, exec_lo, v4
	v_lshlrev_b32_e32 v5, 30, v10
	v_mov_b32_e32 v4, v3
	v_cmp_gt_i64_e64 s[12:13], 0, v[4:5]
	v_not_b32_e32 v4, v5
	v_ashrrev_i32_e32 v4, 31, v4
	v_and_b32_e32 v2, exec_hi, v2
	v_xor_b32_e32 v5, s13, v4
	v_xor_b32_e32 v4, s12, v4
	v_and_b32_e32 v2, v2, v5
	v_and_b32_e32 v27, v27, v4
	v_lshlrev_b32_e32 v5, 29, v10
	v_mov_b32_e32 v4, v3
	v_cmp_gt_i64_e64 s[12:13], 0, v[4:5]
	v_not_b32_e32 v4, v5
	v_ashrrev_i32_e32 v4, 31, v4
	v_xor_b32_e32 v5, s13, v4
	v_xor_b32_e32 v4, s12, v4
	v_and_b32_e32 v2, v2, v5
	v_and_b32_e32 v27, v27, v4
	v_lshlrev_b32_e32 v5, 28, v10
	v_mov_b32_e32 v4, v3
	v_cmp_gt_i64_e64 s[12:13], 0, v[4:5]
	v_not_b32_e32 v4, v5
	v_ashrrev_i32_e32 v4, 31, v4
	;; [unrolled: 9-line block ×5, first 2 shown]
	v_xor_b32_e32 v5, s13, v4
	v_xor_b32_e32 v4, s12, v4
	v_and_b32_e32 v2, v2, v5
	v_lshlrev_b32_e32 v5, 24, v10
	v_and_b32_e32 v27, v27, v4
	v_mov_b32_e32 v4, v3
	v_not_b32_e32 v3, v5
	v_cmp_gt_i64_e64 s[12:13], 0, v[4:5]
	v_ashrrev_i32_e32 v3, 31, v3
	; wave barrier
	s_nop 0
	v_xor_b32_e32 v4, s13, v3
	v_xor_b32_e32 v5, s12, v3
	v_and_b32_e32 v3, v2, v4
	v_and_b32_e32 v2, v27, v5
	v_mbcnt_lo_u32_b32 v4, v2, 0
	v_mbcnt_hi_u32_b32 v29, v3, v4
	v_cmp_eq_u32_e64 s[12:13], 0, v29
	v_cmp_ne_u64_e64 s[14:15], 0, v[2:3]
	s_and_b64 s[14:15], s[14:15], s[12:13]
	s_and_saveexec_b64 s[12:13], s[14:15]
	s_cbranch_execz .LBB132_21
; %bb.20:
	v_bcnt_u32_b32 v2, v2, 0
	v_bcnt_u32_b32 v2, v3, v2
	s_waitcnt lgkmcnt(0)
	v_add_u32_e32 v2, v28, v2
	ds_write_b32 v26, v2 offset:64
.LBB132_21:
	s_or_b64 exec, exec, s[12:13]
	v_bfrev_b32_e32 v10, -2
	v_cmp_gt_i32_e64 s[12:13], 0, v6
	v_mov_b32_e32 v3, 0
	s_nop 0
	v_cndmask_b32_e64 v2, v10, 0, s[12:13]
	v_xor_b32_e32 v6, v2, v6
	v_cmp_ne_u32_e64 s[12:13], s16, v6
	; wave barrier
	s_nop 1
	v_cndmask_b32_e64 v2, v10, v6, s[12:13]
	v_lshrrev_b32_e32 v2, s48, v2
	v_and_b32_e32 v31, s52, v2
	v_mul_lo_u32 v2, v31, s17
	v_add_u32_e32 v27, v25, v2
	v_and_b32_e32 v2, 1, v31
	v_lshl_add_u64 v[4:5], v[2:3], 0, -1
	v_cmp_ne_u32_e64 s[12:13], 0, v2
	ds_read_b32 v30, v27 offset:64
	s_nop 0
	v_xor_b32_e32 v4, s12, v4
	v_xor_b32_e32 v2, s13, v5
	v_and_b32_e32 v32, exec_lo, v4
	v_lshlrev_b32_e32 v5, 30, v31
	v_mov_b32_e32 v4, v3
	v_cmp_gt_i64_e64 s[12:13], 0, v[4:5]
	v_not_b32_e32 v4, v5
	v_ashrrev_i32_e32 v4, 31, v4
	v_and_b32_e32 v2, exec_hi, v2
	v_xor_b32_e32 v5, s13, v4
	v_xor_b32_e32 v4, s12, v4
	v_and_b32_e32 v2, v2, v5
	v_and_b32_e32 v32, v32, v4
	v_lshlrev_b32_e32 v5, 29, v31
	v_mov_b32_e32 v4, v3
	v_cmp_gt_i64_e64 s[12:13], 0, v[4:5]
	v_not_b32_e32 v4, v5
	v_ashrrev_i32_e32 v4, 31, v4
	v_xor_b32_e32 v5, s13, v4
	v_xor_b32_e32 v4, s12, v4
	v_and_b32_e32 v2, v2, v5
	v_and_b32_e32 v32, v32, v4
	v_lshlrev_b32_e32 v5, 28, v31
	v_mov_b32_e32 v4, v3
	v_cmp_gt_i64_e64 s[12:13], 0, v[4:5]
	v_not_b32_e32 v4, v5
	v_ashrrev_i32_e32 v4, 31, v4
	;; [unrolled: 9-line block ×6, first 2 shown]
	v_xor_b32_e32 v5, s13, v4
	v_xor_b32_e32 v4, s12, v4
	v_and_b32_e32 v4, v32, v4
	v_and_b32_e32 v5, v2, v5
	v_mbcnt_lo_u32_b32 v2, v4, 0
	v_mbcnt_hi_u32_b32 v31, v5, v2
	v_cmp_eq_u32_e64 s[12:13], 0, v31
	v_cmp_ne_u64_e64 s[14:15], 0, v[4:5]
	s_and_b64 s[14:15], s[14:15], s[12:13]
	; wave barrier
	s_and_saveexec_b64 s[12:13], s[14:15]
	s_cbranch_execz .LBB132_23
; %bb.22:
	v_bcnt_u32_b32 v2, v4, 0
	v_bcnt_u32_b32 v2, v5, v2
	s_waitcnt lgkmcnt(0)
	v_add_u32_e32 v2, v30, v2
	ds_write_b32 v27, v2 offset:64
.LBB132_23:
	s_or_b64 exec, exec, s[12:13]
	v_cmp_gt_i32_e64 s[12:13], 0, v7
	; wave barrier
	s_nop 1
	v_cndmask_b32_e64 v2, v10, 0, s[12:13]
	v_xor_b32_e32 v32, v2, v7
	v_cmp_ne_u32_e64 s[12:13], s16, v32
	s_nop 1
	v_cndmask_b32_e64 v2, v10, v32, s[12:13]
	v_lshrrev_b32_e32 v2, s48, v2
	v_and_b32_e32 v10, s52, v2
	v_mul_lo_u32 v2, v10, s17
	v_add_u32_e32 v7, v25, v2
	v_and_b32_e32 v2, 1, v10
	v_lshl_add_u64 v[4:5], v[2:3], 0, -1
	v_cmp_ne_u32_e64 s[12:13], 0, v2
	ds_read_b32 v33, v7 offset:64
	s_nop 0
	v_xor_b32_e32 v4, s12, v4
	v_xor_b32_e32 v2, s13, v5
	v_and_b32_e32 v25, exec_lo, v4
	v_lshlrev_b32_e32 v5, 30, v10
	v_mov_b32_e32 v4, v3
	v_cmp_gt_i64_e64 s[12:13], 0, v[4:5]
	v_not_b32_e32 v4, v5
	v_ashrrev_i32_e32 v4, 31, v4
	v_and_b32_e32 v2, exec_hi, v2
	v_xor_b32_e32 v5, s13, v4
	v_xor_b32_e32 v4, s12, v4
	v_and_b32_e32 v2, v2, v5
	v_and_b32_e32 v25, v25, v4
	v_lshlrev_b32_e32 v5, 29, v10
	v_mov_b32_e32 v4, v3
	v_cmp_gt_i64_e64 s[12:13], 0, v[4:5]
	v_not_b32_e32 v4, v5
	v_ashrrev_i32_e32 v4, 31, v4
	v_xor_b32_e32 v5, s13, v4
	v_xor_b32_e32 v4, s12, v4
	v_and_b32_e32 v2, v2, v5
	v_and_b32_e32 v25, v25, v4
	v_lshlrev_b32_e32 v5, 28, v10
	v_mov_b32_e32 v4, v3
	v_cmp_gt_i64_e64 s[12:13], 0, v[4:5]
	v_not_b32_e32 v4, v5
	v_ashrrev_i32_e32 v4, 31, v4
	v_xor_b32_e32 v5, s13, v4
	v_xor_b32_e32 v4, s12, v4
	v_and_b32_e32 v2, v2, v5
	v_and_b32_e32 v25, v25, v4
	v_lshlrev_b32_e32 v5, 27, v10
	v_mov_b32_e32 v4, v3
	v_cmp_gt_i64_e64 s[12:13], 0, v[4:5]
	v_not_b32_e32 v4, v5
	v_ashrrev_i32_e32 v4, 31, v4
	v_xor_b32_e32 v5, s13, v4
	v_xor_b32_e32 v4, s12, v4
	v_and_b32_e32 v2, v2, v5
	v_and_b32_e32 v25, v25, v4
	v_lshlrev_b32_e32 v5, 26, v10
	v_mov_b32_e32 v4, v3
	v_cmp_gt_i64_e64 s[12:13], 0, v[4:5]
	v_not_b32_e32 v4, v5
	v_ashrrev_i32_e32 v4, 31, v4
	v_xor_b32_e32 v5, s13, v4
	v_xor_b32_e32 v4, s12, v4
	v_and_b32_e32 v2, v2, v5
	v_and_b32_e32 v25, v25, v4
	v_lshlrev_b32_e32 v5, 25, v10
	v_mov_b32_e32 v4, v3
	v_cmp_gt_i64_e64 s[12:13], 0, v[4:5]
	v_not_b32_e32 v4, v5
	v_ashrrev_i32_e32 v4, 31, v4
	v_xor_b32_e32 v5, s13, v4
	v_xor_b32_e32 v4, s12, v4
	v_and_b32_e32 v2, v2, v5
	v_lshlrev_b32_e32 v5, 24, v10
	v_and_b32_e32 v25, v25, v4
	v_mov_b32_e32 v4, v3
	v_not_b32_e32 v3, v5
	v_cmp_gt_i64_e64 s[12:13], 0, v[4:5]
	v_ashrrev_i32_e32 v3, 31, v3
	; wave barrier
	s_nop 0
	v_xor_b32_e32 v4, s13, v3
	v_xor_b32_e32 v5, s12, v3
	v_and_b32_e32 v3, v2, v4
	v_and_b32_e32 v2, v25, v5
	v_mbcnt_lo_u32_b32 v4, v2, 0
	v_mbcnt_hi_u32_b32 v34, v3, v4
	v_cmp_eq_u32_e64 s[12:13], 0, v34
	v_cmp_ne_u64_e64 s[14:15], 0, v[2:3]
	s_and_b64 s[14:15], s[14:15], s[12:13]
	s_and_saveexec_b64 s[12:13], s[14:15]
	s_cbranch_execz .LBB132_25
; %bb.24:
	v_bcnt_u32_b32 v2, v2, 0
	v_bcnt_u32_b32 v2, v3, v2
	s_waitcnt lgkmcnt(0)
	v_add_u32_e32 v2, v33, v2
	ds_write_b32 v7, v2 offset:64
.LBB132_25:
	s_or_b64 exec, exec, s[12:13]
	; wave barrier
	s_waitcnt lgkmcnt(0)
	s_barrier
	ds_read2_b32 v[4:5], v14 offset0:16 offset1:17
	ds_read2_b32 v[2:3], v14 offset0:18 offset1:19
	ds_read_b32 v10, v14 offset:80
	v_cmp_lt_u32_e64 s[20:21], 31, v9
	s_waitcnt lgkmcnt(1)
	v_add3_u32 v25, v5, v4, v2
	s_waitcnt lgkmcnt(0)
	v_add3_u32 v10, v25, v3, v10
	v_and_b32_e32 v25, 15, v9
	v_cmp_eq_u32_e64 s[12:13], 0, v25
	v_mov_b32_dpp v35, v10 row_shr:1 row_mask:0xf bank_mask:0xf
	v_cmp_lt_u32_e64 s[14:15], 1, v25
	v_cndmask_b32_e64 v35, v35, 0, s[12:13]
	v_add_u32_e32 v10, v35, v10
	v_cmp_lt_u32_e64 s[16:17], 3, v25
	v_cmp_lt_u32_e64 s[18:19], 7, v25
	v_mov_b32_dpp v35, v10 row_shr:2 row_mask:0xf bank_mask:0xf
	v_cndmask_b32_e64 v35, 0, v35, s[14:15]
	v_add_u32_e32 v10, v10, v35
	s_nop 1
	v_mov_b32_dpp v35, v10 row_shr:4 row_mask:0xf bank_mask:0xf
	v_cndmask_b32_e64 v35, 0, v35, s[16:17]
	v_add_u32_e32 v10, v10, v35
	s_nop 1
	v_mov_b32_dpp v35, v10 row_shr:8 row_mask:0xf bank_mask:0xf
	v_cndmask_b32_e64 v25, 0, v35, s[18:19]
	v_add_u32_e32 v10, v10, v25
	v_bfe_i32 v35, v9, 4, 1
	s_nop 0
	v_mov_b32_dpp v25, v10 row_bcast:15 row_mask:0xf bank_mask:0xf
	v_and_b32_e32 v25, v35, v25
	v_add_u32_e32 v10, v10, v25
	v_lshrrev_b32_e32 v35, 6, v8
	s_nop 0
	v_mov_b32_dpp v25, v10 row_bcast:31 row_mask:0xf bank_mask:0xf
	v_cndmask_b32_e64 v25, 0, v25, s[20:21]
	v_add_u32_e32 v25, v10, v25
	v_and_b32_e32 v10, 63, v8
	v_cmp_eq_u32_e64 s[20:21], 63, v10
	s_and_saveexec_b64 s[22:23], s[20:21]
; %bb.26:
	v_lshlrev_b32_e32 v10, 2, v35
	ds_write_b32 v10, v25
; %bb.27:
	s_or_b64 exec, exec, s[22:23]
	v_cmp_gt_u32_e64 s[20:21], 16, v8
	v_lshlrev_b32_e32 v10, 2, v8
	s_waitcnt lgkmcnt(0)
	s_barrier
	s_and_saveexec_b64 s[22:23], s[20:21]
	s_cbranch_execz .LBB132_29
; %bb.28:
	ds_read_b32 v36, v10
	s_waitcnt lgkmcnt(0)
	s_nop 0
	v_mov_b32_dpp v37, v36 row_shr:1 row_mask:0xf bank_mask:0xf
	v_cndmask_b32_e64 v37, v37, 0, s[12:13]
	v_add_u32_e32 v36, v37, v36
	s_nop 1
	v_mov_b32_dpp v37, v36 row_shr:2 row_mask:0xf bank_mask:0xf
	v_cndmask_b32_e64 v37, 0, v37, s[14:15]
	v_add_u32_e32 v36, v36, v37
	s_nop 1
	v_mov_b32_dpp v37, v36 row_shr:4 row_mask:0xf bank_mask:0xf
	v_cndmask_b32_e64 v37, 0, v37, s[16:17]
	v_add_u32_e32 v36, v36, v37
	s_nop 1
	v_mov_b32_dpp v37, v36 row_shr:8 row_mask:0xf bank_mask:0xf
	v_cndmask_b32_e64 v37, 0, v37, s[18:19]
	v_add_u32_e32 v36, v36, v37
	ds_write_b32 v10, v36
.LBB132_29:
	s_or_b64 exec, exec, s[22:23]
	v_cmp_lt_u32_e64 s[12:13], 63, v8
	v_mov_b32_e32 v36, 0
	s_waitcnt lgkmcnt(0)
	s_barrier
	s_and_saveexec_b64 s[14:15], s[12:13]
; %bb.30:
	v_lshl_add_u32 v35, v35, 2, -4
	ds_read_b32 v36, v35
; %bb.31:
	s_or_b64 exec, exec, s[14:15]
	v_add_u32_e32 v35, -1, v9
	v_and_b32_e32 v37, 64, v9
	v_cmp_lt_i32_e64 s[12:13], v35, v37
	s_waitcnt lgkmcnt(0)
	v_add_u32_e32 v25, v36, v25
	s_movk_i32 s16, 0x100
	v_cndmask_b32_e64 v35, v35, v9, s[12:13]
	v_lshlrev_b32_e32 v35, 2, v35
	ds_bpermute_b32 v25, v35, v25
	v_cmp_eq_u32_e64 s[12:13], 0, v9
	v_cmp_gt_u32_e64 s[14:15], s16, v8
	s_waitcnt lgkmcnt(0)
	v_cndmask_b32_e64 v25, v25, v36, s[12:13]
	v_cmp_ne_u32_e64 s[12:13], 0, v8
	s_nop 1
	v_cndmask_b32_e64 v25, 0, v25, s[12:13]
	v_add_u32_e32 v4, v25, v4
	v_add_u32_e32 v5, v4, v5
	;; [unrolled: 1-line block ×4, first 2 shown]
	ds_write2_b32 v14, v25, v4 offset0:16 offset1:17
	ds_write2_b32 v14, v5, v2 offset0:18 offset1:19
	ds_write_b32 v14, v3 offset:80
	s_waitcnt lgkmcnt(0)
	s_barrier
	ds_read_b32 v5, v17 offset:64
	ds_read_b32 v14, v19 offset:64
	ds_read_b32 v17, v23 offset:64
	ds_read_b32 v19, v26 offset:64
	ds_read_b32 v23, v27 offset:64
	ds_read_b32 v35, v7 offset:64
	s_movk_i32 s12, 0xff
	v_cmp_lt_u32_e64 s[12:13], s12, v8
	v_mov_b64_e32 v[2:3], 0
                                        ; implicit-def: $vgpr4
	s_and_saveexec_b64 s[18:19], s[14:15]
	s_cbranch_execz .LBB132_35
; %bb.32:
	v_mul_u32_u24_e32 v2, 0x44, v8
	ds_read_b32 v2, v2 offset:64
	v_add_u32_e32 v4, 1, v8
	v_cmp_ne_u32_e64 s[16:17], s16, v4
	v_mov_b32_e32 v3, 0x1800
	s_and_saveexec_b64 s[20:21], s[16:17]
; %bb.33:
	v_mul_u32_u24_e32 v3, 0x44, v4
	ds_read_b32 v3, v3 offset:64
; %bb.34:
	s_or_b64 exec, exec, s[20:21]
	s_waitcnt lgkmcnt(0)
	v_sub_u32_e32 v4, v3, v2
	v_mov_b32_e32 v3, 0
.LBB132_35:
	s_or_b64 exec, exec, s[18:19]
	s_waitcnt lgkmcnt(5)
	v_add_u32_e32 v27, v5, v16
	s_waitcnt lgkmcnt(4)
	v_add3_u32 v26, v20, v13, v14
	v_lshlrev_b32_e32 v13, 2, v27
	s_waitcnt lgkmcnt(3)
	v_add3_u32 v25, v24, v22, v17
	s_waitcnt lgkmcnt(0)
	s_barrier
	ds_write_b32 v13, v15 offset:2048
	v_lshlrev_b32_e32 v13, 2, v26
	v_add3_u32 v24, v29, v28, v19
	ds_write_b32 v13, v12 offset:2048
	v_lshlrev_b32_e32 v12, 2, v25
	v_add3_u32 v7, v31, v30, v23
	;; [unrolled: 3-line block ×3, first 2 shown]
	ds_write_b32 v12, v11 offset:2048
	v_lshlrev_b32_e32 v11, 2, v7
	ds_write_b32 v11, v6 offset:2048
	v_lshlrev_b32_e32 v6, 2, v5
	ds_write_b32 v6, v32 offset:2048
	v_mov_b32_e32 v13, 0
	v_lshlrev_b32_e32 v6, 3, v8
	s_waitcnt lgkmcnt(0)
	s_barrier
	s_and_saveexec_b64 s[16:17], s[14:15]
	s_cbranch_execz .LBB132_45
; %bb.36:
	v_lshl_add_u32 v12, s2, 8, v8
	v_lshl_add_u64 v[14:15], v[12:13], 2, s[34:35]
	v_or_b32_e32 v11, 2.0, v4
	global_store_dword v[14:15], v11, off sc1
	s_mov_b64 s[18:19], 0
	s_brev_b32 s24, -4
	s_mov_b32 s25, s2
	v_mov_b32_e32 v11, 0
                                        ; implicit-def: $sgpr14_sgpr15
	s_branch .LBB132_39
.LBB132_37:                             ;   in Loop: Header=BB132_39 Depth=1
	s_or_b64 exec, exec, s[22:23]
.LBB132_38:                             ;   in Loop: Header=BB132_39 Depth=1
	s_or_b64 exec, exec, s[20:21]
	v_and_b32_e32 v16, 0x3fffffff, v12
	v_add_u32_e32 v11, v16, v11
	v_cmp_gt_i32_e64 s[14:15], -2.0, v12
	s_and_b64 s[20:21], exec, s[14:15]
	s_or_b64 s[18:19], s[20:21], s[18:19]
	s_andn2_b64 exec, exec, s[18:19]
	s_cbranch_execz .LBB132_44
.LBB132_39:                             ; =>This Loop Header: Depth=1
                                        ;     Child Loop BB132_42 Depth 2
	s_or_b64 s[14:15], s[14:15], exec
	s_cmp_eq_u32 s25, 0
	s_cbranch_scc1 .LBB132_43
; %bb.40:                               ;   in Loop: Header=BB132_39 Depth=1
	s_add_i32 s25, s25, -1
	v_lshl_or_b32 v12, s25, 8, v8
	v_lshl_add_u64 v[16:17], v[12:13], 2, s[34:35]
	global_load_dword v12, v[16:17], off sc1
	s_waitcnt vmcnt(0)
	v_cmp_gt_u32_e64 s[14:15], 2.0, v12
	s_and_saveexec_b64 s[20:21], s[14:15]
	s_cbranch_execz .LBB132_38
; %bb.41:                               ;   in Loop: Header=BB132_39 Depth=1
	s_mov_b64 s[22:23], 0
.LBB132_42:                             ;   Parent Loop BB132_39 Depth=1
                                        ; =>  This Inner Loop Header: Depth=2
	global_load_dword v12, v[16:17], off sc1
	s_waitcnt vmcnt(0)
	v_cmp_lt_u32_e64 s[14:15], s24, v12
	s_or_b64 s[22:23], s[14:15], s[22:23]
	s_andn2_b64 exec, exec, s[22:23]
	s_cbranch_execnz .LBB132_42
	s_branch .LBB132_37
.LBB132_43:                             ;   in Loop: Header=BB132_39 Depth=1
                                        ; implicit-def: $sgpr25
	s_and_b64 s[20:21], exec, s[14:15]
	s_or_b64 s[18:19], s[20:21], s[18:19]
	s_andn2_b64 exec, exec, s[18:19]
	s_cbranch_execnz .LBB132_39
.LBB132_44:
	s_or_b64 exec, exec, s[18:19]
	v_add_u32_e32 v12, v11, v4
	v_or_b32_e32 v12, 0x80000000, v12
	global_store_dword v[14:15], v12, off sc1
	global_load_dwordx2 v[12:13], v6, s[44:45]
	v_sub_co_u32_e64 v14, s[14:15], v11, v2
	s_nop 1
	v_subb_co_u32_e64 v15, s[14:15], 0, v3, s[14:15]
	s_waitcnt vmcnt(0)
	v_lshl_add_u64 v[12:13], v[14:15], 0, v[12:13]
	ds_write_b64 v6, v[12:13]
.LBB132_45:
	s_or_b64 exec, exec, s[16:17]
	v_cmp_gt_u32_e64 s[14:15], s33, v8
	s_waitcnt lgkmcnt(0)
	s_barrier
	s_and_saveexec_b64 s[18:19], s[14:15]
	s_cbranch_execz .LBB132_47
; %bb.46:
	v_sub_u32_e32 v11, v6, v10
	ds_read_b32 v11, v11 offset:2048
	s_brev_b32 s16, 1
	v_bfrev_b32_e32 v14, -2
	s_waitcnt lgkmcnt(0)
	v_cmp_ne_u32_e64 s[16:17], s16, v11
	s_nop 1
	v_cndmask_b32_e64 v12, v14, v11, s[16:17]
	v_lshrrev_b32_e32 v12, s48, v12
	v_and_b32_e32 v12, s52, v12
	v_lshlrev_b32_e32 v12, 3, v12
	ds_read_b64 v[12:13], v12
	v_cmp_gt_i32_e64 s[16:17], 0, v11
	s_waitcnt lgkmcnt(0)
	v_lshl_add_u64 v[12:13], v[12:13], 2, s[38:39]
	v_cndmask_b32_e64 v14, v14, 0, s[16:17]
	v_xor_b32_e32 v14, v14, v11
	v_mov_b32_e32 v11, 0
	v_lshl_add_u64 v[12:13], v[12:13], 0, v[10:11]
	global_store_dword v[12:13], v14, off
.LBB132_47:
	s_or_b64 exec, exec, s[18:19]
	v_or_b32_e32 v11, 0x400, v8
	v_cmp_gt_u32_e64 s[16:17], s33, v11
	s_and_saveexec_b64 s[20:21], s[16:17]
	s_cbranch_execz .LBB132_49
; %bb.48:
	v_sub_u32_e32 v12, v6, v10
	ds_read_b32 v15, v12 offset:6144
	s_brev_b32 s18, 1
	v_bfrev_b32_e32 v16, -2
	v_lshlrev_b32_e32 v14, 2, v11
	s_waitcnt lgkmcnt(0)
	v_cmp_ne_u32_e64 s[18:19], s18, v15
	s_nop 1
	v_cndmask_b32_e64 v12, v16, v15, s[18:19]
	v_lshrrev_b32_e32 v12, s48, v12
	v_and_b32_e32 v12, s52, v12
	v_lshlrev_b32_e32 v12, 3, v12
	ds_read_b64 v[12:13], v12
	v_cmp_gt_i32_e64 s[18:19], 0, v15
	s_waitcnt lgkmcnt(0)
	v_lshl_add_u64 v[12:13], v[12:13], 2, s[38:39]
	v_cndmask_b32_e64 v16, v16, 0, s[18:19]
	v_xor_b32_e32 v16, v16, v15
	v_mov_b32_e32 v15, 0
	v_lshl_add_u64 v[12:13], v[12:13], 0, v[14:15]
	global_store_dword v[12:13], v16, off
.LBB132_49:
	s_or_b64 exec, exec, s[20:21]
	v_or_b32_e32 v28, 0x800, v8
	v_cmp_gt_u32_e64 s[18:19], s33, v28
	s_and_saveexec_b64 s[22:23], s[18:19]
	s_cbranch_execz .LBB132_51
; %bb.50:
	v_sub_u32_e32 v12, v6, v10
	ds_read_b32 v15, v12 offset:10240
	s_brev_b32 s20, 1
	v_bfrev_b32_e32 v16, -2
	v_lshlrev_b32_e32 v14, 2, v28
	s_waitcnt lgkmcnt(0)
	v_cmp_ne_u32_e64 s[20:21], s20, v15
	s_nop 1
	v_cndmask_b32_e64 v12, v16, v15, s[20:21]
	v_lshrrev_b32_e32 v12, s48, v12
	v_and_b32_e32 v12, s52, v12
	v_lshlrev_b32_e32 v12, 3, v12
	ds_read_b64 v[12:13], v12
	v_cmp_gt_i32_e64 s[20:21], 0, v15
	s_waitcnt lgkmcnt(0)
	v_lshl_add_u64 v[12:13], v[12:13], 2, s[38:39]
	v_cndmask_b32_e64 v16, v16, 0, s[20:21]
	v_xor_b32_e32 v16, v16, v15
	v_mov_b32_e32 v15, 0
	v_lshl_add_u64 v[12:13], v[12:13], 0, v[14:15]
	global_store_dword v[12:13], v16, off
.LBB132_51:
	;; [unrolled: 28-line block ×5, first 2 shown]
	s_or_b64 exec, exec, s[50:51]
	s_lshl_b64 s[28:29], s[30:31], 3
	s_add_u32 s28, s40, s28
	s_addc_u32 s29, s41, s29
	v_lshlrev_b32_e32 v8, 3, v9
	v_mov_b32_e32 v9, 0
	v_lshl_add_u64 v[12:13], s[28:29], 0, v[8:9]
	v_lshlrev_b32_e32 v8, 3, v18
	v_lshl_add_u64 v[22:23], v[12:13], 0, v[8:9]
                                        ; implicit-def: $vgpr8_vgpr9
	s_and_saveexec_b64 s[28:29], vcc
	s_xor_b64 s[28:29], exec, s[28:29]
	s_cbranch_execz .LBB132_63
; %bb.58:
	global_load_dwordx2 v[8:9], v[22:23], off
	s_or_b64 exec, exec, s[28:29]
                                        ; implicit-def: $vgpr12_vgpr13
	s_and_saveexec_b64 s[28:29], s[26:27]
	s_cbranch_execnz .LBB132_64
.LBB132_59:
	s_or_b64 exec, exec, s[28:29]
                                        ; implicit-def: $vgpr14_vgpr15
	s_and_saveexec_b64 s[26:27], s[4:5]
	s_cbranch_execz .LBB132_65
.LBB132_60:
	global_load_dwordx2 v[14:15], v[22:23], off offset:1024
	s_or_b64 exec, exec, s[26:27]
                                        ; implicit-def: $vgpr16_vgpr17
	s_and_saveexec_b64 s[4:5], s[6:7]
	s_cbranch_execnz .LBB132_66
.LBB132_61:
	s_or_b64 exec, exec, s[4:5]
                                        ; implicit-def: $vgpr18_vgpr19
	s_and_saveexec_b64 s[4:5], s[8:9]
	s_cbranch_execz .LBB132_67
.LBB132_62:
	global_load_dwordx2 v[18:19], v[22:23], off offset:2048
	s_or_b64 exec, exec, s[4:5]
                                        ; implicit-def: $vgpr20_vgpr21
	s_and_saveexec_b64 s[4:5], s[10:11]
	s_cbranch_execnz .LBB132_68
	s_branch .LBB132_69
.LBB132_63:
	s_or_b64 exec, exec, s[28:29]
                                        ; implicit-def: $vgpr12_vgpr13
	s_and_saveexec_b64 s[28:29], s[26:27]
	s_cbranch_execz .LBB132_59
.LBB132_64:
	global_load_dwordx2 v[12:13], v[22:23], off offset:512
	s_or_b64 exec, exec, s[28:29]
                                        ; implicit-def: $vgpr14_vgpr15
	s_and_saveexec_b64 s[26:27], s[4:5]
	s_cbranch_execnz .LBB132_60
.LBB132_65:
	s_or_b64 exec, exec, s[26:27]
                                        ; implicit-def: $vgpr16_vgpr17
	s_and_saveexec_b64 s[4:5], s[6:7]
	s_cbranch_execz .LBB132_61
.LBB132_66:
	global_load_dwordx2 v[16:17], v[22:23], off offset:1536
	s_or_b64 exec, exec, s[4:5]
                                        ; implicit-def: $vgpr18_vgpr19
	s_and_saveexec_b64 s[4:5], s[8:9]
	s_cbranch_execnz .LBB132_62
.LBB132_67:
	s_or_b64 exec, exec, s[4:5]
                                        ; implicit-def: $vgpr20_vgpr21
	s_and_saveexec_b64 s[4:5], s[10:11]
	s_cbranch_execz .LBB132_69
.LBB132_68:
	global_load_dwordx2 v[20:21], v[22:23], off offset:2560
.LBB132_69:
	s_or_b64 exec, exec, s[4:5]
	v_mov_b32_e32 v22, 0
	v_mov_b32_e32 v33, 0
	s_and_saveexec_b64 s[4:5], s[14:15]
	s_cbranch_execz .LBB132_71
; %bb.70:
	v_sub_u32_e32 v23, v6, v10
	ds_read_b32 v23, v23 offset:2048
	s_brev_b32 s6, 1
	v_bfrev_b32_e32 v32, -2
	s_waitcnt lgkmcnt(0)
	v_cmp_ne_u32_e32 vcc, s6, v23
	s_nop 1
	v_cndmask_b32_e32 v23, v32, v23, vcc
	v_lshrrev_b32_e32 v23, s48, v23
	v_and_b32_e32 v33, s52, v23
.LBB132_71:
	s_or_b64 exec, exec, s[4:5]
	s_and_saveexec_b64 s[4:5], s[16:17]
	s_cbranch_execz .LBB132_73
; %bb.72:
	v_sub_u32_e32 v22, v6, v10
	ds_read_b32 v22, v22 offset:6144
	s_brev_b32 s6, 1
	v_bfrev_b32_e32 v23, -2
	s_waitcnt lgkmcnt(0)
	v_cmp_ne_u32_e32 vcc, s6, v22
	s_nop 1
	v_cndmask_b32_e32 v22, v23, v22, vcc
	v_lshrrev_b32_e32 v22, s48, v22
	v_and_b32_e32 v22, s52, v22
.LBB132_73:
	s_or_b64 exec, exec, s[4:5]
	v_mov_b32_e32 v23, 0
	v_mov_b32_e32 v34, 0
	s_and_saveexec_b64 s[4:5], s[18:19]
	s_cbranch_execz .LBB132_75
; %bb.74:
	v_sub_u32_e32 v32, v6, v10
	ds_read_b32 v32, v32 offset:10240
	s_brev_b32 s6, 1
	v_bfrev_b32_e32 v34, -2
	s_waitcnt lgkmcnt(0)
	v_cmp_ne_u32_e32 vcc, s6, v32
	s_nop 1
	v_cndmask_b32_e32 v32, v34, v32, vcc
	v_lshrrev_b32_e32 v32, s48, v32
	v_and_b32_e32 v34, s52, v32
.LBB132_75:
	s_or_b64 exec, exec, s[4:5]
	s_and_saveexec_b64 s[4:5], s[20:21]
	s_cbranch_execz .LBB132_77
; %bb.76:
	v_sub_u32_e32 v23, v6, v10
	ds_read_b32 v23, v23 offset:14336
	s_brev_b32 s6, 1
	v_bfrev_b32_e32 v32, -2
	s_waitcnt lgkmcnt(0)
	v_cmp_ne_u32_e32 vcc, s6, v23
	s_nop 1
	v_cndmask_b32_e32 v23, v32, v23, vcc
	v_lshrrev_b32_e32 v23, s48, v23
	v_and_b32_e32 v23, s52, v23
.LBB132_77:
	;; [unrolled: 32-line block ×3, first 2 shown]
	s_or_b64 exec, exec, s[4:5]
	v_lshlrev_b32_e32 v10, 3, v27
	s_barrier
	s_waitcnt vmcnt(0)
	ds_write_b64 v10, v[8:9] offset:2048
	v_lshlrev_b32_e32 v8, 3, v26
	ds_write_b64 v8, v[12:13] offset:2048
	v_lshlrev_b32_e32 v8, 3, v25
	;; [unrolled: 2-line block ×3, first 2 shown]
	v_lshlrev_b32_e32 v7, 3, v7
	v_lshlrev_b32_e32 v5, 3, v5
	ds_write_b64 v8, v[16:17] offset:2048
	ds_write_b64 v7, v[18:19] offset:2048
	;; [unrolled: 1-line block ×3, first 2 shown]
	s_waitcnt lgkmcnt(0)
	s_barrier
	s_and_saveexec_b64 s[4:5], s[14:15]
	s_cbranch_execz .LBB132_87
; %bb.82:
	v_lshlrev_b32_e32 v5, 3, v33
	ds_read_b64 v[8:9], v5
	ds_read_b64 v[12:13], v6 offset:2048
	v_mov_b32_e32 v7, 0
	s_waitcnt lgkmcnt(1)
	v_lshl_add_u64 v[8:9], v[8:9], 3, s[42:43]
	v_lshl_add_u64 v[8:9], v[8:9], 0, v[6:7]
	s_waitcnt lgkmcnt(0)
	global_store_dwordx2 v[8:9], v[12:13], off
	s_or_b64 exec, exec, s[4:5]
	s_and_saveexec_b64 s[4:5], s[16:17]
	s_cbranch_execnz .LBB132_88
.LBB132_83:
	s_or_b64 exec, exec, s[4:5]
	s_and_saveexec_b64 s[4:5], s[18:19]
	s_cbranch_execz .LBB132_89
.LBB132_84:
	v_lshlrev_b32_e32 v5, 3, v34
	ds_read_b64 v[8:9], v5
	ds_read_b64 v[10:11], v6 offset:18432
	v_lshlrev_b32_e32 v12, 3, v28
	v_mov_b32_e32 v13, 0
	s_waitcnt lgkmcnt(1)
	v_lshl_add_u64 v[8:9], v[8:9], 3, s[42:43]
	v_lshl_add_u64 v[8:9], v[8:9], 0, v[12:13]
	s_waitcnt lgkmcnt(0)
	global_store_dwordx2 v[8:9], v[10:11], off
	s_or_b64 exec, exec, s[4:5]
	s_and_saveexec_b64 s[4:5], s[20:21]
	s_cbranch_execnz .LBB132_90
.LBB132_85:
	s_or_b64 exec, exec, s[4:5]
	s_and_saveexec_b64 s[4:5], s[22:23]
	s_cbranch_execz .LBB132_91
.LBB132_86:
	v_lshlrev_b32_e32 v5, 3, v35
	ds_read_b64 v[8:9], v5
	ds_read_b64 v[10:11], v6 offset:34816
	v_lshlrev_b32_e32 v12, 3, v30
	v_mov_b32_e32 v13, 0
	s_waitcnt lgkmcnt(1)
	v_lshl_add_u64 v[8:9], v[8:9], 3, s[42:43]
	v_lshl_add_u64 v[8:9], v[8:9], 0, v[12:13]
	s_waitcnt lgkmcnt(0)
	global_store_dwordx2 v[8:9], v[10:11], off
	s_or_b64 exec, exec, s[4:5]
	s_and_saveexec_b64 s[4:5], s[24:25]
	s_cbranch_execnz .LBB132_92
	s_branch .LBB132_93
.LBB132_87:
	s_or_b64 exec, exec, s[4:5]
	s_and_saveexec_b64 s[4:5], s[16:17]
	s_cbranch_execz .LBB132_83
.LBB132_88:
	v_lshlrev_b32_e32 v5, 3, v22
	ds_read_b64 v[8:9], v5
	ds_read_b64 v[12:13], v6 offset:10240
	v_lshlrev_b32_e32 v10, 3, v11
	v_mov_b32_e32 v11, 0
	s_waitcnt lgkmcnt(1)
	v_lshl_add_u64 v[8:9], v[8:9], 3, s[42:43]
	v_lshl_add_u64 v[8:9], v[8:9], 0, v[10:11]
	s_waitcnt lgkmcnt(0)
	global_store_dwordx2 v[8:9], v[12:13], off
	s_or_b64 exec, exec, s[4:5]
	s_and_saveexec_b64 s[4:5], s[18:19]
	s_cbranch_execnz .LBB132_84
.LBB132_89:
	s_or_b64 exec, exec, s[4:5]
	s_and_saveexec_b64 s[4:5], s[20:21]
	s_cbranch_execz .LBB132_85
.LBB132_90:
	v_lshlrev_b32_e32 v5, 3, v23
	ds_read_b64 v[8:9], v5
	ds_read_b64 v[10:11], v6 offset:26624
	v_lshlrev_b32_e32 v12, 3, v29
	v_mov_b32_e32 v13, 0
	s_waitcnt lgkmcnt(1)
	v_lshl_add_u64 v[8:9], v[8:9], 3, s[42:43]
	v_lshl_add_u64 v[8:9], v[8:9], 0, v[12:13]
	s_waitcnt lgkmcnt(0)
	global_store_dwordx2 v[8:9], v[10:11], off
	s_or_b64 exec, exec, s[4:5]
	s_and_saveexec_b64 s[4:5], s[22:23]
	s_cbranch_execnz .LBB132_86
.LBB132_91:
	s_or_b64 exec, exec, s[4:5]
	s_and_saveexec_b64 s[4:5], s[24:25]
	s_cbranch_execz .LBB132_93
.LBB132_92:
	v_lshlrev_b32_e32 v5, 3, v32
	ds_read_b64 v[8:9], v5
	ds_read_b64 v[10:11], v6 offset:43008
	v_lshlrev_b32_e32 v12, 3, v31
	v_mov_b32_e32 v13, 0
	s_waitcnt lgkmcnt(1)
	v_lshl_add_u64 v[8:9], v[8:9], 3, s[42:43]
	v_lshl_add_u64 v[8:9], v[8:9], 0, v[12:13]
	s_waitcnt lgkmcnt(0)
	global_store_dwordx2 v[8:9], v[10:11], off
.LBB132_93:
	s_or_b64 exec, exec, s[4:5]
	s_add_i32 s3, s3, -1
	s_cmp_eq_u32 s2, s3
	s_cselect_b64 s[4:5], -1, 0
	s_xor_b64 s[6:7], s[12:13], -1
	s_and_b64 s[6:7], s[6:7], s[4:5]
	s_and_saveexec_b64 s[4:5], s[6:7]
	s_cbranch_execz .LBB132_95
; %bb.94:
	ds_read_b64 v[8:9], v6
	v_mov_b32_e32 v5, 0
	v_lshl_add_u64 v[2:3], v[2:3], 0, v[4:5]
	s_waitcnt lgkmcnt(0)
	v_lshl_add_u64 v[2:3], v[2:3], 0, v[8:9]
	global_store_dwordx2 v6, v[2:3], s[46:47]
.LBB132_95:
	s_or_b64 exec, exec, s[4:5]
	s_mov_b64 s[4:5], 0
.LBB132_96:
	s_and_b64 vcc, exec, s[4:5]
	s_cbranch_vccz .LBB132_131
; %bb.97:
	s_mov_b32 s31, 0
	s_lshl_b64 s[4:5], s[30:31], 2
	s_add_u32 s4, s36, s4
	v_mbcnt_hi_u32_b32 v9, -1, v1
	s_addc_u32 s5, s37, s5
	v_and_b32_e32 v1, 0x3c0, v0
	v_mov_b32_e32 v5, 0
	v_lshlrev_b32_e32 v4, 2, v9
	v_mul_u32_u24_e32 v3, 6, v1
	v_lshl_add_u64 v[6:7], s[4:5], 0, v[4:5]
	s_load_dword s3, s[0:1], 0x50
	s_load_dword s4, s[0:1], 0x5c
	v_lshlrev_b32_e32 v4, 2, v3
	v_lshl_add_u64 v[18:19], v[6:7], 0, v[4:5]
	global_load_dword v1, v[18:19], off
	s_add_u32 s0, s0, 0x50
	s_addc_u32 s1, s1, 0
	s_waitcnt lgkmcnt(0)
	s_lshr_b32 s4, s4, 16
	s_cmp_lt_u32 s2, s3
	s_cselect_b32 s5, 12, 18
	s_add_u32 s0, s0, s5
	s_addc_u32 s1, s1, 0
	global_load_ushort v4, v5, s[0:1]
	v_and_b32_e32 v2, 0x3ff, v0
	v_mul_u32_u24_e32 v10, 20, v2
	ds_write2_b32 v10, v5, v5 offset0:16 offset1:17
	ds_write2_b32 v10, v5, v5 offset0:18 offset1:19
	ds_write_b32 v10, v5 offset:80
	global_load_dword v13, v[18:19], off offset:256
	global_load_dword v17, v[18:19], off offset:512
	;; [unrolled: 1-line block ×5, first 2 shown]
	v_bfrev_b32_e32 v14, -2
	v_bfe_u32 v7, v0, 10, 10
	v_bfe_u32 v8, v0, 20, 10
	v_mad_u32_u24 v7, v8, s4, v7
	s_brev_b32 s10, 1
	s_lshl_b32 s4, -1, s49
	v_mov_b32_e32 v0, v5
	v_mov_b32_e32 v24, v5
	;; [unrolled: 1-line block ×3, first 2 shown]
	s_not_b32 s12, s4
	v_mov_b32_e32 v28, v5
	s_movk_i32 s11, 0x44
	s_waitcnt lgkmcnt(0)
	s_barrier
	s_waitcnt vmcnt(6)
	; wave barrier
	v_cmp_gt_i32_e32 vcc, 0, v1
	s_nop 1
	v_cndmask_b32_e64 v8, v14, 0, vcc
	v_xor_b32_e32 v8, v8, v1
	v_cmp_ne_u32_e32 vcc, s10, v8
	s_waitcnt vmcnt(5)
	v_mad_u64_u32 v[18:19], s[0:1], v7, v4, v[2:3]
	v_cndmask_b32_e32 v1, v14, v8, vcc
	v_lshrrev_b32_e32 v1, s48, v1
	v_bitop3_b32 v12, v1, s4, v1 bitop3:0x30
	v_and_b32_e32 v4, 1, v12
	v_lshlrev_b32_e32 v1, 30, v12
	v_lshrrev_b32_e32 v7, 6, v18
	v_lshlrev_b32_e32 v25, 29, v12
	v_lshl_add_u64 v[18:19], v[4:5], 0, -1
	v_cmp_ne_u32_e32 vcc, 0, v4
	v_cmp_gt_i64_e64 s[0:1], 0, v[0:1]
	v_not_b32_e32 v0, v1
	v_lshlrev_b32_e32 v27, 28, v12
	v_not_b32_e32 v1, v25
	v_xor_b32_e32 v16, vcc_hi, v19
	v_xor_b32_e32 v18, vcc_lo, v18
	v_ashrrev_i32_e32 v0, 31, v0
	v_lshlrev_b32_e32 v29, 27, v12
	v_cmp_gt_i64_e64 s[4:5], 0, v[24:25]
	v_not_b32_e32 v4, v27
	v_ashrrev_i32_e32 v1, 31, v1
	v_and_b32_e32 v16, exec_hi, v16
	v_and_b32_e32 v18, exec_lo, v18
	v_xor_b32_e32 v19, s1, v0
	v_xor_b32_e32 v0, s0, v0
	v_cmp_gt_i64_e64 s[6:7], 0, v[26:27]
	v_not_b32_e32 v15, v29
	v_ashrrev_i32_e32 v4, 31, v4
	v_xor_b32_e32 v20, s5, v1
	v_xor_b32_e32 v1, s4, v1
	v_and_b32_e32 v16, v16, v19
	v_and_b32_e32 v0, v18, v0
	v_cmp_gt_i64_e64 s[8:9], 0, v[28:29]
	v_ashrrev_i32_e32 v15, 31, v15
	v_xor_b32_e32 v22, s7, v4
	v_xor_b32_e32 v4, s6, v4
	v_and_b32_e32 v16, v16, v20
	v_and_b32_e32 v0, v0, v1
	v_xor_b32_e32 v24, s9, v15
	v_xor_b32_e32 v15, s8, v15
	v_and_b32_e32 v1, v16, v22
	v_and_b32_e32 v0, v0, v4
	;; [unrolled: 1-line block ×4, first 2 shown]
	v_lshlrev_b32_e32 v1, 26, v12
	v_mov_b32_e32 v0, v5
	v_cmp_gt_i64_e32 vcc, 0, v[0:1]
	v_not_b32_e32 v0, v1
	v_ashrrev_i32_e32 v0, 31, v0
	v_xor_b32_e32 v1, vcc_hi, v0
	v_xor_b32_e32 v0, vcc_lo, v0
	v_and_b32_e32 v4, v4, v1
	v_and_b32_e32 v15, v15, v0
	v_lshlrev_b32_e32 v1, 25, v12
	v_mov_b32_e32 v0, v5
	v_cmp_gt_i64_e32 vcc, 0, v[0:1]
	v_not_b32_e32 v0, v1
	v_ashrrev_i32_e32 v0, 31, v0
	v_xor_b32_e32 v1, vcc_hi, v0
	v_xor_b32_e32 v0, vcc_lo, v0
	v_and_b32_e32 v4, v4, v1
	v_and_b32_e32 v15, v15, v0
	;; [unrolled: 9-line block ×3, first 2 shown]
	v_mbcnt_lo_u32_b32 v4, v0, 0
	v_mul_lo_u32 v11, v12, s11
	v_mbcnt_hi_u32_b32 v12, v1, v4
	v_cmp_eq_u32_e32 vcc, 0, v12
	v_cmp_ne_u64_e64 s[0:1], 0, v[0:1]
	v_lshl_add_u32 v11, v7, 2, v11
	s_and_b64 s[4:5], s[0:1], vcc
	s_and_saveexec_b64 s[0:1], s[4:5]
; %bb.98:
	v_bcnt_u32_b32 v0, v0, 0
	v_bcnt_u32_b32 v0, v1, v0
	ds_write_b32 v11, v0 offset:64
; %bb.99:
	s_or_b64 exec, exec, s[0:1]
	s_waitcnt vmcnt(4)
	v_cmp_gt_i32_e32 vcc, 0, v13
	; wave barrier
	s_nop 1
	v_cndmask_b32_e64 v0, v14, 0, vcc
	v_xor_b32_e32 v13, v0, v13
	v_cmp_ne_u32_e32 vcc, s10, v13
	s_nop 1
	v_cndmask_b32_e32 v0, v14, v13, vcc
	v_lshrrev_b32_e32 v0, s48, v0
	v_and_b32_e32 v16, s12, v0
	v_mul_lo_u32 v0, v16, s11
	v_and_b32_e32 v4, 1, v16
	v_lshl_add_u32 v15, v7, 2, v0
	v_lshl_add_u64 v[0:1], v[4:5], 0, -1
	v_cmp_ne_u32_e32 vcc, 0, v4
	ds_read_b32 v14, v15 offset:64
	s_nop 0
	v_xor_b32_e32 v1, vcc_hi, v1
	v_xor_b32_e32 v0, vcc_lo, v0
	v_and_b32_e32 v4, exec_hi, v1
	v_and_b32_e32 v18, exec_lo, v0
	v_lshlrev_b32_e32 v1, 30, v16
	v_mov_b32_e32 v0, v5
	v_cmp_gt_i64_e32 vcc, 0, v[0:1]
	v_not_b32_e32 v0, v1
	v_ashrrev_i32_e32 v0, 31, v0
	v_xor_b32_e32 v1, vcc_hi, v0
	v_xor_b32_e32 v0, vcc_lo, v0
	v_and_b32_e32 v4, v4, v1
	v_and_b32_e32 v18, v18, v0
	v_lshlrev_b32_e32 v1, 29, v16
	v_mov_b32_e32 v0, v5
	v_cmp_gt_i64_e32 vcc, 0, v[0:1]
	v_not_b32_e32 v0, v1
	v_ashrrev_i32_e32 v0, 31, v0
	v_xor_b32_e32 v1, vcc_hi, v0
	v_xor_b32_e32 v0, vcc_lo, v0
	v_and_b32_e32 v4, v4, v1
	v_and_b32_e32 v18, v18, v0
	;; [unrolled: 9-line block ×7, first 2 shown]
	v_mbcnt_lo_u32_b32 v4, v0, 0
	v_mbcnt_hi_u32_b32 v16, v1, v4
	v_cmp_eq_u32_e32 vcc, 0, v16
	v_cmp_ne_u64_e64 s[0:1], 0, v[0:1]
	s_and_b64 s[4:5], s[0:1], vcc
	; wave barrier
	s_and_saveexec_b64 s[0:1], s[4:5]
	s_cbranch_execz .LBB132_101
; %bb.100:
	v_bcnt_u32_b32 v0, v0, 0
	v_bcnt_u32_b32 v0, v1, v0
	s_waitcnt lgkmcnt(0)
	v_add_u32_e32 v0, v14, v0
	ds_write_b32 v15, v0 offset:64
.LBB132_101:
	s_or_b64 exec, exec, s[0:1]
	v_bfrev_b32_e32 v22, -2
	s_waitcnt vmcnt(3)
	v_cmp_gt_i32_e32 vcc, 0, v17
	s_brev_b32 s4, 1
	s_movk_i32 s5, 0x44
	v_cndmask_b32_e64 v0, v22, 0, vcc
	v_xor_b32_e32 v17, v0, v17
	v_cmp_ne_u32_e32 vcc, s4, v17
	v_mov_b32_e32 v1, 0
	s_nop 0
	v_cndmask_b32_e32 v0, v22, v17, vcc
	v_lshrrev_b32_e32 v0, s48, v0
	v_and_b32_e32 v20, s12, v0
	v_mul_lo_u32 v0, v20, s5
	v_lshl_add_u32 v19, v7, 2, v0
	v_and_b32_e32 v0, 1, v20
	v_lshl_add_u64 v[4:5], v[0:1], 0, -1
	v_cmp_ne_u32_e32 vcc, 0, v0
	; wave barrier
	ds_read_b32 v18, v19 offset:64
	s_nop 0
	v_xor_b32_e32 v4, vcc_lo, v4
	v_xor_b32_e32 v0, vcc_hi, v5
	v_and_b32_e32 v24, exec_lo, v4
	v_lshlrev_b32_e32 v5, 30, v20
	v_mov_b32_e32 v4, v1
	v_cmp_gt_i64_e32 vcc, 0, v[4:5]
	v_not_b32_e32 v4, v5
	v_ashrrev_i32_e32 v4, 31, v4
	v_and_b32_e32 v0, exec_hi, v0
	v_xor_b32_e32 v5, vcc_hi, v4
	v_xor_b32_e32 v4, vcc_lo, v4
	v_and_b32_e32 v0, v0, v5
	v_and_b32_e32 v24, v24, v4
	v_lshlrev_b32_e32 v5, 29, v20
	v_mov_b32_e32 v4, v1
	v_cmp_gt_i64_e32 vcc, 0, v[4:5]
	v_not_b32_e32 v4, v5
	v_ashrrev_i32_e32 v4, 31, v4
	v_xor_b32_e32 v5, vcc_hi, v4
	v_xor_b32_e32 v4, vcc_lo, v4
	v_and_b32_e32 v0, v0, v5
	v_and_b32_e32 v24, v24, v4
	v_lshlrev_b32_e32 v5, 28, v20
	v_mov_b32_e32 v4, v1
	v_cmp_gt_i64_e32 vcc, 0, v[4:5]
	v_not_b32_e32 v4, v5
	v_ashrrev_i32_e32 v4, 31, v4
	;; [unrolled: 9-line block ×6, first 2 shown]
	v_xor_b32_e32 v5, vcc_hi, v4
	v_xor_b32_e32 v4, vcc_lo, v4
	v_and_b32_e32 v4, v24, v4
	v_and_b32_e32 v5, v0, v5
	v_mbcnt_lo_u32_b32 v0, v4, 0
	v_mbcnt_hi_u32_b32 v20, v5, v0
	v_cmp_eq_u32_e32 vcc, 0, v20
	v_cmp_ne_u64_e64 s[0:1], 0, v[4:5]
	s_and_b64 s[6:7], s[0:1], vcc
	; wave barrier
	s_and_saveexec_b64 s[0:1], s[6:7]
	s_cbranch_execz .LBB132_103
; %bb.102:
	v_bcnt_u32_b32 v0, v4, 0
	v_bcnt_u32_b32 v0, v5, v0
	s_waitcnt lgkmcnt(0)
	v_add_u32_e32 v0, v18, v0
	ds_write_b32 v19, v0 offset:64
.LBB132_103:
	s_or_b64 exec, exec, s[0:1]
	s_waitcnt vmcnt(2)
	v_cmp_gt_i32_e32 vcc, 0, v21
	; wave barrier
	s_nop 1
	v_cndmask_b32_e64 v0, v22, 0, vcc
	v_xor_b32_e32 v21, v0, v21
	v_cmp_ne_u32_e32 vcc, s4, v21
	s_nop 1
	v_cndmask_b32_e32 v0, v22, v21, vcc
	v_lshrrev_b32_e32 v0, s48, v0
	v_and_b32_e32 v25, s12, v0
	v_mul_lo_u32 v0, v25, s5
	v_lshl_add_u32 v24, v7, 2, v0
	v_and_b32_e32 v0, 1, v25
	v_lshl_add_u64 v[4:5], v[0:1], 0, -1
	v_cmp_ne_u32_e32 vcc, 0, v0
	ds_read_b32 v22, v24 offset:64
	s_nop 0
	v_xor_b32_e32 v4, vcc_lo, v4
	v_xor_b32_e32 v0, vcc_hi, v5
	v_and_b32_e32 v26, exec_lo, v4
	v_lshlrev_b32_e32 v5, 30, v25
	v_mov_b32_e32 v4, v1
	v_cmp_gt_i64_e32 vcc, 0, v[4:5]
	v_not_b32_e32 v4, v5
	v_ashrrev_i32_e32 v4, 31, v4
	v_and_b32_e32 v0, exec_hi, v0
	v_xor_b32_e32 v5, vcc_hi, v4
	v_xor_b32_e32 v4, vcc_lo, v4
	v_and_b32_e32 v0, v0, v5
	v_and_b32_e32 v26, v26, v4
	v_lshlrev_b32_e32 v5, 29, v25
	v_mov_b32_e32 v4, v1
	v_cmp_gt_i64_e32 vcc, 0, v[4:5]
	v_not_b32_e32 v4, v5
	v_ashrrev_i32_e32 v4, 31, v4
	v_xor_b32_e32 v5, vcc_hi, v4
	v_xor_b32_e32 v4, vcc_lo, v4
	v_and_b32_e32 v0, v0, v5
	v_and_b32_e32 v26, v26, v4
	v_lshlrev_b32_e32 v5, 28, v25
	v_mov_b32_e32 v4, v1
	v_cmp_gt_i64_e32 vcc, 0, v[4:5]
	v_not_b32_e32 v4, v5
	v_ashrrev_i32_e32 v4, 31, v4
	v_xor_b32_e32 v5, vcc_hi, v4
	v_xor_b32_e32 v4, vcc_lo, v4
	v_and_b32_e32 v0, v0, v5
	v_and_b32_e32 v26, v26, v4
	v_lshlrev_b32_e32 v5, 27, v25
	v_mov_b32_e32 v4, v1
	v_cmp_gt_i64_e32 vcc, 0, v[4:5]
	v_not_b32_e32 v4, v5
	v_ashrrev_i32_e32 v4, 31, v4
	v_xor_b32_e32 v5, vcc_hi, v4
	v_xor_b32_e32 v4, vcc_lo, v4
	v_and_b32_e32 v0, v0, v5
	v_and_b32_e32 v26, v26, v4
	v_lshlrev_b32_e32 v5, 26, v25
	v_mov_b32_e32 v4, v1
	v_cmp_gt_i64_e32 vcc, 0, v[4:5]
	v_not_b32_e32 v4, v5
	v_ashrrev_i32_e32 v4, 31, v4
	v_xor_b32_e32 v5, vcc_hi, v4
	v_xor_b32_e32 v4, vcc_lo, v4
	v_and_b32_e32 v0, v0, v5
	v_and_b32_e32 v26, v26, v4
	v_lshlrev_b32_e32 v5, 25, v25
	v_mov_b32_e32 v4, v1
	v_cmp_gt_i64_e32 vcc, 0, v[4:5]
	v_not_b32_e32 v4, v5
	v_ashrrev_i32_e32 v4, 31, v4
	v_xor_b32_e32 v5, vcc_hi, v4
	v_xor_b32_e32 v4, vcc_lo, v4
	v_and_b32_e32 v0, v0, v5
	v_lshlrev_b32_e32 v5, 24, v25
	v_and_b32_e32 v26, v26, v4
	v_mov_b32_e32 v4, v1
	v_not_b32_e32 v1, v5
	v_cmp_gt_i64_e32 vcc, 0, v[4:5]
	v_ashrrev_i32_e32 v1, 31, v1
	; wave barrier
	s_nop 0
	v_xor_b32_e32 v4, vcc_hi, v1
	v_xor_b32_e32 v5, vcc_lo, v1
	v_and_b32_e32 v1, v0, v4
	v_and_b32_e32 v0, v26, v5
	v_mbcnt_lo_u32_b32 v4, v0, 0
	v_mbcnt_hi_u32_b32 v25, v1, v4
	v_cmp_eq_u32_e32 vcc, 0, v25
	v_cmp_ne_u64_e64 s[0:1], 0, v[0:1]
	s_and_b64 s[4:5], s[0:1], vcc
	s_and_saveexec_b64 s[0:1], s[4:5]
	s_cbranch_execz .LBB132_105
; %bb.104:
	v_bcnt_u32_b32 v0, v0, 0
	v_bcnt_u32_b32 v0, v1, v0
	s_waitcnt lgkmcnt(0)
	v_add_u32_e32 v0, v22, v0
	ds_write_b32 v24, v0 offset:64
.LBB132_105:
	s_or_b64 exec, exec, s[0:1]
	v_bfrev_b32_e32 v30, -2
	s_waitcnt vmcnt(1)
	v_cmp_gt_i32_e32 vcc, 0, v23
	s_brev_b32 s4, 1
	s_movk_i32 s5, 0x44
	v_cndmask_b32_e64 v0, v30, 0, vcc
	v_xor_b32_e32 v23, v0, v23
	v_cmp_ne_u32_e32 vcc, s4, v23
	v_mov_b32_e32 v1, 0
	s_nop 0
	v_cndmask_b32_e32 v0, v30, v23, vcc
	v_lshrrev_b32_e32 v0, s48, v0
	v_and_b32_e32 v28, s12, v0
	v_mul_lo_u32 v0, v28, s5
	v_lshl_add_u32 v27, v7, 2, v0
	v_and_b32_e32 v0, 1, v28
	v_lshl_add_u64 v[4:5], v[0:1], 0, -1
	v_cmp_ne_u32_e32 vcc, 0, v0
	; wave barrier
	ds_read_b32 v26, v27 offset:64
	s_nop 0
	v_xor_b32_e32 v4, vcc_lo, v4
	v_xor_b32_e32 v0, vcc_hi, v5
	v_and_b32_e32 v29, exec_lo, v4
	v_lshlrev_b32_e32 v5, 30, v28
	v_mov_b32_e32 v4, v1
	v_cmp_gt_i64_e32 vcc, 0, v[4:5]
	v_not_b32_e32 v4, v5
	v_ashrrev_i32_e32 v4, 31, v4
	v_and_b32_e32 v0, exec_hi, v0
	v_xor_b32_e32 v5, vcc_hi, v4
	v_xor_b32_e32 v4, vcc_lo, v4
	v_and_b32_e32 v0, v0, v5
	v_and_b32_e32 v29, v29, v4
	v_lshlrev_b32_e32 v5, 29, v28
	v_mov_b32_e32 v4, v1
	v_cmp_gt_i64_e32 vcc, 0, v[4:5]
	v_not_b32_e32 v4, v5
	v_ashrrev_i32_e32 v4, 31, v4
	v_xor_b32_e32 v5, vcc_hi, v4
	v_xor_b32_e32 v4, vcc_lo, v4
	v_and_b32_e32 v0, v0, v5
	v_and_b32_e32 v29, v29, v4
	v_lshlrev_b32_e32 v5, 28, v28
	v_mov_b32_e32 v4, v1
	v_cmp_gt_i64_e32 vcc, 0, v[4:5]
	v_not_b32_e32 v4, v5
	v_ashrrev_i32_e32 v4, 31, v4
	;; [unrolled: 9-line block ×6, first 2 shown]
	v_xor_b32_e32 v5, vcc_hi, v4
	v_xor_b32_e32 v4, vcc_lo, v4
	v_and_b32_e32 v4, v29, v4
	v_and_b32_e32 v5, v0, v5
	v_mbcnt_lo_u32_b32 v0, v4, 0
	v_mbcnt_hi_u32_b32 v28, v5, v0
	v_cmp_eq_u32_e32 vcc, 0, v28
	v_cmp_ne_u64_e64 s[0:1], 0, v[4:5]
	s_and_b64 s[6:7], s[0:1], vcc
	; wave barrier
	s_and_saveexec_b64 s[0:1], s[6:7]
	s_cbranch_execz .LBB132_107
; %bb.106:
	v_bcnt_u32_b32 v0, v4, 0
	v_bcnt_u32_b32 v0, v5, v0
	s_waitcnt lgkmcnt(0)
	v_add_u32_e32 v0, v26, v0
	ds_write_b32 v27, v0 offset:64
.LBB132_107:
	s_or_b64 exec, exec, s[0:1]
	s_waitcnt vmcnt(0)
	v_cmp_gt_i32_e32 vcc, 0, v6
	; wave barrier
	s_nop 1
	v_cndmask_b32_e64 v0, v30, 0, vcc
	v_xor_b32_e32 v29, v0, v6
	v_cmp_ne_u32_e32 vcc, s4, v29
	s_nop 1
	v_cndmask_b32_e32 v0, v30, v29, vcc
	v_lshrrev_b32_e32 v0, s48, v0
	v_and_b32_e32 v6, s12, v0
	v_mul_lo_u32 v0, v6, s5
	v_lshl_add_u32 v31, v7, 2, v0
	v_and_b32_e32 v0, 1, v6
	v_lshl_add_u64 v[4:5], v[0:1], 0, -1
	v_cmp_ne_u32_e32 vcc, 0, v0
	ds_read_b32 v30, v31 offset:64
	s_nop 0
	v_xor_b32_e32 v4, vcc_lo, v4
	v_xor_b32_e32 v0, vcc_hi, v5
	v_and_b32_e32 v7, exec_lo, v4
	v_lshlrev_b32_e32 v5, 30, v6
	v_mov_b32_e32 v4, v1
	v_cmp_gt_i64_e32 vcc, 0, v[4:5]
	v_not_b32_e32 v4, v5
	v_ashrrev_i32_e32 v4, 31, v4
	v_and_b32_e32 v0, exec_hi, v0
	v_xor_b32_e32 v5, vcc_hi, v4
	v_xor_b32_e32 v4, vcc_lo, v4
	v_and_b32_e32 v0, v0, v5
	v_and_b32_e32 v7, v7, v4
	v_lshlrev_b32_e32 v5, 29, v6
	v_mov_b32_e32 v4, v1
	v_cmp_gt_i64_e32 vcc, 0, v[4:5]
	v_not_b32_e32 v4, v5
	v_ashrrev_i32_e32 v4, 31, v4
	v_xor_b32_e32 v5, vcc_hi, v4
	v_xor_b32_e32 v4, vcc_lo, v4
	v_and_b32_e32 v0, v0, v5
	v_and_b32_e32 v7, v7, v4
	v_lshlrev_b32_e32 v5, 28, v6
	v_mov_b32_e32 v4, v1
	v_cmp_gt_i64_e32 vcc, 0, v[4:5]
	v_not_b32_e32 v4, v5
	v_ashrrev_i32_e32 v4, 31, v4
	;; [unrolled: 9-line block ×5, first 2 shown]
	v_xor_b32_e32 v5, vcc_hi, v4
	v_xor_b32_e32 v4, vcc_lo, v4
	v_and_b32_e32 v0, v0, v5
	v_lshlrev_b32_e32 v5, 24, v6
	v_and_b32_e32 v7, v7, v4
	v_mov_b32_e32 v4, v1
	v_not_b32_e32 v1, v5
	v_cmp_gt_i64_e32 vcc, 0, v[4:5]
	v_ashrrev_i32_e32 v1, 31, v1
	; wave barrier
	s_nop 0
	v_xor_b32_e32 v4, vcc_hi, v1
	v_xor_b32_e32 v5, vcc_lo, v1
	v_and_b32_e32 v1, v0, v4
	v_and_b32_e32 v0, v7, v5
	v_mbcnt_lo_u32_b32 v4, v0, 0
	v_mbcnt_hi_u32_b32 v32, v1, v4
	v_cmp_eq_u32_e32 vcc, 0, v32
	v_cmp_ne_u64_e64 s[0:1], 0, v[0:1]
	s_and_b64 s[4:5], s[0:1], vcc
	s_and_saveexec_b64 s[0:1], s[4:5]
	s_cbranch_execz .LBB132_109
; %bb.108:
	v_bcnt_u32_b32 v0, v0, 0
	v_bcnt_u32_b32 v0, v1, v0
	s_waitcnt lgkmcnt(0)
	v_add_u32_e32 v0, v30, v0
	ds_write_b32 v31, v0 offset:64
.LBB132_109:
	s_or_b64 exec, exec, s[0:1]
	; wave barrier
	s_waitcnt lgkmcnt(0)
	s_barrier
	ds_read2_b32 v[6:7], v10 offset0:16 offset1:17
	ds_read2_b32 v[4:5], v10 offset0:18 offset1:19
	ds_read_b32 v0, v10 offset:80
	v_cmp_lt_u32_e64 s[8:9], 31, v9
	s_waitcnt lgkmcnt(1)
	v_add3_u32 v1, v7, v6, v4
	s_waitcnt lgkmcnt(0)
	v_add3_u32 v0, v1, v5, v0
	v_and_b32_e32 v1, 15, v9
	v_cmp_eq_u32_e32 vcc, 0, v1
	v_mov_b32_dpp v33, v0 row_shr:1 row_mask:0xf bank_mask:0xf
	v_cmp_lt_u32_e64 s[0:1], 1, v1
	v_cndmask_b32_e64 v33, v33, 0, vcc
	v_add_u32_e32 v0, v33, v0
	v_cmp_lt_u32_e64 s[6:7], 3, v1
	v_cmp_lt_u32_e64 s[4:5], 7, v1
	v_mov_b32_dpp v33, v0 row_shr:2 row_mask:0xf bank_mask:0xf
	v_cndmask_b32_e64 v33, 0, v33, s[0:1]
	v_add_u32_e32 v0, v0, v33
	s_nop 1
	v_mov_b32_dpp v33, v0 row_shr:4 row_mask:0xf bank_mask:0xf
	v_cndmask_b32_e64 v33, 0, v33, s[6:7]
	v_add_u32_e32 v0, v0, v33
	s_nop 1
	v_mov_b32_dpp v33, v0 row_shr:8 row_mask:0xf bank_mask:0xf
	v_cndmask_b32_e64 v1, 0, v33, s[4:5]
	v_add_u32_e32 v0, v0, v1
	v_bfe_i32 v33, v9, 4, 1
	s_nop 0
	v_mov_b32_dpp v1, v0 row_bcast:15 row_mask:0xf bank_mask:0xf
	v_and_b32_e32 v1, v33, v1
	v_add_u32_e32 v0, v0, v1
	v_lshrrev_b32_e32 v33, 6, v2
	s_nop 0
	v_mov_b32_dpp v1, v0 row_bcast:31 row_mask:0xf bank_mask:0xf
	v_cndmask_b32_e64 v1, 0, v1, s[8:9]
	v_add_u32_e32 v1, v0, v1
	v_and_b32_e32 v0, 63, v2
	v_cmp_eq_u32_e64 s[8:9], 63, v0
	s_and_saveexec_b64 s[10:11], s[8:9]
; %bb.110:
	v_lshlrev_b32_e32 v0, 2, v33
	ds_write_b32 v0, v1
; %bb.111:
	s_or_b64 exec, exec, s[10:11]
	v_cmp_gt_u32_e64 s[8:9], 16, v2
	v_lshlrev_b32_e32 v0, 2, v2
	s_waitcnt lgkmcnt(0)
	s_barrier
	s_and_saveexec_b64 s[10:11], s[8:9]
	s_cbranch_execz .LBB132_113
; %bb.112:
	ds_read_b32 v34, v0
	s_waitcnt lgkmcnt(0)
	s_nop 0
	v_mov_b32_dpp v35, v34 row_shr:1 row_mask:0xf bank_mask:0xf
	v_cndmask_b32_e64 v35, v35, 0, vcc
	v_add_u32_e32 v34, v35, v34
	s_nop 1
	v_mov_b32_dpp v35, v34 row_shr:2 row_mask:0xf bank_mask:0xf
	v_cndmask_b32_e64 v35, 0, v35, s[0:1]
	v_add_u32_e32 v34, v34, v35
	s_nop 1
	v_mov_b32_dpp v35, v34 row_shr:4 row_mask:0xf bank_mask:0xf
	v_cndmask_b32_e64 v35, 0, v35, s[6:7]
	;; [unrolled: 4-line block ×3, first 2 shown]
	v_add_u32_e32 v34, v34, v35
	ds_write_b32 v0, v34
.LBB132_113:
	s_or_b64 exec, exec, s[10:11]
	v_cmp_lt_u32_e32 vcc, 63, v2
	v_mov_b32_e32 v34, 0
	s_waitcnt lgkmcnt(0)
	s_barrier
	s_and_saveexec_b64 s[0:1], vcc
; %bb.114:
	v_lshl_add_u32 v33, v33, 2, -4
	ds_read_b32 v34, v33
; %bb.115:
	s_or_b64 exec, exec, s[0:1]
	v_add_u32_e32 v33, -1, v9
	v_and_b32_e32 v35, 64, v9
	v_cmp_lt_i32_e32 vcc, v33, v35
	s_waitcnt lgkmcnt(0)
	v_add_u32_e32 v1, v34, v1
	s_movk_i32 s0, 0xff
	v_cndmask_b32_e32 v33, v33, v9, vcc
	v_lshlrev_b32_e32 v33, 2, v33
	ds_bpermute_b32 v1, v33, v1
	v_cmp_eq_u32_e32 vcc, 0, v9
	s_movk_i32 s4, 0x100
	s_waitcnt lgkmcnt(0)
	v_cndmask_b32_e32 v1, v1, v34, vcc
	v_cmp_ne_u32_e32 vcc, 0, v2
	s_nop 1
	v_cndmask_b32_e32 v1, 0, v1, vcc
	v_add_u32_e32 v6, v1, v6
	v_add_u32_e32 v7, v6, v7
	v_add_u32_e32 v4, v7, v4
	v_add_u32_e32 v5, v4, v5
	ds_write2_b32 v10, v1, v6 offset0:16 offset1:17
	ds_write2_b32 v10, v7, v4 offset0:18 offset1:19
	ds_write_b32 v10, v5 offset:80
	s_waitcnt lgkmcnt(0)
	s_barrier
	ds_read_b32 v1, v11 offset:64
	ds_read_b32 v7, v15 offset:64
	;; [unrolled: 1-line block ×6, first 2 shown]
	v_cmp_lt_u32_e32 vcc, s0, v2
	v_cmp_gt_u32_e64 s[0:1], s4, v2
	v_mov_b64_e32 v[4:5], 0
                                        ; implicit-def: $vgpr6
	s_and_saveexec_b64 s[6:7], s[0:1]
	s_cbranch_execz .LBB132_119
; %bb.116:
	v_mul_u32_u24_e32 v4, 0x44, v2
	ds_read_b32 v4, v4 offset:64
	v_add_u32_e32 v6, 1, v2
	v_cmp_ne_u32_e64 s[4:5], s4, v6
	v_mov_b32_e32 v5, 0x1800
	s_and_saveexec_b64 s[8:9], s[4:5]
; %bb.117:
	v_mul_u32_u24_e32 v5, 0x44, v6
	ds_read_b32 v5, v5 offset:64
; %bb.118:
	s_or_b64 exec, exec, s[8:9]
	s_waitcnt lgkmcnt(0)
	v_sub_u32_e32 v6, v5, v4
	v_mov_b32_e32 v5, 0
.LBB132_119:
	s_or_b64 exec, exec, s[6:7]
	s_waitcnt lgkmcnt(5)
	v_add_u32_e32 v27, v1, v12
	s_waitcnt lgkmcnt(4)
	v_add3_u32 v24, v16, v14, v7
	v_lshlrev_b32_e32 v1, 2, v27
	s_waitcnt lgkmcnt(3)
	v_add3_u32 v19, v20, v18, v10
	s_waitcnt lgkmcnt(0)
	s_barrier
	ds_write_b32 v1, v8 offset:2048
	v_lshlrev_b32_e32 v1, 2, v24
	v_add3_u32 v18, v25, v22, v11
	ds_write_b32 v1, v13 offset:2048
	v_lshlrev_b32_e32 v1, 2, v19
	v_add3_u32 v16, v28, v26, v15
	;; [unrolled: 3-line block ×3, first 2 shown]
	ds_write_b32 v1, v21 offset:2048
	v_lshlrev_b32_e32 v1, 2, v16
	ds_write_b32 v1, v23 offset:2048
	v_lshlrev_b32_e32 v1, 2, v7
	v_mov_b32_e32 v11, 0
	v_lshlrev_b32_e32 v8, 3, v2
	ds_write_b32 v1, v29 offset:2048
	s_waitcnt lgkmcnt(0)
	s_barrier
	s_and_saveexec_b64 s[4:5], s[0:1]
	s_cbranch_execz .LBB132_129
; %bb.120:
	v_lshl_add_u32 v10, s2, 8, v2
	v_lshl_add_u64 v[12:13], v[10:11], 2, s[34:35]
	v_or_b32_e32 v1, 2.0, v6
	global_store_dword v[12:13], v1, off sc1
	s_mov_b64 s[6:7], 0
	s_brev_b32 s13, -4
	s_mov_b32 s14, s2
	v_mov_b32_e32 v1, 0
                                        ; implicit-def: $sgpr0_sgpr1
	s_branch .LBB132_123
.LBB132_121:                            ;   in Loop: Header=BB132_123 Depth=1
	s_or_b64 exec, exec, s[10:11]
.LBB132_122:                            ;   in Loop: Header=BB132_123 Depth=1
	s_or_b64 exec, exec, s[8:9]
	v_and_b32_e32 v14, 0x3fffffff, v10
	v_add_u32_e32 v1, v14, v1
	v_cmp_gt_i32_e64 s[0:1], -2.0, v10
	s_and_b64 s[8:9], exec, s[0:1]
	s_or_b64 s[6:7], s[8:9], s[6:7]
	s_andn2_b64 exec, exec, s[6:7]
	s_cbranch_execz .LBB132_128
.LBB132_123:                            ; =>This Loop Header: Depth=1
                                        ;     Child Loop BB132_126 Depth 2
	s_or_b64 s[0:1], s[0:1], exec
	s_cmp_eq_u32 s14, 0
	s_cbranch_scc1 .LBB132_127
; %bb.124:                              ;   in Loop: Header=BB132_123 Depth=1
	s_add_i32 s14, s14, -1
	v_lshl_or_b32 v10, s14, 8, v2
	v_lshl_add_u64 v[14:15], v[10:11], 2, s[34:35]
	global_load_dword v10, v[14:15], off sc1
	s_waitcnt vmcnt(0)
	v_cmp_gt_u32_e64 s[0:1], 2.0, v10
	s_and_saveexec_b64 s[8:9], s[0:1]
	s_cbranch_execz .LBB132_122
; %bb.125:                              ;   in Loop: Header=BB132_123 Depth=1
	s_mov_b64 s[10:11], 0
.LBB132_126:                            ;   Parent Loop BB132_123 Depth=1
                                        ; =>  This Inner Loop Header: Depth=2
	global_load_dword v10, v[14:15], off sc1
	s_waitcnt vmcnt(0)
	v_cmp_lt_u32_e64 s[0:1], s13, v10
	s_or_b64 s[10:11], s[0:1], s[10:11]
	s_andn2_b64 exec, exec, s[10:11]
	s_cbranch_execnz .LBB132_126
	s_branch .LBB132_121
.LBB132_127:                            ;   in Loop: Header=BB132_123 Depth=1
                                        ; implicit-def: $sgpr14
	s_and_b64 s[8:9], exec, s[0:1]
	s_or_b64 s[6:7], s[8:9], s[6:7]
	s_andn2_b64 exec, exec, s[6:7]
	s_cbranch_execnz .LBB132_123
.LBB132_128:
	s_or_b64 exec, exec, s[6:7]
	v_add_u32_e32 v10, v1, v6
	v_or_b32_e32 v10, 0x80000000, v10
	global_store_dword v[12:13], v10, off sc1
	global_load_dwordx2 v[10:11], v8, s[44:45]
	v_sub_co_u32_e64 v12, s[0:1], v1, v4
	s_nop 1
	v_subb_co_u32_e64 v13, s[0:1], 0, v5, s[0:1]
	s_waitcnt vmcnt(0)
	v_lshl_add_u64 v[10:11], v[12:13], 0, v[10:11]
	ds_write_b64 v8, v[10:11]
.LBB132_129:
	s_or_b64 exec, exec, s[4:5]
	v_sub_u32_e32 v17, v8, v0
	s_waitcnt lgkmcnt(0)
	s_barrier
	ds_read2st64_b32 v[10:11], v17 offset0:8 offset1:24
	s_brev_b32 s4, 1
	v_bfrev_b32_e32 v25, -2
	v_or_b32_e32 v51, 0x400, v2
	v_or_b32_e32 v52, 0x800, v2
	s_waitcnt lgkmcnt(0)
	v_cmp_ne_u32_e64 s[0:1], s4, v10
	v_or_b32_e32 v53, 0xc00, v2
	v_or_b32_e32 v54, 0x1000, v2
	v_cndmask_b32_e64 v1, v25, v10, s[0:1]
	v_lshrrev_b32_e32 v1, s48, v1
	v_and_b32_e32 v1, s12, v1
	v_lshlrev_b32_e32 v26, 3, v1
	ds_read_b64 v[12:13], v26
	ds_read2st64_b32 v[14:15], v17 offset0:40 offset1:56
	v_cmp_ne_u32_e64 s[0:1], s4, v11
	v_or_b32_e32 v57, 0x1400, v2
	s_waitcnt lgkmcnt(1)
	v_lshl_add_u64 v[12:13], v[12:13], 2, s[38:39]
	v_cndmask_b32_e64 v1, v25, v11, s[0:1]
	v_lshrrev_b32_e32 v1, s48, v1
	v_and_b32_e32 v1, s12, v1
	s_waitcnt lgkmcnt(0)
	v_cmp_ne_u32_e64 s[0:1], s4, v14
	v_lshlrev_b32_e32 v48, 3, v1
	s_nop 0
	v_cndmask_b32_e64 v1, v25, v14, s[0:1]
	v_lshrrev_b32_e32 v1, s48, v1
	v_and_b32_e32 v1, s12, v1
	v_cmp_ne_u32_e64 s[0:1], s4, v15
	v_lshlrev_b32_e32 v49, 3, v1
	s_nop 0
	v_cndmask_b32_e64 v1, v25, v15, s[0:1]
	v_lshrrev_b32_e32 v1, s48, v1
	v_and_b32_e32 v1, s12, v1
	v_lshlrev_b32_e32 v50, 3, v1
	ds_read_b64 v[20:21], v48
	ds_read_b64 v[22:23], v49
	;; [unrolled: 1-line block ×3, first 2 shown]
	ds_read2st64_b32 v[30:31], v17 offset0:72 offset1:88
	v_mov_b32_e32 v1, 0
	v_lshl_add_u64 v[12:13], v[12:13], 0, v[0:1]
	s_waitcnt lgkmcnt(3)
	v_lshl_add_u64 v[20:21], v[20:21], 2, s[38:39]
	v_lshlrev_b32_e32 v0, 2, v51
	v_lshl_add_u64 v[20:21], v[20:21], 0, v[0:1]
	s_waitcnt lgkmcnt(2)
	v_lshl_add_u64 v[22:23], v[22:23], 2, s[38:39]
	v_lshlrev_b32_e32 v0, 2, v52
	;; [unrolled: 4-line block ×3, first 2 shown]
	s_waitcnt lgkmcnt(0)
	v_cmp_ne_u32_e64 s[0:1], s4, v30
	v_lshl_add_u64 v[28:29], v[28:29], 0, v[0:1]
	s_nop 0
	v_cndmask_b32_e64 v0, v25, v30, s[0:1]
	v_lshrrev_b32_e32 v0, s48, v0
	v_and_b32_e32 v0, s12, v0
	v_cmp_ne_u32_e64 s[0:1], s4, v31
	v_lshlrev_b32_e32 v55, 3, v0
	ds_read_b64 v[32:33], v55
	v_cndmask_b32_e64 v0, v25, v31, s[0:1]
	v_lshrrev_b32_e32 v0, s48, v0
	v_and_b32_e32 v0, s12, v0
	v_lshlrev_b32_e32 v56, 3, v0
	ds_read_b64 v[34:35], v56
	s_waitcnt lgkmcnt(1)
	v_lshl_add_u64 v[32:33], v[32:33], 2, s[38:39]
	v_lshlrev_b32_e32 v0, 2, v54
	s_lshl_b64 s[0:1], s[30:31], 3
	v_lshl_add_u64 v[32:33], v[32:33], 0, v[0:1]
	s_waitcnt lgkmcnt(0)
	v_lshl_add_u64 v[34:35], v[34:35], 2, s[38:39]
	v_lshlrev_b32_e32 v0, 2, v57
	s_add_u32 s0, s40, s0
	v_lshl_add_u64 v[34:35], v[34:35], 0, v[0:1]
	s_addc_u32 s1, s41, s1
	v_lshlrev_b32_e32 v0, 3, v9
	v_lshl_add_u64 v[36:37], s[0:1], 0, v[0:1]
	v_lshlrev_b32_e32 v0, 3, v3
	v_lshl_add_u64 v[2:3], v[36:37], 0, v[0:1]
	global_load_dwordx2 v[36:37], v[2:3], off
	global_load_dwordx2 v[38:39], v[2:3], off offset:512
	global_load_dwordx2 v[40:41], v[2:3], off offset:1024
	;; [unrolled: 1-line block ×5, first 2 shown]
	v_cmp_gt_i32_e64 s[0:1], 0, v10
	v_mov_b32_e32 v9, v1
	s_add_i32 s3, s3, -1
	v_cndmask_b32_e64 v0, v25, 0, s[0:1]
	v_xor_b32_e32 v0, v0, v10
	v_cmp_gt_i32_e64 s[0:1], 0, v11
	global_store_dword v[12:13], v0, off
	s_cmp_eq_u32 s2, s3
	v_cndmask_b32_e64 v0, v25, 0, s[0:1]
	v_xor_b32_e32 v0, v0, v11
	v_cmp_gt_i32_e64 s[0:1], 0, v14
	global_store_dword v[20:21], v0, off
	s_nop 0
	v_cndmask_b32_e64 v0, v25, 0, s[0:1]
	v_xor_b32_e32 v0, v0, v14
	v_cmp_gt_i32_e64 s[0:1], 0, v15
	global_store_dword v[22:23], v0, off
	s_nop 0
	;; [unrolled: 5-line block ×4, first 2 shown]
	v_cndmask_b32_e64 v0, v25, 0, s[0:1]
	v_xor_b32_e32 v0, v0, v31
	global_store_dword v[34:35], v0, off
	v_lshlrev_b32_e32 v0, 3, v27
	s_barrier
	s_cselect_b64 s[0:1], -1, 0
	s_xor_b64 s[2:3], vcc, -1
	s_and_b64 s[0:1], s[2:3], s[0:1]
	s_waitcnt vmcnt(11)
	ds_write_b64 v0, v[36:37] offset:2048
	v_lshlrev_b32_e32 v0, 3, v24
	s_waitcnt vmcnt(10)
	ds_write_b64 v0, v[38:39] offset:2048
	v_lshlrev_b32_e32 v0, 3, v19
	s_waitcnt vmcnt(9)
	ds_write_b64 v0, v[40:41] offset:2048
	v_lshlrev_b32_e32 v0, 3, v18
	s_waitcnt vmcnt(8)
	ds_write_b64 v0, v[42:43] offset:2048
	v_lshlrev_b32_e32 v0, 3, v16
	s_waitcnt vmcnt(7)
	ds_write_b64 v0, v[44:45] offset:2048
	v_lshlrev_b32_e32 v0, 3, v7
	s_waitcnt vmcnt(6)
	ds_write_b64 v0, v[46:47] offset:2048
	s_waitcnt lgkmcnt(0)
	s_barrier
	ds_read_b64 v[2:3], v26
	ds_read2st64_b64 v[10:13], v8 offset0:4 offset1:20
	ds_read_b64 v[14:15], v48
	ds_read_b64 v[18:19], v49
	;; [unrolled: 1-line block ×3, first 2 shown]
	s_waitcnt lgkmcnt(4)
	v_lshl_add_u64 v[2:3], v[2:3], 3, s[42:43]
	v_lshl_add_u64 v[2:3], v[2:3], 0, v[8:9]
	s_waitcnt lgkmcnt(3)
	global_store_dwordx2 v[2:3], v[10:11], off
	s_waitcnt lgkmcnt(2)
	v_lshl_add_u64 v[2:3], v[14:15], 3, s[42:43]
	ds_read2st64_b64 v[14:17], v8 offset0:36 offset1:52
	v_lshlrev_b32_e32 v0, 3, v51
	v_lshl_add_u64 v[2:3], v[2:3], 0, v[0:1]
	global_store_dwordx2 v[2:3], v[12:13], off
	s_waitcnt lgkmcnt(2)
	v_lshl_add_u64 v[2:3], v[18:19], 3, s[42:43]
	v_lshlrev_b32_e32 v0, 3, v52
	v_lshl_add_u64 v[2:3], v[2:3], 0, v[0:1]
	s_waitcnt lgkmcnt(0)
	global_store_dwordx2 v[2:3], v[14:15], off
	v_lshl_add_u64 v[2:3], v[20:21], 3, s[42:43]
	v_lshlrev_b32_e32 v0, 3, v53
	v_lshl_add_u64 v[2:3], v[2:3], 0, v[0:1]
	ds_read_b64 v[14:15], v55
	global_store_dwordx2 v[2:3], v[16:17], off
	ds_read2st64_b64 v[10:13], v8 offset0:68 offset1:84
	ds_read_b64 v[2:3], v56
	v_lshlrev_b32_e32 v0, 3, v54
	s_waitcnt lgkmcnt(2)
	v_lshl_add_u64 v[14:15], v[14:15], 3, s[42:43]
	v_lshl_add_u64 v[14:15], v[14:15], 0, v[0:1]
	s_waitcnt lgkmcnt(0)
	v_lshl_add_u64 v[2:3], v[2:3], 3, s[42:43]
	v_lshlrev_b32_e32 v0, 3, v57
	v_lshl_add_u64 v[2:3], v[2:3], 0, v[0:1]
	global_store_dwordx2 v[14:15], v[10:11], off
	global_store_dwordx2 v[2:3], v[12:13], off
	s_and_saveexec_b64 s[2:3], s[0:1]
	s_cbranch_execz .LBB132_131
; %bb.130:
	ds_read_b64 v[2:3], v8
	v_mov_b32_e32 v7, v1
	v_lshl_add_u64 v[0:1], v[4:5], 0, v[6:7]
	s_waitcnt lgkmcnt(0)
	v_lshl_add_u64 v[0:1], v[0:1], 0, v[2:3]
	global_store_dwordx2 v8, v[0:1], s[46:47]
.LBB132_131:
	s_endpgm
	.section	.rodata,"a",@progbits
	.p2align	6, 0x0
	.amdhsa_kernel _ZN7rocprim17ROCPRIM_304000_NS6detail25onesweep_iteration_kernelINS1_34wrapped_radix_sort_onesweep_configINS0_14default_configEfN2at4cuda3cub6detail10OpaqueTypeILi8EEEEELb1EPfSC_PSA_SD_mNS0_19identity_decomposerEEEvT1_T2_T3_T4_jPT5_SK_PNS1_23onesweep_lookback_stateET6_jjj
		.amdhsa_group_segment_fixed_size 51200
		.amdhsa_private_segment_fixed_size 0
		.amdhsa_kernarg_size 336
		.amdhsa_user_sgpr_count 2
		.amdhsa_user_sgpr_dispatch_ptr 0
		.amdhsa_user_sgpr_queue_ptr 0
		.amdhsa_user_sgpr_kernarg_segment_ptr 1
		.amdhsa_user_sgpr_dispatch_id 0
		.amdhsa_user_sgpr_kernarg_preload_length 0
		.amdhsa_user_sgpr_kernarg_preload_offset 0
		.amdhsa_user_sgpr_private_segment_size 0
		.amdhsa_uses_dynamic_stack 0
		.amdhsa_enable_private_segment 0
		.amdhsa_system_sgpr_workgroup_id_x 1
		.amdhsa_system_sgpr_workgroup_id_y 0
		.amdhsa_system_sgpr_workgroup_id_z 0
		.amdhsa_system_sgpr_workgroup_info 0
		.amdhsa_system_vgpr_workitem_id 2
		.amdhsa_next_free_vgpr 58
		.amdhsa_next_free_sgpr 53
		.amdhsa_accum_offset 60
		.amdhsa_reserve_vcc 1
		.amdhsa_float_round_mode_32 0
		.amdhsa_float_round_mode_16_64 0
		.amdhsa_float_denorm_mode_32 3
		.amdhsa_float_denorm_mode_16_64 3
		.amdhsa_dx10_clamp 1
		.amdhsa_ieee_mode 1
		.amdhsa_fp16_overflow 0
		.amdhsa_tg_split 0
		.amdhsa_exception_fp_ieee_invalid_op 0
		.amdhsa_exception_fp_denorm_src 0
		.amdhsa_exception_fp_ieee_div_zero 0
		.amdhsa_exception_fp_ieee_overflow 0
		.amdhsa_exception_fp_ieee_underflow 0
		.amdhsa_exception_fp_ieee_inexact 0
		.amdhsa_exception_int_div_zero 0
	.end_amdhsa_kernel
	.section	.text._ZN7rocprim17ROCPRIM_304000_NS6detail25onesweep_iteration_kernelINS1_34wrapped_radix_sort_onesweep_configINS0_14default_configEfN2at4cuda3cub6detail10OpaqueTypeILi8EEEEELb1EPfSC_PSA_SD_mNS0_19identity_decomposerEEEvT1_T2_T3_T4_jPT5_SK_PNS1_23onesweep_lookback_stateET6_jjj,"axG",@progbits,_ZN7rocprim17ROCPRIM_304000_NS6detail25onesweep_iteration_kernelINS1_34wrapped_radix_sort_onesweep_configINS0_14default_configEfN2at4cuda3cub6detail10OpaqueTypeILi8EEEEELb1EPfSC_PSA_SD_mNS0_19identity_decomposerEEEvT1_T2_T3_T4_jPT5_SK_PNS1_23onesweep_lookback_stateET6_jjj,comdat
.Lfunc_end132:
	.size	_ZN7rocprim17ROCPRIM_304000_NS6detail25onesweep_iteration_kernelINS1_34wrapped_radix_sort_onesweep_configINS0_14default_configEfN2at4cuda3cub6detail10OpaqueTypeILi8EEEEELb1EPfSC_PSA_SD_mNS0_19identity_decomposerEEEvT1_T2_T3_T4_jPT5_SK_PNS1_23onesweep_lookback_stateET6_jjj, .Lfunc_end132-_ZN7rocprim17ROCPRIM_304000_NS6detail25onesweep_iteration_kernelINS1_34wrapped_radix_sort_onesweep_configINS0_14default_configEfN2at4cuda3cub6detail10OpaqueTypeILi8EEEEELb1EPfSC_PSA_SD_mNS0_19identity_decomposerEEEvT1_T2_T3_T4_jPT5_SK_PNS1_23onesweep_lookback_stateET6_jjj
                                        ; -- End function
	.set _ZN7rocprim17ROCPRIM_304000_NS6detail25onesweep_iteration_kernelINS1_34wrapped_radix_sort_onesweep_configINS0_14default_configEfN2at4cuda3cub6detail10OpaqueTypeILi8EEEEELb1EPfSC_PSA_SD_mNS0_19identity_decomposerEEEvT1_T2_T3_T4_jPT5_SK_PNS1_23onesweep_lookback_stateET6_jjj.num_vgpr, 58
	.set _ZN7rocprim17ROCPRIM_304000_NS6detail25onesweep_iteration_kernelINS1_34wrapped_radix_sort_onesweep_configINS0_14default_configEfN2at4cuda3cub6detail10OpaqueTypeILi8EEEEELb1EPfSC_PSA_SD_mNS0_19identity_decomposerEEEvT1_T2_T3_T4_jPT5_SK_PNS1_23onesweep_lookback_stateET6_jjj.num_agpr, 0
	.set _ZN7rocprim17ROCPRIM_304000_NS6detail25onesweep_iteration_kernelINS1_34wrapped_radix_sort_onesweep_configINS0_14default_configEfN2at4cuda3cub6detail10OpaqueTypeILi8EEEEELb1EPfSC_PSA_SD_mNS0_19identity_decomposerEEEvT1_T2_T3_T4_jPT5_SK_PNS1_23onesweep_lookback_stateET6_jjj.numbered_sgpr, 53
	.set _ZN7rocprim17ROCPRIM_304000_NS6detail25onesweep_iteration_kernelINS1_34wrapped_radix_sort_onesweep_configINS0_14default_configEfN2at4cuda3cub6detail10OpaqueTypeILi8EEEEELb1EPfSC_PSA_SD_mNS0_19identity_decomposerEEEvT1_T2_T3_T4_jPT5_SK_PNS1_23onesweep_lookback_stateET6_jjj.num_named_barrier, 0
	.set _ZN7rocprim17ROCPRIM_304000_NS6detail25onesweep_iteration_kernelINS1_34wrapped_radix_sort_onesweep_configINS0_14default_configEfN2at4cuda3cub6detail10OpaqueTypeILi8EEEEELb1EPfSC_PSA_SD_mNS0_19identity_decomposerEEEvT1_T2_T3_T4_jPT5_SK_PNS1_23onesweep_lookback_stateET6_jjj.private_seg_size, 0
	.set _ZN7rocprim17ROCPRIM_304000_NS6detail25onesweep_iteration_kernelINS1_34wrapped_radix_sort_onesweep_configINS0_14default_configEfN2at4cuda3cub6detail10OpaqueTypeILi8EEEEELb1EPfSC_PSA_SD_mNS0_19identity_decomposerEEEvT1_T2_T3_T4_jPT5_SK_PNS1_23onesweep_lookback_stateET6_jjj.uses_vcc, 1
	.set _ZN7rocprim17ROCPRIM_304000_NS6detail25onesweep_iteration_kernelINS1_34wrapped_radix_sort_onesweep_configINS0_14default_configEfN2at4cuda3cub6detail10OpaqueTypeILi8EEEEELb1EPfSC_PSA_SD_mNS0_19identity_decomposerEEEvT1_T2_T3_T4_jPT5_SK_PNS1_23onesweep_lookback_stateET6_jjj.uses_flat_scratch, 0
	.set _ZN7rocprim17ROCPRIM_304000_NS6detail25onesweep_iteration_kernelINS1_34wrapped_radix_sort_onesweep_configINS0_14default_configEfN2at4cuda3cub6detail10OpaqueTypeILi8EEEEELb1EPfSC_PSA_SD_mNS0_19identity_decomposerEEEvT1_T2_T3_T4_jPT5_SK_PNS1_23onesweep_lookback_stateET6_jjj.has_dyn_sized_stack, 0
	.set _ZN7rocprim17ROCPRIM_304000_NS6detail25onesweep_iteration_kernelINS1_34wrapped_radix_sort_onesweep_configINS0_14default_configEfN2at4cuda3cub6detail10OpaqueTypeILi8EEEEELb1EPfSC_PSA_SD_mNS0_19identity_decomposerEEEvT1_T2_T3_T4_jPT5_SK_PNS1_23onesweep_lookback_stateET6_jjj.has_recursion, 0
	.set _ZN7rocprim17ROCPRIM_304000_NS6detail25onesweep_iteration_kernelINS1_34wrapped_radix_sort_onesweep_configINS0_14default_configEfN2at4cuda3cub6detail10OpaqueTypeILi8EEEEELb1EPfSC_PSA_SD_mNS0_19identity_decomposerEEEvT1_T2_T3_T4_jPT5_SK_PNS1_23onesweep_lookback_stateET6_jjj.has_indirect_call, 0
	.section	.AMDGPU.csdata,"",@progbits
; Kernel info:
; codeLenInByte = 12012
; TotalNumSgprs: 59
; NumVgprs: 58
; NumAgprs: 0
; TotalNumVgprs: 58
; ScratchSize: 0
; MemoryBound: 0
; FloatMode: 240
; IeeeMode: 1
; LDSByteSize: 51200 bytes/workgroup (compile time only)
; SGPRBlocks: 7
; VGPRBlocks: 7
; NumSGPRsForWavesPerEU: 59
; NumVGPRsForWavesPerEU: 58
; AccumOffset: 60
; Occupancy: 8
; WaveLimiterHint : 1
; COMPUTE_PGM_RSRC2:SCRATCH_EN: 0
; COMPUTE_PGM_RSRC2:USER_SGPR: 2
; COMPUTE_PGM_RSRC2:TRAP_HANDLER: 0
; COMPUTE_PGM_RSRC2:TGID_X_EN: 1
; COMPUTE_PGM_RSRC2:TGID_Y_EN: 0
; COMPUTE_PGM_RSRC2:TGID_Z_EN: 0
; COMPUTE_PGM_RSRC2:TIDIG_COMP_CNT: 2
; COMPUTE_PGM_RSRC3_GFX90A:ACCUM_OFFSET: 14
; COMPUTE_PGM_RSRC3_GFX90A:TG_SPLIT: 0
	.section	.text._ZN7rocprim17ROCPRIM_304000_NS6detail28radix_sort_block_sort_kernelINS1_36wrapped_radix_sort_block_sort_configINS0_13kernel_configILj256ELj4ELj4294967295EEEfN2at4cuda3cub6detail10OpaqueTypeILi8EEEEELb0EPKfPfPKSB_PSB_NS0_19identity_decomposerEEEvT1_T2_T3_T4_jT5_jj,"axG",@progbits,_ZN7rocprim17ROCPRIM_304000_NS6detail28radix_sort_block_sort_kernelINS1_36wrapped_radix_sort_block_sort_configINS0_13kernel_configILj256ELj4ELj4294967295EEEfN2at4cuda3cub6detail10OpaqueTypeILi8EEEEELb0EPKfPfPKSB_PSB_NS0_19identity_decomposerEEEvT1_T2_T3_T4_jT5_jj,comdat
	.protected	_ZN7rocprim17ROCPRIM_304000_NS6detail28radix_sort_block_sort_kernelINS1_36wrapped_radix_sort_block_sort_configINS0_13kernel_configILj256ELj4ELj4294967295EEEfN2at4cuda3cub6detail10OpaqueTypeILi8EEEEELb0EPKfPfPKSB_PSB_NS0_19identity_decomposerEEEvT1_T2_T3_T4_jT5_jj ; -- Begin function _ZN7rocprim17ROCPRIM_304000_NS6detail28radix_sort_block_sort_kernelINS1_36wrapped_radix_sort_block_sort_configINS0_13kernel_configILj256ELj4ELj4294967295EEEfN2at4cuda3cub6detail10OpaqueTypeILi8EEEEELb0EPKfPfPKSB_PSB_NS0_19identity_decomposerEEEvT1_T2_T3_T4_jT5_jj
	.globl	_ZN7rocprim17ROCPRIM_304000_NS6detail28radix_sort_block_sort_kernelINS1_36wrapped_radix_sort_block_sort_configINS0_13kernel_configILj256ELj4ELj4294967295EEEfN2at4cuda3cub6detail10OpaqueTypeILi8EEEEELb0EPKfPfPKSB_PSB_NS0_19identity_decomposerEEEvT1_T2_T3_T4_jT5_jj
	.p2align	8
	.type	_ZN7rocprim17ROCPRIM_304000_NS6detail28radix_sort_block_sort_kernelINS1_36wrapped_radix_sort_block_sort_configINS0_13kernel_configILj256ELj4ELj4294967295EEEfN2at4cuda3cub6detail10OpaqueTypeILi8EEEEELb0EPKfPfPKSB_PSB_NS0_19identity_decomposerEEEvT1_T2_T3_T4_jT5_jj,@function
_ZN7rocprim17ROCPRIM_304000_NS6detail28radix_sort_block_sort_kernelINS1_36wrapped_radix_sort_block_sort_configINS0_13kernel_configILj256ELj4ELj4294967295EEEfN2at4cuda3cub6detail10OpaqueTypeILi8EEEEELb0EPKfPfPKSB_PSB_NS0_19identity_decomposerEEEvT1_T2_T3_T4_jT5_jj: ; @_ZN7rocprim17ROCPRIM_304000_NS6detail28radix_sort_block_sort_kernelINS1_36wrapped_radix_sort_block_sort_configINS0_13kernel_configILj256ELj4ELj4294967295EEEfN2at4cuda3cub6detail10OpaqueTypeILi8EEEEELb0EPKfPfPKSB_PSB_NS0_19identity_decomposerEEEvT1_T2_T3_T4_jT5_jj
; %bb.0:
	s_load_dword s4, s[0:1], 0x20
	s_load_dwordx8 s[36:43], s[0:1], 0x0
	s_lshl_b32 s28, s2, 10
	s_mov_b32 s29, 0
	v_and_b32_e32 v8, 0x3ff, v0
	s_waitcnt lgkmcnt(0)
	s_lshr_b32 s3, s4, 10
	s_cmp_lg_u32 s2, s3
	s_cselect_b64 s[30:31], -1, 0
	s_lshl_b64 s[34:35], s[28:29], 2
	v_mbcnt_lo_u32_b32 v1, -1, 0
	s_add_u32 s6, s36, s34
	v_mbcnt_hi_u32_b32 v1, -1, v1
	v_lshlrev_b32_e32 v10, 2, v8
	s_addc_u32 s7, s37, s35
	v_and_b32_e32 v11, 0x300, v10
	v_mov_b32_e32 v7, 0
	v_lshlrev_b32_e32 v6, 2, v1
	v_lshl_add_u64 v[2:3], s[6:7], 0, v[6:7]
	v_lshlrev_b32_e32 v6, 2, v11
	s_cmp_eq_u32 s2, s3
	v_lshl_add_u64 v[14:15], v[2:3], 0, v[6:7]
	v_lshlrev_b32_e32 v6, 3, v1
	v_lshlrev_b32_e32 v12, 3, v11
	v_add_u32_e32 v9, v1, v11
	s_cbranch_scc1 .LBB133_2
; %bb.1:
	s_lshl_b64 s[2:3], s[28:29], 3
	s_add_u32 s2, s40, s2
	s_addc_u32 s3, s41, s3
	v_lshl_add_u64 v[16:17], s[2:3], 0, v[6:7]
	v_mov_b32_e32 v13, v7
	v_lshl_add_u64 v[16:17], v[16:17], 0, v[12:13]
	global_load_dword v2, v[14:15], off
	global_load_dword v3, v[14:15], off offset:256
	global_load_dword v4, v[14:15], off offset:512
	;; [unrolled: 1-line block ×3, first 2 shown]
	global_load_dwordx2 v[46:47], v[16:17], off
	global_load_dwordx2 v[48:49], v[16:17], off offset:512
	global_load_dwordx2 v[50:51], v[16:17], off offset:1024
	;; [unrolled: 1-line block ×3, first 2 shown]
	v_add_u32_e32 v7, v1, v11
	v_add_u32_e32 v16, 64, v7
	;; [unrolled: 1-line block ×4, first 2 shown]
	s_sub_i32 s33, s4, s28
	s_cbranch_execz .LBB133_3
	s_branch .LBB133_17
.LBB133_2:
                                        ; implicit-def: $vgpr2_vgpr3_vgpr4_vgpr5
                                        ; implicit-def: $vgpr46_vgpr47
                                        ; implicit-def: $vgpr48_vgpr49
                                        ; implicit-def: $vgpr50_vgpr51
                                        ; implicit-def: $vgpr52_vgpr53
                                        ; implicit-def: $vgpr7
                                        ; implicit-def: $vgpr16
                                        ; implicit-def: $vgpr17
                                        ; implicit-def: $vgpr18
	s_sub_i32 s33, s4, s28
.LBB133_3:
	s_waitcnt vmcnt(7)
	v_bfrev_b32_e32 v2, -2
	v_cmp_gt_u32_e32 vcc, s33, v9
	s_waitcnt vmcnt(6)
	v_mov_b32_e32 v3, v2
	s_waitcnt vmcnt(5)
	v_mov_b32_e32 v4, v2
	;; [unrolled: 2-line block ×3, first 2 shown]
	s_and_saveexec_b64 s[2:3], vcc
	s_cbranch_execz .LBB133_5
; %bb.4:
	global_load_dword v16, v[14:15], off
	v_mov_b32_e32 v17, v2
	v_mov_b32_e32 v18, v2
	;; [unrolled: 1-line block ×3, first 2 shown]
	s_waitcnt vmcnt(0)
	v_mov_b64_e32 v[2:3], v[16:17]
	v_mov_b64_e32 v[4:5], v[18:19]
.LBB133_5:
	s_or_b64 exec, exec, s[2:3]
	v_add_u32_e32 v16, 64, v9
	v_cmp_gt_u32_e64 s[2:3], s33, v16
	s_and_saveexec_b64 s[4:5], s[2:3]
	s_cbranch_execz .LBB133_7
; %bb.6:
	global_load_dword v3, v[14:15], off offset:256
.LBB133_7:
	s_or_b64 exec, exec, s[4:5]
	v_add_u32_e32 v17, 0x80, v9
	v_cmp_gt_u32_e64 s[4:5], s33, v17
	s_and_saveexec_b64 s[6:7], s[4:5]
	s_cbranch_execz .LBB133_9
; %bb.8:
	global_load_dword v4, v[14:15], off offset:512
.LBB133_9:
	s_or_b64 exec, exec, s[6:7]
	v_add_u32_e32 v18, 0xc0, v9
	v_cmp_gt_u32_e64 s[6:7], s33, v18
	s_and_saveexec_b64 s[8:9], s[6:7]
	s_cbranch_execz .LBB133_11
; %bb.10:
	global_load_dword v5, v[14:15], off offset:768
.LBB133_11:
	s_or_b64 exec, exec, s[8:9]
	s_lshl_b64 s[8:9], s[28:29], 3
	s_add_u32 s8, s40, s8
	s_addc_u32 s9, s41, s9
	v_mov_b32_e32 v7, 0
	v_lshl_add_u64 v[14:15], s[8:9], 0, v[6:7]
	v_mov_b32_e32 v13, v7
	v_lshl_add_u64 v[6:7], v[14:15], 0, v[12:13]
                                        ; implicit-def: $vgpr46_vgpr47
	s_and_saveexec_b64 s[8:9], vcc
	s_cbranch_execnz .LBB133_54
; %bb.12:
	s_or_b64 exec, exec, s[8:9]
                                        ; implicit-def: $vgpr48_vgpr49
	s_and_saveexec_b64 s[8:9], s[2:3]
	s_cbranch_execnz .LBB133_55
.LBB133_13:
	s_or_b64 exec, exec, s[8:9]
                                        ; implicit-def: $vgpr50_vgpr51
	s_and_saveexec_b64 s[2:3], s[4:5]
	s_cbranch_execnz .LBB133_56
.LBB133_14:
	s_or_b64 exec, exec, s[2:3]
                                        ; implicit-def: $vgpr52_vgpr53
	s_and_saveexec_b64 s[2:3], s[6:7]
	s_cbranch_execz .LBB133_16
.LBB133_15:
	global_load_dwordx2 v[52:53], v[6:7], off offset:1536
.LBB133_16:
	s_or_b64 exec, exec, s[2:3]
	v_mov_b32_e32 v7, v9
.LBB133_17:
	s_load_dwordx2 s[36:37], s[0:1], 0x28
	v_bfrev_b32_e32 v9, 1
	s_load_dword s0, s[0:1], 0x3c
	s_waitcnt vmcnt(7)
	v_cmp_lt_i32_e32 vcc, -1, v2
	s_mov_b32 s26, 0
	v_lshlrev_b32_e32 v27, 2, v7
	v_cndmask_b32_e32 v6, -1, v9, vcc
	s_waitcnt vmcnt(0)
	v_cmp_lt_i32_e32 vcc, -1, v3
	v_xor_b32_e32 v2, v6, v2
	s_waitcnt lgkmcnt(0)
	s_lshr_b32 s1, s0, 16
	v_cndmask_b32_e32 v6, -1, v9, vcc
	v_cmp_lt_i32_e32 vcc, -1, v4
	v_xor_b32_e32 v3, v6, v3
	s_and_b32 s0, s0, 0xffff
	v_cndmask_b32_e32 v6, -1, v9, vcc
	v_cmp_lt_i32_e32 vcc, -1, v5
	v_xor_b32_e32 v12, v6, v4
	v_lshlrev_b32_e32 v28, 2, v16
	v_cndmask_b32_e32 v4, -1, v9, vcc
	v_xor_b32_e32 v39, v4, v5
	v_bfe_u32 v4, v0, 10, 10
	v_bfe_u32 v0, v0, 20, 10
	v_mad_u32_u24 v0, v0, s1, v4
	v_mad_u64_u32 v[4:5], s[0:1], v0, s0, v[8:9]
	v_lshrrev_b32_e32 v0, 4, v4
	v_and_b32_e32 v22, 0xffffffc, v0
	v_and_b32_e32 v0, 15, v1
	v_cmp_eq_u32_e64 s[0:1], 0, v0
	v_cmp_lt_u32_e64 s[2:3], 1, v0
	v_cmp_lt_u32_e64 s[4:5], 3, v0
	;; [unrolled: 1-line block ×3, first 2 shown]
	v_and_b32_e32 v0, 16, v1
	v_cmp_eq_u32_e64 s[8:9], 0, v0
	v_and_b32_e32 v0, 0x3c0, v8
	v_min_u32_e32 v0, 0xc0, v0
	v_or_b32_e32 v0, 63, v0
	v_cmp_eq_u32_e64 s[12:13], v8, v0
	v_subrev_co_u32_e64 v0, s[18:19], 1, v1
	v_and_b32_e32 v4, 64, v1
	v_cmp_lt_i32_e32 vcc, v0, v4
	v_lshlrev_b32_e32 v29, 2, v17
	v_lshlrev_b32_e32 v30, 2, v18
	v_cndmask_b32_e32 v0, v0, v1, vcc
	v_lshlrev_b32_e32 v24, 2, v0
	v_lshrrev_b32_e32 v0, 4, v8
	v_and_b32_e32 v25, 60, v0
	v_and_b32_e32 v0, 3, v1
	s_mov_b32 s27, s26
	s_mov_b32 s44, s26
	;; [unrolled: 1-line block ×3, first 2 shown]
	s_add_i32 s40, s37, s36
	v_lshlrev_b32_e32 v11, 2, v10
	v_cmp_lt_u32_e64 s[10:11], 31, v1
	v_cmp_gt_u32_e64 s[14:15], 4, v8
	v_cmp_lt_u32_e64 s[16:17], 63, v8
	v_cmp_eq_u32_e64 s[20:21], 0, v8
	v_mul_i32_i24_e32 v23, -12, v8
	v_cmp_eq_u32_e64 s[22:23], 0, v0
	v_cmp_lt_u32_e64 s[24:25], 1, v0
	v_add_u32_e32 v26, -4, v25
	v_mov_b64_e32 v[4:5], s[26:27]
	v_mov_b64_e32 v[6:7], s[44:45]
	s_brev_b32 s41, -2
	v_mov_b32_e32 v13, 0
	v_add_u32_e32 v31, v27, v27
	v_add_u32_e32 v32, v28, v28
	;; [unrolled: 1-line block ×4, first 2 shown]
	s_branch .LBB133_19
.LBB133_18:                             ;   in Loop: Header=BB133_19 Depth=1
	s_andn2_b64 vcc, exec, s[26:27]
	s_cbranch_vccz .LBB133_35
.LBB133_19:                             ; =>This Inner Loop Header: Depth=1
	v_mov_b32_e32 v38, v2
	v_cmp_ne_u32_e32 vcc, s41, v38
	s_min_u32 s26, s37, 8
	s_lshl_b32 s44, -1, s26
	v_cndmask_b32_e32 v0, v9, v38, vcc
	v_lshrrev_b32_e32 v0, s36, v0
	v_bitop3_b32 v2, v0, s44, v0 bitop3:0x30
	v_mov_b32_e32 v36, v12
	v_and_b32_e32 v12, 1, v2
	v_lshl_add_u64 v[0:1], v[12:13], 0, -1
	v_cmp_ne_u32_e32 vcc, 0, v12
	v_mov_b32_e32 v35, v39
	v_mov_b32_e32 v37, v3
	v_xor_b32_e32 v1, vcc_hi, v1
	v_xor_b32_e32 v0, vcc_lo, v0
	v_and_b32_e32 v12, exec_hi, v1
	v_and_b32_e32 v39, exec_lo, v0
	v_lshlrev_b32_e32 v1, 30, v2
	v_mov_b32_e32 v0, v13
	v_cmp_gt_i64_e32 vcc, 0, v[0:1]
	v_not_b32_e32 v0, v1
	v_ashrrev_i32_e32 v0, 31, v0
	v_xor_b32_e32 v1, vcc_hi, v0
	v_xor_b32_e32 v0, vcc_lo, v0
	v_and_b32_e32 v12, v12, v1
	v_and_b32_e32 v39, v39, v0
	v_lshlrev_b32_e32 v1, 29, v2
	v_mov_b32_e32 v0, v13
	v_cmp_gt_i64_e32 vcc, 0, v[0:1]
	v_not_b32_e32 v0, v1
	v_ashrrev_i32_e32 v0, 31, v0
	v_xor_b32_e32 v1, vcc_hi, v0
	v_xor_b32_e32 v0, vcc_lo, v0
	v_and_b32_e32 v12, v12, v1
	v_and_b32_e32 v39, v39, v0
	;; [unrolled: 9-line block ×6, first 2 shown]
	v_lshlrev_b32_e32 v1, 24, v2
	v_mov_b32_e32 v0, v13
	v_cmp_gt_i64_e32 vcc, 0, v[0:1]
	v_not_b32_e32 v0, v1
	v_ashrrev_i32_e32 v0, 31, v0
	v_xor_b32_e32 v1, vcc_hi, v0
	v_xor_b32_e32 v0, vcc_lo, v0
	v_and_b32_e32 v0, v39, v0
	v_lshlrev_b32_e32 v3, 4, v2
	v_and_b32_e32 v1, v12, v1
	v_mbcnt_lo_u32_b32 v2, v0, 0
	v_mbcnt_hi_u32_b32 v39, v1, v2
	v_cmp_eq_u32_e32 vcc, 0, v39
	v_cmp_ne_u64_e64 s[26:27], 0, v[0:1]
	v_mov_b64_e32 v[20:21], v[46:47]
	v_mov_b64_e32 v[18:19], v[48:49]
	;; [unrolled: 1-line block ×4, first 2 shown]
	s_and_b64 s[46:47], s[26:27], vcc
	v_add_u32_e32 v40, v22, v3
	ds_write2_b64 v11, v[4:5], v[6:7] offset0:2 offset1:3
	s_waitcnt lgkmcnt(0)
	s_barrier
	; wave barrier
	s_and_saveexec_b64 s[26:27], s[46:47]
; %bb.20:                               ;   in Loop: Header=BB133_19 Depth=1
	v_bcnt_u32_b32 v0, v0, 0
	v_bcnt_u32_b32 v0, v1, v0
	ds_write_b32 v40, v0 offset:16
; %bb.21:                               ;   in Loop: Header=BB133_19 Depth=1
	s_or_b64 exec, exec, s[26:27]
	v_cmp_ne_u32_e32 vcc, s41, v37
	s_not_b32 s44, s44
	s_nop 0
	v_cndmask_b32_e32 v0, v9, v37, vcc
	v_lshrrev_b32_e32 v0, s36, v0
	v_and_b32_e32 v2, s44, v0
	v_lshlrev_b32_e32 v0, 4, v2
	v_and_b32_e32 v12, 1, v2
	v_add_u32_e32 v42, v22, v0
	v_lshl_add_u64 v[0:1], v[12:13], 0, -1
	v_cmp_ne_u32_e32 vcc, 0, v12
	; wave barrier
	ds_read_b32 v41, v42 offset:16
	s_nop 0
	v_xor_b32_e32 v1, vcc_hi, v1
	v_xor_b32_e32 v0, vcc_lo, v0
	v_and_b32_e32 v3, exec_hi, v1
	v_and_b32_e32 v12, exec_lo, v0
	v_lshlrev_b32_e32 v1, 30, v2
	v_mov_b32_e32 v0, v13
	v_cmp_gt_i64_e32 vcc, 0, v[0:1]
	v_not_b32_e32 v0, v1
	v_ashrrev_i32_e32 v0, 31, v0
	v_xor_b32_e32 v1, vcc_hi, v0
	v_xor_b32_e32 v0, vcc_lo, v0
	v_and_b32_e32 v3, v3, v1
	v_and_b32_e32 v12, v12, v0
	v_lshlrev_b32_e32 v1, 29, v2
	v_mov_b32_e32 v0, v13
	v_cmp_gt_i64_e32 vcc, 0, v[0:1]
	v_not_b32_e32 v0, v1
	v_ashrrev_i32_e32 v0, 31, v0
	v_xor_b32_e32 v1, vcc_hi, v0
	v_xor_b32_e32 v0, vcc_lo, v0
	v_and_b32_e32 v3, v3, v1
	v_and_b32_e32 v12, v12, v0
	;; [unrolled: 9-line block ×7, first 2 shown]
	v_mbcnt_lo_u32_b32 v2, v0, 0
	v_mbcnt_hi_u32_b32 v43, v1, v2
	v_cmp_eq_u32_e32 vcc, 0, v43
	v_cmp_ne_u64_e64 s[26:27], 0, v[0:1]
	s_and_b64 s[46:47], s[26:27], vcc
	; wave barrier
	s_and_saveexec_b64 s[26:27], s[46:47]
	s_cbranch_execz .LBB133_23
; %bb.22:                               ;   in Loop: Header=BB133_19 Depth=1
	v_bcnt_u32_b32 v0, v0, 0
	v_bcnt_u32_b32 v0, v1, v0
	s_waitcnt lgkmcnt(0)
	v_add_u32_e32 v0, v41, v0
	ds_write_b32 v42, v0 offset:16
.LBB133_23:                             ;   in Loop: Header=BB133_19 Depth=1
	s_or_b64 exec, exec, s[26:27]
	v_cmp_ne_u32_e32 vcc, s41, v36
	; wave barrier
	s_nop 1
	v_cndmask_b32_e32 v0, v9, v36, vcc
	v_lshrrev_b32_e32 v0, s36, v0
	v_and_b32_e32 v2, s44, v0
	v_lshlrev_b32_e32 v0, 4, v2
	v_and_b32_e32 v12, 1, v2
	v_add_u32_e32 v45, v22, v0
	v_lshl_add_u64 v[0:1], v[12:13], 0, -1
	v_cmp_ne_u32_e32 vcc, 0, v12
	ds_read_b32 v44, v45 offset:16
	s_nop 0
	v_xor_b32_e32 v1, vcc_hi, v1
	v_xor_b32_e32 v0, vcc_lo, v0
	v_and_b32_e32 v3, exec_hi, v1
	v_and_b32_e32 v12, exec_lo, v0
	v_lshlrev_b32_e32 v1, 30, v2
	v_mov_b32_e32 v0, v13
	v_cmp_gt_i64_e32 vcc, 0, v[0:1]
	v_not_b32_e32 v0, v1
	v_ashrrev_i32_e32 v0, 31, v0
	v_xor_b32_e32 v1, vcc_hi, v0
	v_xor_b32_e32 v0, vcc_lo, v0
	v_and_b32_e32 v3, v3, v1
	v_and_b32_e32 v12, v12, v0
	v_lshlrev_b32_e32 v1, 29, v2
	v_mov_b32_e32 v0, v13
	v_cmp_gt_i64_e32 vcc, 0, v[0:1]
	v_not_b32_e32 v0, v1
	v_ashrrev_i32_e32 v0, 31, v0
	v_xor_b32_e32 v1, vcc_hi, v0
	v_xor_b32_e32 v0, vcc_lo, v0
	v_and_b32_e32 v3, v3, v1
	v_and_b32_e32 v12, v12, v0
	v_lshlrev_b32_e32 v1, 28, v2
	v_mov_b32_e32 v0, v13
	v_cmp_gt_i64_e32 vcc, 0, v[0:1]
	v_not_b32_e32 v0, v1
	v_ashrrev_i32_e32 v0, 31, v0
	v_xor_b32_e32 v1, vcc_hi, v0
	v_xor_b32_e32 v0, vcc_lo, v0
	v_and_b32_e32 v3, v3, v1
	v_and_b32_e32 v12, v12, v0
	v_lshlrev_b32_e32 v1, 27, v2
	v_mov_b32_e32 v0, v13
	v_cmp_gt_i64_e32 vcc, 0, v[0:1]
	v_not_b32_e32 v0, v1
	v_ashrrev_i32_e32 v0, 31, v0
	v_xor_b32_e32 v1, vcc_hi, v0
	v_xor_b32_e32 v0, vcc_lo, v0
	v_and_b32_e32 v3, v3, v1
	v_and_b32_e32 v12, v12, v0
	v_lshlrev_b32_e32 v1, 26, v2
	v_mov_b32_e32 v0, v13
	v_cmp_gt_i64_e32 vcc, 0, v[0:1]
	v_not_b32_e32 v0, v1
	v_ashrrev_i32_e32 v0, 31, v0
	v_xor_b32_e32 v1, vcc_hi, v0
	v_xor_b32_e32 v0, vcc_lo, v0
	v_and_b32_e32 v3, v3, v1
	v_and_b32_e32 v12, v12, v0
	v_lshlrev_b32_e32 v1, 25, v2
	v_mov_b32_e32 v0, v13
	v_cmp_gt_i64_e32 vcc, 0, v[0:1]
	v_not_b32_e32 v0, v1
	v_ashrrev_i32_e32 v0, 31, v0
	v_xor_b32_e32 v1, vcc_hi, v0
	v_xor_b32_e32 v0, vcc_lo, v0
	v_and_b32_e32 v3, v3, v1
	v_and_b32_e32 v12, v12, v0
	v_lshlrev_b32_e32 v1, 24, v2
	v_mov_b32_e32 v0, v13
	v_cmp_gt_i64_e32 vcc, 0, v[0:1]
	v_not_b32_e32 v0, v1
	v_ashrrev_i32_e32 v0, 31, v0
	v_xor_b32_e32 v1, vcc_hi, v0
	v_xor_b32_e32 v0, vcc_lo, v0
	v_and_b32_e32 v0, v12, v0
	v_and_b32_e32 v1, v3, v1
	v_mbcnt_lo_u32_b32 v2, v0, 0
	v_mbcnt_hi_u32_b32 v46, v1, v2
	v_cmp_eq_u32_e32 vcc, 0, v46
	v_cmp_ne_u64_e64 s[26:27], 0, v[0:1]
	s_and_b64 s[46:47], s[26:27], vcc
	; wave barrier
	s_and_saveexec_b64 s[26:27], s[46:47]
	s_cbranch_execz .LBB133_25
; %bb.24:                               ;   in Loop: Header=BB133_19 Depth=1
	v_bcnt_u32_b32 v0, v0, 0
	v_bcnt_u32_b32 v0, v1, v0
	s_waitcnt lgkmcnt(0)
	v_add_u32_e32 v0, v44, v0
	ds_write_b32 v45, v0 offset:16
.LBB133_25:                             ;   in Loop: Header=BB133_19 Depth=1
	s_or_b64 exec, exec, s[26:27]
	v_cmp_ne_u32_e32 vcc, s41, v35
	; wave barrier
	s_nop 1
	v_cndmask_b32_e32 v0, v9, v35, vcc
	v_lshrrev_b32_e32 v0, s36, v0
	v_and_b32_e32 v2, s44, v0
	v_lshlrev_b32_e32 v0, 4, v2
	v_and_b32_e32 v12, 1, v2
	v_add_u32_e32 v48, v22, v0
	v_lshl_add_u64 v[0:1], v[12:13], 0, -1
	v_cmp_ne_u32_e32 vcc, 0, v12
	ds_read_b32 v47, v48 offset:16
	s_nop 0
	v_xor_b32_e32 v1, vcc_hi, v1
	v_xor_b32_e32 v0, vcc_lo, v0
	v_and_b32_e32 v3, exec_hi, v1
	v_and_b32_e32 v12, exec_lo, v0
	v_lshlrev_b32_e32 v1, 30, v2
	v_mov_b32_e32 v0, v13
	v_cmp_gt_i64_e32 vcc, 0, v[0:1]
	v_not_b32_e32 v0, v1
	v_ashrrev_i32_e32 v0, 31, v0
	v_xor_b32_e32 v1, vcc_hi, v0
	v_xor_b32_e32 v0, vcc_lo, v0
	v_and_b32_e32 v3, v3, v1
	v_and_b32_e32 v12, v12, v0
	v_lshlrev_b32_e32 v1, 29, v2
	v_mov_b32_e32 v0, v13
	v_cmp_gt_i64_e32 vcc, 0, v[0:1]
	v_not_b32_e32 v0, v1
	v_ashrrev_i32_e32 v0, 31, v0
	v_xor_b32_e32 v1, vcc_hi, v0
	v_xor_b32_e32 v0, vcc_lo, v0
	v_and_b32_e32 v3, v3, v1
	v_and_b32_e32 v12, v12, v0
	;; [unrolled: 9-line block ×7, first 2 shown]
	v_mbcnt_lo_u32_b32 v2, v0, 0
	v_mbcnt_hi_u32_b32 v12, v1, v2
	v_cmp_eq_u32_e32 vcc, 0, v12
	v_cmp_ne_u64_e64 s[26:27], 0, v[0:1]
	s_and_b64 s[44:45], s[26:27], vcc
	; wave barrier
	s_and_saveexec_b64 s[26:27], s[44:45]
	s_cbranch_execz .LBB133_27
; %bb.26:                               ;   in Loop: Header=BB133_19 Depth=1
	v_bcnt_u32_b32 v0, v0, 0
	v_bcnt_u32_b32 v0, v1, v0
	s_waitcnt lgkmcnt(0)
	v_add_u32_e32 v0, v47, v0
	ds_write_b32 v48, v0 offset:16
.LBB133_27:                             ;   in Loop: Header=BB133_19 Depth=1
	s_or_b64 exec, exec, s[26:27]
	; wave barrier
	s_waitcnt lgkmcnt(0)
	s_barrier
	ds_read2_b64 v[0:3], v11 offset0:2 offset1:3
	s_waitcnt lgkmcnt(0)
	v_add_u32_e32 v49, v1, v0
	v_add3_u32 v3, v49, v2, v3
	s_nop 1
	v_mov_b32_dpp v49, v3 row_shr:1 row_mask:0xf bank_mask:0xf
	v_cndmask_b32_e64 v49, v49, 0, s[0:1]
	v_add_u32_e32 v3, v49, v3
	s_nop 1
	v_mov_b32_dpp v49, v3 row_shr:2 row_mask:0xf bank_mask:0xf
	v_cndmask_b32_e64 v49, 0, v49, s[2:3]
	v_add_u32_e32 v3, v3, v49
	;; [unrolled: 4-line block ×4, first 2 shown]
	s_nop 1
	v_mov_b32_dpp v49, v3 row_bcast:15 row_mask:0xf bank_mask:0xf
	v_cndmask_b32_e64 v49, v49, 0, s[8:9]
	v_add_u32_e32 v3, v3, v49
	s_nop 1
	v_mov_b32_dpp v49, v3 row_bcast:31 row_mask:0xf bank_mask:0xf
	v_cndmask_b32_e64 v49, 0, v49, s[10:11]
	v_add_u32_e32 v3, v3, v49
	s_and_saveexec_b64 s[26:27], s[12:13]
; %bb.28:                               ;   in Loop: Header=BB133_19 Depth=1
	ds_write_b32 v25, v3
; %bb.29:                               ;   in Loop: Header=BB133_19 Depth=1
	s_or_b64 exec, exec, s[26:27]
	s_waitcnt lgkmcnt(0)
	s_barrier
	s_and_saveexec_b64 s[26:27], s[14:15]
	s_cbranch_execz .LBB133_31
; %bb.30:                               ;   in Loop: Header=BB133_19 Depth=1
	v_add_u32_e32 v49, v11, v23
	ds_read_b32 v50, v49
	s_waitcnt lgkmcnt(0)
	s_nop 0
	v_mov_b32_dpp v51, v50 row_shr:1 row_mask:0xf bank_mask:0xf
	v_cndmask_b32_e64 v51, v51, 0, s[22:23]
	v_add_u32_e32 v50, v51, v50
	s_nop 1
	v_mov_b32_dpp v51, v50 row_shr:2 row_mask:0xf bank_mask:0xf
	v_cndmask_b32_e64 v51, 0, v51, s[24:25]
	v_add_u32_e32 v50, v50, v51
	ds_write_b32 v49, v50
.LBB133_31:                             ;   in Loop: Header=BB133_19 Depth=1
	s_or_b64 exec, exec, s[26:27]
	v_mov_b32_e32 v49, 0
	s_waitcnt lgkmcnt(0)
	s_barrier
	s_and_saveexec_b64 s[26:27], s[16:17]
; %bb.32:                               ;   in Loop: Header=BB133_19 Depth=1
	ds_read_b32 v49, v26
; %bb.33:                               ;   in Loop: Header=BB133_19 Depth=1
	s_or_b64 exec, exec, s[26:27]
	s_waitcnt lgkmcnt(0)
	v_add_u32_e32 v3, v49, v3
	ds_bpermute_b32 v3, v24, v3
	s_add_i32 s36, s36, 8
	s_cmp_ge_u32 s36, s40
	s_mov_b64 s[26:27], -1
                                        ; implicit-def: $vgpr52_vgpr53
	s_waitcnt lgkmcnt(0)
	v_cndmask_b32_e64 v3, v3, v49, s[18:19]
	v_cndmask_b32_e64 v50, v3, 0, s[20:21]
	v_add_u32_e32 v51, v50, v0
	v_add_u32_e32 v0, v51, v1
	;; [unrolled: 1-line block ×3, first 2 shown]
	ds_write2_b64 v11, v[50:51], v[0:1] offset0:2 offset1:3
	s_waitcnt lgkmcnt(0)
	s_barrier
	ds_read_b32 v0, v40 offset:16
	ds_read_b32 v1, v42 offset:16
	;; [unrolled: 1-line block ×4, first 2 shown]
	s_waitcnt lgkmcnt(0)
	v_add_u32_e32 v42, v0, v39
	v_add3_u32 v40, v43, v41, v1
	v_add3_u32 v1, v46, v44, v2
	;; [unrolled: 1-line block ×3, first 2 shown]
	v_lshlrev_b32_e32 v45, 2, v42
	v_lshlrev_b32_e32 v44, 2, v40
	;; [unrolled: 1-line block ×4, first 2 shown]
                                        ; implicit-def: $vgpr39
                                        ; implicit-def: $vgpr12
                                        ; implicit-def: $vgpr3
                                        ; implicit-def: $vgpr2
                                        ; implicit-def: $vgpr46_vgpr47
                                        ; implicit-def: $vgpr48_vgpr49
                                        ; implicit-def: $vgpr50_vgpr51
	s_cbranch_scc1 .LBB133_18
; %bb.34:                               ;   in Loop: Header=BB133_19 Depth=1
	v_lshl_add_u32 v46, v42, 2, v45
	s_barrier
	ds_write_b32 v45, v38
	ds_write_b32 v44, v37
	;; [unrolled: 1-line block ×4, first 2 shown]
	s_waitcnt lgkmcnt(0)
	s_barrier
	ds_read_b32 v2, v27
	ds_read_b32 v3, v28
	ds_read_b32 v12, v29
	ds_read_b32 v39, v30
	s_waitcnt lgkmcnt(0)
	s_barrier
	ds_write_b64 v46, v[20:21]
	v_lshl_add_u32 v46, v40, 2, v44
	ds_write_b64 v46, v[18:19]
	v_lshl_add_u32 v46, v1, 2, v43
	ds_write_b64 v46, v[16:17]
	v_lshl_add_u32 v46, v0, 2, v41
	ds_write_b64 v46, v[14:15]
	s_waitcnt lgkmcnt(0)
	s_barrier
	ds_read_b64 v[46:47], v31
	ds_read_b64 v[48:49], v32
	;; [unrolled: 1-line block ×4, first 2 shown]
	s_add_i32 s37, s37, -8
	s_mov_b64 s[26:27], 0
	s_waitcnt lgkmcnt(0)
	s_barrier
	s_branch .LBB133_18
.LBB133_35:
	v_add_u32_e32 v2, v11, v23
	s_barrier
	ds_write_b32 v45, v38
	ds_write_b32 v44, v37
	;; [unrolled: 1-line block ×4, first 2 shown]
	s_waitcnt lgkmcnt(0)
	s_barrier
	ds_read2st64_b32 v[22:23], v2 offset1:4
	ds_read2st64_b32 v[24:25], v2 offset0:8 offset1:12
	v_lshl_add_u32 v2, v42, 2, v45
	s_waitcnt lgkmcnt(0)
	s_barrier
	ds_write_b64 v2, v[20:21]
	v_lshl_add_u32 v2, v40, 2, v44
	v_lshl_add_u32 v1, v1, 2, v43
	;; [unrolled: 1-line block ×3, first 2 shown]
	v_lshlrev_b32_e32 v12, 3, v8
	v_bfrev_b32_e32 v9, 1
	v_cmp_lt_i32_e32 vcc, -1, v22
	ds_write_b64 v2, v[18:19]
	ds_write_b64 v1, v[16:17]
	;; [unrolled: 1-line block ×3, first 2 shown]
	s_waitcnt lgkmcnt(0)
	s_barrier
	ds_read2st64_b64 v[4:7], v12 offset1:4
	ds_read2st64_b64 v[0:3], v12 offset0:8 offset1:12
	v_cndmask_b32_e64 v11, v9, -1, vcc
	v_cmp_lt_i32_e32 vcc, -1, v23
	v_xor_b32_e32 v18, v11, v22
	s_add_u32 s0, s38, s34
	v_cndmask_b32_e64 v11, v9, -1, vcc
	v_cmp_lt_i32_e32 vcc, -1, v24
	v_xor_b32_e32 v17, v11, v23
	s_addc_u32 s1, s39, s35
	v_cndmask_b32_e64 v11, v9, -1, vcc
	v_cmp_lt_i32_e32 vcc, -1, v25
	v_xor_b32_e32 v16, v11, v24
	v_mov_b32_e32 v11, 0
	v_cndmask_b32_e64 v9, v9, -1, vcc
	v_xor_b32_e32 v9, v9, v25
	s_andn2_b64 vcc, exec, s[30:31]
	v_lshl_add_u64 v[14:15], s[0:1], 0, v[10:11]
	s_cbranch_vccnz .LBB133_37
; %bb.36:
	s_lshl_b64 s[0:1], s[28:29], 3
	s_add_u32 s0, s42, s0
	s_addc_u32 s1, s43, s1
	v_mov_b32_e32 v13, v11
	v_lshl_add_u64 v[10:11], s[0:1], 0, v[12:13]
	v_add_co_u32_e32 v10, vcc, 0x1000, v10
	global_store_dword v[14:15], v18, off
	global_store_dword v[14:15], v17, off offset:1024
	global_store_dword v[14:15], v16, off offset:2048
	;; [unrolled: 1-line block ×3, first 2 shown]
	s_waitcnt lgkmcnt(1)
	global_store_dwordx2 v12, v[4:5], s[0:1]
	global_store_dwordx2 v12, v[6:7], s[0:1] offset:2048
	v_addc_co_u32_e32 v11, vcc, 0, v11, vcc
	s_mov_b64 s[4:5], -1
	s_waitcnt lgkmcnt(0)
	global_store_dwordx2 v[10:11], v[0:1], off
	s_cbranch_execz .LBB133_38
	s_branch .LBB133_51
.LBB133_37:
	s_mov_b64 s[4:5], 0
.LBB133_38:
	v_cmp_gt_u32_e32 vcc, s33, v8
	s_and_saveexec_b64 s[0:1], vcc
	s_cbranch_execz .LBB133_40
; %bb.39:
	global_store_dword v[14:15], v18, off
.LBB133_40:
	s_or_b64 exec, exec, s[0:1]
	v_add_u32_e32 v10, 0x100, v8
	v_cmp_gt_u32_e64 s[0:1], s33, v10
	s_and_saveexec_b64 s[2:3], s[0:1]
	s_cbranch_execz .LBB133_42
; %bb.41:
	global_store_dword v[14:15], v17, off offset:1024
.LBB133_42:
	s_or_b64 exec, exec, s[2:3]
	v_add_u32_e32 v10, 0x200, v8
	v_cmp_gt_u32_e64 s[2:3], s33, v10
	s_and_saveexec_b64 s[4:5], s[2:3]
	s_cbranch_execz .LBB133_44
; %bb.43:
	global_store_dword v[14:15], v16, off offset:2048
.LBB133_44:
	;; [unrolled: 8-line block ×3, first 2 shown]
	s_or_b64 exec, exec, s[6:7]
	s_lshl_b64 s[6:7], s[28:29], 3
	s_add_u32 s6, s42, s6
	s_addc_u32 s7, s43, s7
	v_mov_b32_e32 v13, 0
	v_lshl_add_u64 v[8:9], s[6:7], 0, v[12:13]
	s_and_saveexec_b64 s[6:7], vcc
	s_cbranch_execnz .LBB133_57
; %bb.47:
	s_or_b64 exec, exec, s[6:7]
	s_and_saveexec_b64 s[6:7], s[0:1]
	s_cbranch_execnz .LBB133_58
.LBB133_48:
	s_or_b64 exec, exec, s[6:7]
	s_and_saveexec_b64 s[0:1], s[2:3]
	s_cbranch_execz .LBB133_50
.LBB133_49:
	s_waitcnt lgkmcnt(1)
	v_add_co_u32_e32 v4, vcc, 0x1000, v8
	s_nop 1
	v_addc_co_u32_e32 v5, vcc, 0, v9, vcc
	s_waitcnt lgkmcnt(0)
	global_store_dwordx2 v[4:5], v[0:1], off
.LBB133_50:
	s_or_b64 exec, exec, s[0:1]
.LBB133_51:
	s_and_saveexec_b64 s[0:1], s[4:5]
	s_cbranch_execnz .LBB133_53
; %bb.52:
	s_endpgm
.LBB133_53:
	s_lshl_b64 s[0:1], s[28:29], 3
	s_add_u32 s0, s42, s0
	s_addc_u32 s1, s43, s1
	v_mov_b32_e32 v13, 0
	s_waitcnt lgkmcnt(0)
	v_lshl_add_u64 v[0:1], s[0:1], 0, v[12:13]
	v_add_co_u32_e32 v0, vcc, 0x1000, v0
	s_nop 1
	v_addc_co_u32_e32 v1, vcc, 0, v1, vcc
	global_store_dwordx2 v[0:1], v[2:3], off offset:2048
	s_endpgm
.LBB133_54:
	global_load_dwordx2 v[46:47], v[6:7], off
	s_or_b64 exec, exec, s[8:9]
                                        ; implicit-def: $vgpr48_vgpr49
	s_and_saveexec_b64 s[8:9], s[2:3]
	s_cbranch_execz .LBB133_13
.LBB133_55:
	global_load_dwordx2 v[48:49], v[6:7], off offset:512
	s_or_b64 exec, exec, s[8:9]
                                        ; implicit-def: $vgpr50_vgpr51
	s_and_saveexec_b64 s[2:3], s[4:5]
	s_cbranch_execz .LBB133_14
.LBB133_56:
	global_load_dwordx2 v[50:51], v[6:7], off offset:1024
	s_or_b64 exec, exec, s[2:3]
                                        ; implicit-def: $vgpr52_vgpr53
	s_and_saveexec_b64 s[2:3], s[6:7]
	s_cbranch_execnz .LBB133_15
	s_branch .LBB133_16
.LBB133_57:
	s_waitcnt lgkmcnt(1)
	global_store_dwordx2 v[8:9], v[4:5], off
	s_or_b64 exec, exec, s[6:7]
	s_and_saveexec_b64 s[6:7], s[0:1]
	s_cbranch_execz .LBB133_48
.LBB133_58:
	s_waitcnt lgkmcnt(1)
	global_store_dwordx2 v[8:9], v[6:7], off offset:2048
	s_or_b64 exec, exec, s[6:7]
	s_and_saveexec_b64 s[0:1], s[2:3]
	s_cbranch_execnz .LBB133_49
	s_branch .LBB133_50
	.section	.rodata,"a",@progbits
	.p2align	6, 0x0
	.amdhsa_kernel _ZN7rocprim17ROCPRIM_304000_NS6detail28radix_sort_block_sort_kernelINS1_36wrapped_radix_sort_block_sort_configINS0_13kernel_configILj256ELj4ELj4294967295EEEfN2at4cuda3cub6detail10OpaqueTypeILi8EEEEELb0EPKfPfPKSB_PSB_NS0_19identity_decomposerEEEvT1_T2_T3_T4_jT5_jj
		.amdhsa_group_segment_fixed_size 8192
		.amdhsa_private_segment_fixed_size 0
		.amdhsa_kernarg_size 304
		.amdhsa_user_sgpr_count 2
		.amdhsa_user_sgpr_dispatch_ptr 0
		.amdhsa_user_sgpr_queue_ptr 0
		.amdhsa_user_sgpr_kernarg_segment_ptr 1
		.amdhsa_user_sgpr_dispatch_id 0
		.amdhsa_user_sgpr_kernarg_preload_length 0
		.amdhsa_user_sgpr_kernarg_preload_offset 0
		.amdhsa_user_sgpr_private_segment_size 0
		.amdhsa_uses_dynamic_stack 0
		.amdhsa_enable_private_segment 0
		.amdhsa_system_sgpr_workgroup_id_x 1
		.amdhsa_system_sgpr_workgroup_id_y 0
		.amdhsa_system_sgpr_workgroup_id_z 0
		.amdhsa_system_sgpr_workgroup_info 0
		.amdhsa_system_vgpr_workitem_id 2
		.amdhsa_next_free_vgpr 54
		.amdhsa_next_free_sgpr 48
		.amdhsa_accum_offset 56
		.amdhsa_reserve_vcc 1
		.amdhsa_float_round_mode_32 0
		.amdhsa_float_round_mode_16_64 0
		.amdhsa_float_denorm_mode_32 3
		.amdhsa_float_denorm_mode_16_64 3
		.amdhsa_dx10_clamp 1
		.amdhsa_ieee_mode 1
		.amdhsa_fp16_overflow 0
		.amdhsa_tg_split 0
		.amdhsa_exception_fp_ieee_invalid_op 0
		.amdhsa_exception_fp_denorm_src 0
		.amdhsa_exception_fp_ieee_div_zero 0
		.amdhsa_exception_fp_ieee_overflow 0
		.amdhsa_exception_fp_ieee_underflow 0
		.amdhsa_exception_fp_ieee_inexact 0
		.amdhsa_exception_int_div_zero 0
	.end_amdhsa_kernel
	.section	.text._ZN7rocprim17ROCPRIM_304000_NS6detail28radix_sort_block_sort_kernelINS1_36wrapped_radix_sort_block_sort_configINS0_13kernel_configILj256ELj4ELj4294967295EEEfN2at4cuda3cub6detail10OpaqueTypeILi8EEEEELb0EPKfPfPKSB_PSB_NS0_19identity_decomposerEEEvT1_T2_T3_T4_jT5_jj,"axG",@progbits,_ZN7rocprim17ROCPRIM_304000_NS6detail28radix_sort_block_sort_kernelINS1_36wrapped_radix_sort_block_sort_configINS0_13kernel_configILj256ELj4ELj4294967295EEEfN2at4cuda3cub6detail10OpaqueTypeILi8EEEEELb0EPKfPfPKSB_PSB_NS0_19identity_decomposerEEEvT1_T2_T3_T4_jT5_jj,comdat
.Lfunc_end133:
	.size	_ZN7rocprim17ROCPRIM_304000_NS6detail28radix_sort_block_sort_kernelINS1_36wrapped_radix_sort_block_sort_configINS0_13kernel_configILj256ELj4ELj4294967295EEEfN2at4cuda3cub6detail10OpaqueTypeILi8EEEEELb0EPKfPfPKSB_PSB_NS0_19identity_decomposerEEEvT1_T2_T3_T4_jT5_jj, .Lfunc_end133-_ZN7rocprim17ROCPRIM_304000_NS6detail28radix_sort_block_sort_kernelINS1_36wrapped_radix_sort_block_sort_configINS0_13kernel_configILj256ELj4ELj4294967295EEEfN2at4cuda3cub6detail10OpaqueTypeILi8EEEEELb0EPKfPfPKSB_PSB_NS0_19identity_decomposerEEEvT1_T2_T3_T4_jT5_jj
                                        ; -- End function
	.set _ZN7rocprim17ROCPRIM_304000_NS6detail28radix_sort_block_sort_kernelINS1_36wrapped_radix_sort_block_sort_configINS0_13kernel_configILj256ELj4ELj4294967295EEEfN2at4cuda3cub6detail10OpaqueTypeILi8EEEEELb0EPKfPfPKSB_PSB_NS0_19identity_decomposerEEEvT1_T2_T3_T4_jT5_jj.num_vgpr, 54
	.set _ZN7rocprim17ROCPRIM_304000_NS6detail28radix_sort_block_sort_kernelINS1_36wrapped_radix_sort_block_sort_configINS0_13kernel_configILj256ELj4ELj4294967295EEEfN2at4cuda3cub6detail10OpaqueTypeILi8EEEEELb0EPKfPfPKSB_PSB_NS0_19identity_decomposerEEEvT1_T2_T3_T4_jT5_jj.num_agpr, 0
	.set _ZN7rocprim17ROCPRIM_304000_NS6detail28radix_sort_block_sort_kernelINS1_36wrapped_radix_sort_block_sort_configINS0_13kernel_configILj256ELj4ELj4294967295EEEfN2at4cuda3cub6detail10OpaqueTypeILi8EEEEELb0EPKfPfPKSB_PSB_NS0_19identity_decomposerEEEvT1_T2_T3_T4_jT5_jj.numbered_sgpr, 48
	.set _ZN7rocprim17ROCPRIM_304000_NS6detail28radix_sort_block_sort_kernelINS1_36wrapped_radix_sort_block_sort_configINS0_13kernel_configILj256ELj4ELj4294967295EEEfN2at4cuda3cub6detail10OpaqueTypeILi8EEEEELb0EPKfPfPKSB_PSB_NS0_19identity_decomposerEEEvT1_T2_T3_T4_jT5_jj.num_named_barrier, 0
	.set _ZN7rocprim17ROCPRIM_304000_NS6detail28radix_sort_block_sort_kernelINS1_36wrapped_radix_sort_block_sort_configINS0_13kernel_configILj256ELj4ELj4294967295EEEfN2at4cuda3cub6detail10OpaqueTypeILi8EEEEELb0EPKfPfPKSB_PSB_NS0_19identity_decomposerEEEvT1_T2_T3_T4_jT5_jj.private_seg_size, 0
	.set _ZN7rocprim17ROCPRIM_304000_NS6detail28radix_sort_block_sort_kernelINS1_36wrapped_radix_sort_block_sort_configINS0_13kernel_configILj256ELj4ELj4294967295EEEfN2at4cuda3cub6detail10OpaqueTypeILi8EEEEELb0EPKfPfPKSB_PSB_NS0_19identity_decomposerEEEvT1_T2_T3_T4_jT5_jj.uses_vcc, 1
	.set _ZN7rocprim17ROCPRIM_304000_NS6detail28radix_sort_block_sort_kernelINS1_36wrapped_radix_sort_block_sort_configINS0_13kernel_configILj256ELj4ELj4294967295EEEfN2at4cuda3cub6detail10OpaqueTypeILi8EEEEELb0EPKfPfPKSB_PSB_NS0_19identity_decomposerEEEvT1_T2_T3_T4_jT5_jj.uses_flat_scratch, 0
	.set _ZN7rocprim17ROCPRIM_304000_NS6detail28radix_sort_block_sort_kernelINS1_36wrapped_radix_sort_block_sort_configINS0_13kernel_configILj256ELj4ELj4294967295EEEfN2at4cuda3cub6detail10OpaqueTypeILi8EEEEELb0EPKfPfPKSB_PSB_NS0_19identity_decomposerEEEvT1_T2_T3_T4_jT5_jj.has_dyn_sized_stack, 0
	.set _ZN7rocprim17ROCPRIM_304000_NS6detail28radix_sort_block_sort_kernelINS1_36wrapped_radix_sort_block_sort_configINS0_13kernel_configILj256ELj4ELj4294967295EEEfN2at4cuda3cub6detail10OpaqueTypeILi8EEEEELb0EPKfPfPKSB_PSB_NS0_19identity_decomposerEEEvT1_T2_T3_T4_jT5_jj.has_recursion, 0
	.set _ZN7rocprim17ROCPRIM_304000_NS6detail28radix_sort_block_sort_kernelINS1_36wrapped_radix_sort_block_sort_configINS0_13kernel_configILj256ELj4ELj4294967295EEEfN2at4cuda3cub6detail10OpaqueTypeILi8EEEEELb0EPKfPfPKSB_PSB_NS0_19identity_decomposerEEEvT1_T2_T3_T4_jT5_jj.has_indirect_call, 0
	.section	.AMDGPU.csdata,"",@progbits
; Kernel info:
; codeLenInByte = 4040
; TotalNumSgprs: 54
; NumVgprs: 54
; NumAgprs: 0
; TotalNumVgprs: 54
; ScratchSize: 0
; MemoryBound: 0
; FloatMode: 240
; IeeeMode: 1
; LDSByteSize: 8192 bytes/workgroup (compile time only)
; SGPRBlocks: 6
; VGPRBlocks: 6
; NumSGPRsForWavesPerEU: 54
; NumVGPRsForWavesPerEU: 54
; AccumOffset: 56
; Occupancy: 8
; WaveLimiterHint : 1
; COMPUTE_PGM_RSRC2:SCRATCH_EN: 0
; COMPUTE_PGM_RSRC2:USER_SGPR: 2
; COMPUTE_PGM_RSRC2:TRAP_HANDLER: 0
; COMPUTE_PGM_RSRC2:TGID_X_EN: 1
; COMPUTE_PGM_RSRC2:TGID_Y_EN: 0
; COMPUTE_PGM_RSRC2:TGID_Z_EN: 0
; COMPUTE_PGM_RSRC2:TIDIG_COMP_CNT: 2
; COMPUTE_PGM_RSRC3_GFX90A:ACCUM_OFFSET: 13
; COMPUTE_PGM_RSRC3_GFX90A:TG_SPLIT: 0
	.section	.text._ZN7rocprim17ROCPRIM_304000_NS6detail45device_block_merge_mergepath_partition_kernelINS1_37wrapped_merge_sort_block_merge_configINS0_14default_configEfN2at4cuda3cub6detail10OpaqueTypeILi8EEEEEPfjNS1_19radix_merge_compareILb0ELb0EfNS0_19identity_decomposerEEEEEvT0_T1_jPSH_T2_SH_,"axG",@progbits,_ZN7rocprim17ROCPRIM_304000_NS6detail45device_block_merge_mergepath_partition_kernelINS1_37wrapped_merge_sort_block_merge_configINS0_14default_configEfN2at4cuda3cub6detail10OpaqueTypeILi8EEEEEPfjNS1_19radix_merge_compareILb0ELb0EfNS0_19identity_decomposerEEEEEvT0_T1_jPSH_T2_SH_,comdat
	.protected	_ZN7rocprim17ROCPRIM_304000_NS6detail45device_block_merge_mergepath_partition_kernelINS1_37wrapped_merge_sort_block_merge_configINS0_14default_configEfN2at4cuda3cub6detail10OpaqueTypeILi8EEEEEPfjNS1_19radix_merge_compareILb0ELb0EfNS0_19identity_decomposerEEEEEvT0_T1_jPSH_T2_SH_ ; -- Begin function _ZN7rocprim17ROCPRIM_304000_NS6detail45device_block_merge_mergepath_partition_kernelINS1_37wrapped_merge_sort_block_merge_configINS0_14default_configEfN2at4cuda3cub6detail10OpaqueTypeILi8EEEEEPfjNS1_19radix_merge_compareILb0ELb0EfNS0_19identity_decomposerEEEEEvT0_T1_jPSH_T2_SH_
	.globl	_ZN7rocprim17ROCPRIM_304000_NS6detail45device_block_merge_mergepath_partition_kernelINS1_37wrapped_merge_sort_block_merge_configINS0_14default_configEfN2at4cuda3cub6detail10OpaqueTypeILi8EEEEEPfjNS1_19radix_merge_compareILb0ELb0EfNS0_19identity_decomposerEEEEEvT0_T1_jPSH_T2_SH_
	.p2align	8
	.type	_ZN7rocprim17ROCPRIM_304000_NS6detail45device_block_merge_mergepath_partition_kernelINS1_37wrapped_merge_sort_block_merge_configINS0_14default_configEfN2at4cuda3cub6detail10OpaqueTypeILi8EEEEEPfjNS1_19radix_merge_compareILb0ELb0EfNS0_19identity_decomposerEEEEEvT0_T1_jPSH_T2_SH_,@function
_ZN7rocprim17ROCPRIM_304000_NS6detail45device_block_merge_mergepath_partition_kernelINS1_37wrapped_merge_sort_block_merge_configINS0_14default_configEfN2at4cuda3cub6detail10OpaqueTypeILi8EEEEEPfjNS1_19radix_merge_compareILb0ELb0EfNS0_19identity_decomposerEEEEEvT0_T1_jPSH_T2_SH_: ; @_ZN7rocprim17ROCPRIM_304000_NS6detail45device_block_merge_mergepath_partition_kernelINS1_37wrapped_merge_sort_block_merge_configINS0_14default_configEfN2at4cuda3cub6detail10OpaqueTypeILi8EEEEEPfjNS1_19radix_merge_compareILb0ELb0EfNS0_19identity_decomposerEEEEEvT0_T1_jPSH_T2_SH_
; %bb.0:
	s_load_dwordx2 s[4:5], s[0:1], 0x8
	v_lshl_or_b32 v0, s2, 7, v0
	s_waitcnt lgkmcnt(0)
	v_cmp_gt_u32_e32 vcc, s5, v0
	s_and_saveexec_b64 s[2:3], vcc
	s_cbranch_execz .LBB134_6
; %bb.1:
	s_load_dword s2, s[0:1], 0x1c
	s_waitcnt lgkmcnt(0)
	s_lshr_b32 s3, s2, 9
	s_and_b32 s3, s3, 0x7ffffe
	s_add_i32 s5, s3, -1
	s_sub_i32 s3, 0, s3
	v_and_b32_e32 v1, s3, v0
	v_and_b32_e32 v2, s5, v0
	v_lshlrev_b32_e32 v1, 10, v1
	v_lshlrev_b32_e32 v3, 10, v2
	v_min_u32_e32 v2, s4, v1
	v_add_u32_e32 v1, s2, v1
	v_min_u32_e32 v4, s4, v1
	v_add_u32_e32 v1, s2, v4
	v_min_u32_e32 v1, s4, v1
	v_sub_u32_e32 v5, v1, v2
	v_min_u32_e32 v10, v5, v3
	v_sub_u32_e32 v3, v4, v2
	v_sub_u32_e32 v1, v1, v4
	v_sub_u32_e64 v1, v10, v1 clamp
	v_min_u32_e32 v11, v10, v3
	v_cmp_lt_u32_e32 vcc, v1, v11
	s_and_saveexec_b64 s[2:3], vcc
	s_cbranch_execz .LBB134_5
; %bb.2:
	s_load_dwordx2 s[6:7], s[0:1], 0x0
	v_mov_b32_e32 v5, 0
	v_mov_b32_e32 v3, v5
	s_mov_b64 s[4:5], 0
	s_waitcnt lgkmcnt(0)
	v_lshl_add_u64 v[6:7], v[2:3], 2, s[6:7]
	v_lshl_add_u64 v[8:9], v[4:5], 2, s[6:7]
	s_brev_b32 s6, 1
	v_bfrev_b32_e32 v3, 1
.LBB134_3:                              ; =>This Inner Loop Header: Depth=1
	v_add_u32_e32 v4, v11, v1
	v_lshrrev_b32_e32 v4, 1, v4
	v_mov_b32_e32 v13, v5
	v_xad_u32 v12, v4, -1, v10
	v_lshl_add_u64 v[14:15], v[4:5], 2, v[6:7]
	global_load_dword v14, v[14:15], off
	v_lshl_add_u64 v[12:13], v[12:13], 2, v[8:9]
	global_load_dword v12, v[12:13], off
	v_add_u32_e32 v13, 1, v4
	s_waitcnt vmcnt(1)
	v_cmp_ne_u32_e32 vcc, s6, v14
	s_nop 1
	v_cndmask_b32_e32 v14, 0, v14, vcc
	s_waitcnt vmcnt(0)
	v_cmp_ne_u32_e32 vcc, s6, v12
	s_nop 1
	v_cndmask_b32_e32 v12, 0, v12, vcc
	v_cmp_lt_i32_e32 vcc, -1, v14
	s_nop 1
	v_cndmask_b32_e32 v15, -1, v3, vcc
	v_cmp_lt_i32_e32 vcc, -1, v12
	v_xor_b32_e32 v14, v15, v14
	s_nop 0
	v_cndmask_b32_e32 v15, -1, v3, vcc
	v_xor_b32_e32 v12, v15, v12
	v_cmp_gt_u32_e32 vcc, v14, v12
	s_nop 1
	v_cndmask_b32_e32 v11, v11, v4, vcc
	v_cndmask_b32_e32 v1, v13, v1, vcc
	v_cmp_ge_u32_e32 vcc, v1, v11
	s_or_b64 s[4:5], vcc, s[4:5]
	s_andn2_b64 exec, exec, s[4:5]
	s_cbranch_execnz .LBB134_3
; %bb.4:
	s_or_b64 exec, exec, s[4:5]
.LBB134_5:
	s_or_b64 exec, exec, s[2:3]
	s_load_dwordx2 s[0:1], s[0:1], 0x10
	v_add_u32_e32 v2, v1, v2
	v_mov_b32_e32 v1, 0
	s_waitcnt lgkmcnt(0)
	v_lshl_add_u64 v[0:1], v[0:1], 2, s[0:1]
	global_store_dword v[0:1], v2, off
.LBB134_6:
	s_endpgm
	.section	.rodata,"a",@progbits
	.p2align	6, 0x0
	.amdhsa_kernel _ZN7rocprim17ROCPRIM_304000_NS6detail45device_block_merge_mergepath_partition_kernelINS1_37wrapped_merge_sort_block_merge_configINS0_14default_configEfN2at4cuda3cub6detail10OpaqueTypeILi8EEEEEPfjNS1_19radix_merge_compareILb0ELb0EfNS0_19identity_decomposerEEEEEvT0_T1_jPSH_T2_SH_
		.amdhsa_group_segment_fixed_size 0
		.amdhsa_private_segment_fixed_size 0
		.amdhsa_kernarg_size 32
		.amdhsa_user_sgpr_count 2
		.amdhsa_user_sgpr_dispatch_ptr 0
		.amdhsa_user_sgpr_queue_ptr 0
		.amdhsa_user_sgpr_kernarg_segment_ptr 1
		.amdhsa_user_sgpr_dispatch_id 0
		.amdhsa_user_sgpr_kernarg_preload_length 0
		.amdhsa_user_sgpr_kernarg_preload_offset 0
		.amdhsa_user_sgpr_private_segment_size 0
		.amdhsa_uses_dynamic_stack 0
		.amdhsa_enable_private_segment 0
		.amdhsa_system_sgpr_workgroup_id_x 1
		.amdhsa_system_sgpr_workgroup_id_y 0
		.amdhsa_system_sgpr_workgroup_id_z 0
		.amdhsa_system_sgpr_workgroup_info 0
		.amdhsa_system_vgpr_workitem_id 0
		.amdhsa_next_free_vgpr 16
		.amdhsa_next_free_sgpr 8
		.amdhsa_accum_offset 16
		.amdhsa_reserve_vcc 1
		.amdhsa_float_round_mode_32 0
		.amdhsa_float_round_mode_16_64 0
		.amdhsa_float_denorm_mode_32 3
		.amdhsa_float_denorm_mode_16_64 3
		.amdhsa_dx10_clamp 1
		.amdhsa_ieee_mode 1
		.amdhsa_fp16_overflow 0
		.amdhsa_tg_split 0
		.amdhsa_exception_fp_ieee_invalid_op 0
		.amdhsa_exception_fp_denorm_src 0
		.amdhsa_exception_fp_ieee_div_zero 0
		.amdhsa_exception_fp_ieee_overflow 0
		.amdhsa_exception_fp_ieee_underflow 0
		.amdhsa_exception_fp_ieee_inexact 0
		.amdhsa_exception_int_div_zero 0
	.end_amdhsa_kernel
	.section	.text._ZN7rocprim17ROCPRIM_304000_NS6detail45device_block_merge_mergepath_partition_kernelINS1_37wrapped_merge_sort_block_merge_configINS0_14default_configEfN2at4cuda3cub6detail10OpaqueTypeILi8EEEEEPfjNS1_19radix_merge_compareILb0ELb0EfNS0_19identity_decomposerEEEEEvT0_T1_jPSH_T2_SH_,"axG",@progbits,_ZN7rocprim17ROCPRIM_304000_NS6detail45device_block_merge_mergepath_partition_kernelINS1_37wrapped_merge_sort_block_merge_configINS0_14default_configEfN2at4cuda3cub6detail10OpaqueTypeILi8EEEEEPfjNS1_19radix_merge_compareILb0ELb0EfNS0_19identity_decomposerEEEEEvT0_T1_jPSH_T2_SH_,comdat
.Lfunc_end134:
	.size	_ZN7rocprim17ROCPRIM_304000_NS6detail45device_block_merge_mergepath_partition_kernelINS1_37wrapped_merge_sort_block_merge_configINS0_14default_configEfN2at4cuda3cub6detail10OpaqueTypeILi8EEEEEPfjNS1_19radix_merge_compareILb0ELb0EfNS0_19identity_decomposerEEEEEvT0_T1_jPSH_T2_SH_, .Lfunc_end134-_ZN7rocprim17ROCPRIM_304000_NS6detail45device_block_merge_mergepath_partition_kernelINS1_37wrapped_merge_sort_block_merge_configINS0_14default_configEfN2at4cuda3cub6detail10OpaqueTypeILi8EEEEEPfjNS1_19radix_merge_compareILb0ELb0EfNS0_19identity_decomposerEEEEEvT0_T1_jPSH_T2_SH_
                                        ; -- End function
	.set _ZN7rocprim17ROCPRIM_304000_NS6detail45device_block_merge_mergepath_partition_kernelINS1_37wrapped_merge_sort_block_merge_configINS0_14default_configEfN2at4cuda3cub6detail10OpaqueTypeILi8EEEEEPfjNS1_19radix_merge_compareILb0ELb0EfNS0_19identity_decomposerEEEEEvT0_T1_jPSH_T2_SH_.num_vgpr, 16
	.set _ZN7rocprim17ROCPRIM_304000_NS6detail45device_block_merge_mergepath_partition_kernelINS1_37wrapped_merge_sort_block_merge_configINS0_14default_configEfN2at4cuda3cub6detail10OpaqueTypeILi8EEEEEPfjNS1_19radix_merge_compareILb0ELb0EfNS0_19identity_decomposerEEEEEvT0_T1_jPSH_T2_SH_.num_agpr, 0
	.set _ZN7rocprim17ROCPRIM_304000_NS6detail45device_block_merge_mergepath_partition_kernelINS1_37wrapped_merge_sort_block_merge_configINS0_14default_configEfN2at4cuda3cub6detail10OpaqueTypeILi8EEEEEPfjNS1_19radix_merge_compareILb0ELb0EfNS0_19identity_decomposerEEEEEvT0_T1_jPSH_T2_SH_.numbered_sgpr, 8
	.set _ZN7rocprim17ROCPRIM_304000_NS6detail45device_block_merge_mergepath_partition_kernelINS1_37wrapped_merge_sort_block_merge_configINS0_14default_configEfN2at4cuda3cub6detail10OpaqueTypeILi8EEEEEPfjNS1_19radix_merge_compareILb0ELb0EfNS0_19identity_decomposerEEEEEvT0_T1_jPSH_T2_SH_.num_named_barrier, 0
	.set _ZN7rocprim17ROCPRIM_304000_NS6detail45device_block_merge_mergepath_partition_kernelINS1_37wrapped_merge_sort_block_merge_configINS0_14default_configEfN2at4cuda3cub6detail10OpaqueTypeILi8EEEEEPfjNS1_19radix_merge_compareILb0ELb0EfNS0_19identity_decomposerEEEEEvT0_T1_jPSH_T2_SH_.private_seg_size, 0
	.set _ZN7rocprim17ROCPRIM_304000_NS6detail45device_block_merge_mergepath_partition_kernelINS1_37wrapped_merge_sort_block_merge_configINS0_14default_configEfN2at4cuda3cub6detail10OpaqueTypeILi8EEEEEPfjNS1_19radix_merge_compareILb0ELb0EfNS0_19identity_decomposerEEEEEvT0_T1_jPSH_T2_SH_.uses_vcc, 1
	.set _ZN7rocprim17ROCPRIM_304000_NS6detail45device_block_merge_mergepath_partition_kernelINS1_37wrapped_merge_sort_block_merge_configINS0_14default_configEfN2at4cuda3cub6detail10OpaqueTypeILi8EEEEEPfjNS1_19radix_merge_compareILb0ELb0EfNS0_19identity_decomposerEEEEEvT0_T1_jPSH_T2_SH_.uses_flat_scratch, 0
	.set _ZN7rocprim17ROCPRIM_304000_NS6detail45device_block_merge_mergepath_partition_kernelINS1_37wrapped_merge_sort_block_merge_configINS0_14default_configEfN2at4cuda3cub6detail10OpaqueTypeILi8EEEEEPfjNS1_19radix_merge_compareILb0ELb0EfNS0_19identity_decomposerEEEEEvT0_T1_jPSH_T2_SH_.has_dyn_sized_stack, 0
	.set _ZN7rocprim17ROCPRIM_304000_NS6detail45device_block_merge_mergepath_partition_kernelINS1_37wrapped_merge_sort_block_merge_configINS0_14default_configEfN2at4cuda3cub6detail10OpaqueTypeILi8EEEEEPfjNS1_19radix_merge_compareILb0ELb0EfNS0_19identity_decomposerEEEEEvT0_T1_jPSH_T2_SH_.has_recursion, 0
	.set _ZN7rocprim17ROCPRIM_304000_NS6detail45device_block_merge_mergepath_partition_kernelINS1_37wrapped_merge_sort_block_merge_configINS0_14default_configEfN2at4cuda3cub6detail10OpaqueTypeILi8EEEEEPfjNS1_19radix_merge_compareILb0ELb0EfNS0_19identity_decomposerEEEEEvT0_T1_jPSH_T2_SH_.has_indirect_call, 0
	.section	.AMDGPU.csdata,"",@progbits
; Kernel info:
; codeLenInByte = 388
; TotalNumSgprs: 14
; NumVgprs: 16
; NumAgprs: 0
; TotalNumVgprs: 16
; ScratchSize: 0
; MemoryBound: 0
; FloatMode: 240
; IeeeMode: 1
; LDSByteSize: 0 bytes/workgroup (compile time only)
; SGPRBlocks: 1
; VGPRBlocks: 1
; NumSGPRsForWavesPerEU: 14
; NumVGPRsForWavesPerEU: 16
; AccumOffset: 16
; Occupancy: 8
; WaveLimiterHint : 0
; COMPUTE_PGM_RSRC2:SCRATCH_EN: 0
; COMPUTE_PGM_RSRC2:USER_SGPR: 2
; COMPUTE_PGM_RSRC2:TRAP_HANDLER: 0
; COMPUTE_PGM_RSRC2:TGID_X_EN: 1
; COMPUTE_PGM_RSRC2:TGID_Y_EN: 0
; COMPUTE_PGM_RSRC2:TGID_Z_EN: 0
; COMPUTE_PGM_RSRC2:TIDIG_COMP_CNT: 0
; COMPUTE_PGM_RSRC3_GFX90A:ACCUM_OFFSET: 3
; COMPUTE_PGM_RSRC3_GFX90A:TG_SPLIT: 0
	.section	.text._ZN7rocprim17ROCPRIM_304000_NS6detail35device_block_merge_mergepath_kernelINS1_37wrapped_merge_sort_block_merge_configINS0_14default_configEfN2at4cuda3cub6detail10OpaqueTypeILi8EEEEEPfSC_PSA_SD_jNS1_19radix_merge_compareILb0ELb0EfNS0_19identity_decomposerEEEEEvT0_T1_T2_T3_T4_SL_jT5_PKSL_NS1_7vsmem_tE,"axG",@progbits,_ZN7rocprim17ROCPRIM_304000_NS6detail35device_block_merge_mergepath_kernelINS1_37wrapped_merge_sort_block_merge_configINS0_14default_configEfN2at4cuda3cub6detail10OpaqueTypeILi8EEEEEPfSC_PSA_SD_jNS1_19radix_merge_compareILb0ELb0EfNS0_19identity_decomposerEEEEEvT0_T1_T2_T3_T4_SL_jT5_PKSL_NS1_7vsmem_tE,comdat
	.protected	_ZN7rocprim17ROCPRIM_304000_NS6detail35device_block_merge_mergepath_kernelINS1_37wrapped_merge_sort_block_merge_configINS0_14default_configEfN2at4cuda3cub6detail10OpaqueTypeILi8EEEEEPfSC_PSA_SD_jNS1_19radix_merge_compareILb0ELb0EfNS0_19identity_decomposerEEEEEvT0_T1_T2_T3_T4_SL_jT5_PKSL_NS1_7vsmem_tE ; -- Begin function _ZN7rocprim17ROCPRIM_304000_NS6detail35device_block_merge_mergepath_kernelINS1_37wrapped_merge_sort_block_merge_configINS0_14default_configEfN2at4cuda3cub6detail10OpaqueTypeILi8EEEEEPfSC_PSA_SD_jNS1_19radix_merge_compareILb0ELb0EfNS0_19identity_decomposerEEEEEvT0_T1_T2_T3_T4_SL_jT5_PKSL_NS1_7vsmem_tE
	.globl	_ZN7rocprim17ROCPRIM_304000_NS6detail35device_block_merge_mergepath_kernelINS1_37wrapped_merge_sort_block_merge_configINS0_14default_configEfN2at4cuda3cub6detail10OpaqueTypeILi8EEEEEPfSC_PSA_SD_jNS1_19radix_merge_compareILb0ELb0EfNS0_19identity_decomposerEEEEEvT0_T1_T2_T3_T4_SL_jT5_PKSL_NS1_7vsmem_tE
	.p2align	8
	.type	_ZN7rocprim17ROCPRIM_304000_NS6detail35device_block_merge_mergepath_kernelINS1_37wrapped_merge_sort_block_merge_configINS0_14default_configEfN2at4cuda3cub6detail10OpaqueTypeILi8EEEEEPfSC_PSA_SD_jNS1_19radix_merge_compareILb0ELb0EfNS0_19identity_decomposerEEEEEvT0_T1_T2_T3_T4_SL_jT5_PKSL_NS1_7vsmem_tE,@function
_ZN7rocprim17ROCPRIM_304000_NS6detail35device_block_merge_mergepath_kernelINS1_37wrapped_merge_sort_block_merge_configINS0_14default_configEfN2at4cuda3cub6detail10OpaqueTypeILi8EEEEEPfSC_PSA_SD_jNS1_19radix_merge_compareILb0ELb0EfNS0_19identity_decomposerEEEEEvT0_T1_T2_T3_T4_SL_jT5_PKSL_NS1_7vsmem_tE: ; @_ZN7rocprim17ROCPRIM_304000_NS6detail35device_block_merge_mergepath_kernelINS1_37wrapped_merge_sort_block_merge_configINS0_14default_configEfN2at4cuda3cub6detail10OpaqueTypeILi8EEEEEPfSC_PSA_SD_jNS1_19radix_merge_compareILb0ELb0EfNS0_19identity_decomposerEEEEEvT0_T1_T2_T3_T4_SL_jT5_PKSL_NS1_7vsmem_tE
; %bb.0:
	s_load_dwordx2 s[26:27], s[0:1], 0x40
	s_load_dwordx4 s[12:15], s[0:1], 0x20
	s_add_u32 s24, s0, 64
	s_addc_u32 s25, s1, 0
	s_waitcnt lgkmcnt(0)
	s_mul_i32 s4, s27, s4
	s_add_i32 s3, s4, s3
	s_mul_i32 s3, s3, s26
	s_add_i32 s22, s3, s2
	s_cmp_ge_u32 s22, s14
	s_cbranch_scc1 .LBB135_135
; %bb.1:
	s_load_dwordx8 s[4:11], s[0:1], 0x0
	s_load_dwordx2 s[14:15], s[0:1], 0x30
	s_lshr_b32 s27, s12, 10
	s_cmp_lg_u32 s22, s27
	s_mov_b32 s23, 0
	s_cselect_b64 s[16:17], -1, 0
	s_lshl_b64 s[0:1], s[22:23], 2
	s_waitcnt lgkmcnt(0)
	s_add_u32 s0, s14, s0
	s_addc_u32 s1, s15, s1
	s_load_dwordx2 s[18:19], s[0:1], 0x0
	s_lshr_b32 s0, s13, 9
	s_and_b32 s0, s0, 0x7ffffe
	s_sub_i32 s0, 0, s0
	s_and_b32 s1, s22, s0
	s_lshl_b32 s3, s1, 10
	s_lshl_b32 s14, s22, 10
	s_lshl_b32 s1, s1, 11
	s_sub_i32 s15, s14, s3
	s_add_i32 s1, s1, s13
	s_add_i32 s15, s1, s15
	s_waitcnt lgkmcnt(0)
	s_sub_i32 s20, s15, s18
	s_sub_i32 s15, s15, s19
	;; [unrolled: 1-line block ×3, first 2 shown]
	s_min_u32 s20, s12, s20
	s_addk_i32 s15, 0x400
	s_or_b32 s0, s22, s0
	s_min_u32 s3, s12, s1
	s_add_i32 s1, s1, s13
	s_cmp_eq_u32 s0, -1
	s_cselect_b32 s0, s1, s15
	s_cselect_b32 s1, s3, s19
	s_min_u32 s0, s0, s12
	s_mov_b32 s19, s23
	s_sub_i32 s15, s1, s18
	s_sub_i32 s33, s0, s20
	s_lshl_b64 s[0:1], s[18:19], 2
	s_add_u32 s0, s4, s0
	s_mov_b32 s21, s23
	s_addc_u32 s1, s5, s1
	s_lshl_b64 s[28:29], s[20:21], 2
	s_add_u32 s4, s4, s28
	s_addc_u32 s5, s5, s29
	s_cmp_lt_u32 s2, s26
	v_mov_b32_e32 v11, 0
	s_cselect_b32 s2, 12, 18
	global_load_dword v1, v11, s[24:25] offset:14
	s_add_u32 s2, s24, s2
	s_addc_u32 s3, s25, 0
	global_load_ushort v2, v11, s[2:3]
	v_cmp_gt_u32_e32 vcc, s15, v0
	s_cmp_eq_u32 s22, s27
	v_lshlrev_b32_e32 v10, 2, v0
	s_waitcnt vmcnt(1)
	v_lshrrev_b32_e32 v3, 16, v1
	v_and_b32_e32 v1, 0xffff, v1
	v_mul_lo_u32 v1, v1, v3
	s_waitcnt vmcnt(0)
	v_mul_lo_u32 v1, v1, v2
	v_add_u32_e32 v12, v1, v0
	s_cbranch_scc1 .LBB135_3
; %bb.2:
	v_subrev_u32_e32 v4, s15, v0
	v_lshlrev_b32_e32 v4, 2, v4
	v_mov_b32_e32 v5, v11
	v_lshl_add_u64 v[2:3], s[0:1], 0, v[10:11]
	v_lshl_add_u64 v[4:5], s[4:5], 0, v[4:5]
	v_cndmask_b32_e32 v3, v5, v3, vcc
	v_cndmask_b32_e32 v2, v4, v2, vcc
	v_mov_b32_e32 v13, v11
	v_subrev_co_u32_e32 v6, vcc, s15, v12
	v_mov_b32_e32 v7, v11
	v_lshl_add_u64 v[4:5], v[12:13], 2, s[0:1]
	v_lshl_add_u64 v[6:7], v[6:7], 2, s[4:5]
	v_cndmask_b32_e32 v4, v6, v4, vcc
	v_add_u32_e32 v6, v12, v1
	v_cndmask_b32_e32 v5, v7, v5, vcc
	v_mov_b32_e32 v7, v11
	v_subrev_co_u32_e32 v8, vcc, s15, v6
	v_mov_b32_e32 v9, v11
	global_load_dword v2, v[2:3], off
	v_lshl_add_u64 v[8:9], v[8:9], 2, s[4:5]
	global_load_dword v3, v[4:5], off
	v_lshl_add_u64 v[4:5], v[6:7], 2, s[0:1]
	v_add_u32_e32 v6, v6, v1
	v_cndmask_b32_e32 v5, v9, v5, vcc
	v_cndmask_b32_e32 v4, v8, v4, vcc
	v_subrev_co_u32_e32 v14, vcc, s15, v6
	v_mov_b32_e32 v15, v11
	v_lshl_add_u64 v[8:9], v[6:7], 2, s[0:1]
	v_lshl_add_u64 v[14:15], v[14:15], 2, s[4:5]
	v_cndmask_b32_e32 v9, v15, v9, vcc
	v_cndmask_b32_e32 v8, v14, v8, vcc
	global_load_dword v4, v[4:5], off
	v_mov_b32_e32 v15, v11
	global_load_dword v5, v[8:9], off
	v_add_u32_e32 v8, v6, v1
	v_mov_b32_e32 v9, v11
	v_subrev_co_u32_e32 v14, vcc, s15, v8
	v_lshl_add_u64 v[6:7], v[8:9], 2, s[0:1]
	v_lshl_add_u64 v[14:15], v[14:15], 2, s[4:5]
	v_add_u32_e32 v8, v8, v1
	v_cndmask_b32_e32 v7, v15, v7, vcc
	v_cndmask_b32_e32 v6, v14, v6, vcc
	v_subrev_co_u32_e32 v16, vcc, s15, v8
	v_mov_b32_e32 v17, v11
	v_lshl_add_u64 v[14:15], v[8:9], 2, s[0:1]
	v_lshl_add_u64 v[16:17], v[16:17], 2, s[4:5]
	v_cndmask_b32_e32 v15, v17, v15, vcc
	v_cndmask_b32_e32 v14, v16, v14, vcc
	global_load_dword v6, v[6:7], off
	v_mov_b32_e32 v17, v11
	global_load_dword v7, v[14:15], off
	v_add_u32_e32 v14, v8, v1
	v_mov_b32_e32 v15, v11
	v_subrev_co_u32_e32 v16, vcc, s15, v14
	v_lshl_add_u64 v[8:9], v[14:15], 2, s[0:1]
	v_lshl_add_u64 v[16:17], v[16:17], 2, s[4:5]
	v_add_u32_e32 v14, v14, v1
	v_cndmask_b32_e32 v9, v17, v9, vcc
	v_cndmask_b32_e32 v8, v16, v8, vcc
	v_lshl_add_u64 v[16:17], v[14:15], 2, s[0:1]
	v_subrev_co_u32_e32 v14, vcc, s15, v14
	v_lshl_add_u64 v[14:15], v[14:15], 2, s[4:5]
	s_nop 0
	v_cndmask_b32_e32 v15, v15, v17, vcc
	v_cndmask_b32_e32 v14, v14, v16, vcc
	global_load_dword v8, v[8:9], off
	s_add_i32 s13, s33, s15
	global_load_dword v9, v[14:15], off
	s_cbranch_execz .LBB135_4
	s_branch .LBB135_21
.LBB135_3:
                                        ; implicit-def: $vgpr2_vgpr3_vgpr4_vgpr5_vgpr6_vgpr7_vgpr8_vgpr9
                                        ; implicit-def: $sgpr13
.LBB135_4:
	s_add_i32 s13, s33, s15
	s_waitcnt vmcnt(7)
	v_mov_b32_e32 v2, 0
	v_cmp_gt_u32_e32 vcc, s13, v0
	s_waitcnt vmcnt(6)
	v_mov_b32_e32 v3, v2
	s_waitcnt vmcnt(5)
	v_mov_b32_e32 v4, v2
	;; [unrolled: 2-line block ×7, first 2 shown]
	s_and_saveexec_b64 s[2:3], vcc
	s_cbranch_execz .LBB135_6
; %bb.5:
	v_subrev_u32_e32 v3, s15, v0
	v_mov_b32_e32 v11, v2
	v_lshlrev_b32_e32 v6, 2, v3
	v_mov_b32_e32 v7, v2
	v_lshl_add_u64 v[4:5], s[0:1], 0, v[10:11]
	v_lshl_add_u64 v[6:7], s[4:5], 0, v[6:7]
	v_cmp_gt_u32_e32 vcc, s15, v0
	v_mov_b32_e32 v15, v2
	v_mov_b32_e32 v16, v2
	v_cndmask_b32_e32 v5, v7, v5, vcc
	v_cndmask_b32_e32 v4, v6, v4, vcc
	global_load_dword v14, v[4:5], off
	v_mov_b32_e32 v17, v2
	v_mov_b32_e32 v18, v2
	;; [unrolled: 1-line block ×5, first 2 shown]
	s_waitcnt vmcnt(0)
	v_mov_b64_e32 v[2:3], v[14:15]
	v_mov_b64_e32 v[4:5], v[16:17]
	;; [unrolled: 1-line block ×4, first 2 shown]
.LBB135_6:
	s_or_b64 exec, exec, s[2:3]
	v_cmp_gt_u32_e32 vcc, s13, v12
	s_and_saveexec_b64 s[2:3], vcc
	s_cbranch_execz .LBB135_8
; %bb.7:
	v_mov_b32_e32 v13, 0
	v_subrev_co_u32_e32 v16, vcc, s15, v12
	v_mov_b32_e32 v17, v13
	v_lshl_add_u64 v[14:15], v[12:13], 2, s[0:1]
	v_lshl_add_u64 v[16:17], v[16:17], 2, s[4:5]
	v_cndmask_b32_e32 v15, v17, v15, vcc
	v_cndmask_b32_e32 v14, v16, v14, vcc
	global_load_dword v3, v[14:15], off
.LBB135_8:
	s_or_b64 exec, exec, s[2:3]
	v_add_u32_e32 v12, v12, v1
	v_cmp_gt_u32_e32 vcc, s13, v12
	s_and_saveexec_b64 s[2:3], vcc
	s_cbranch_execz .LBB135_10
; %bb.9:
	v_mov_b32_e32 v13, 0
	v_subrev_co_u32_e32 v16, vcc, s15, v12
	v_mov_b32_e32 v17, v13
	v_lshl_add_u64 v[14:15], v[12:13], 2, s[0:1]
	v_lshl_add_u64 v[16:17], v[16:17], 2, s[4:5]
	v_cndmask_b32_e32 v15, v17, v15, vcc
	v_cndmask_b32_e32 v14, v16, v14, vcc
	global_load_dword v4, v[14:15], off
.LBB135_10:
	s_or_b64 exec, exec, s[2:3]
	v_add_u32_e32 v12, v12, v1
	;; [unrolled: 15-line block ×6, first 2 shown]
	v_cmp_gt_u32_e32 vcc, s13, v12
	s_and_saveexec_b64 s[2:3], vcc
	s_cbranch_execz .LBB135_20
; %bb.19:
	v_mov_b32_e32 v13, 0
	v_lshl_add_u64 v[14:15], v[12:13], 2, s[0:1]
	v_subrev_co_u32_e32 v12, vcc, s15, v12
	v_lshl_add_u64 v[12:13], v[12:13], 2, s[4:5]
	s_nop 0
	v_cndmask_b32_e32 v13, v13, v15, vcc
	v_cndmask_b32_e32 v12, v12, v14, vcc
	global_load_dword v9, v[12:13], off
.LBB135_20:
	s_or_b64 exec, exec, s[2:3]
.LBB135_21:
	v_lshlrev_b32_e32 v12, 3, v0
	v_min_u32_e32 v1, s13, v12
	v_sub_u32_e64 v13, v1, s33 clamp
	v_min_u32_e32 v11, s15, v1
	v_cmp_lt_u32_e32 vcc, v13, v11
	s_waitcnt vmcnt(0)
	ds_write2st64_b32 v10, v2, v3 offset1:2
	ds_write2st64_b32 v10, v4, v5 offset0:4 offset1:6
	ds_write2st64_b32 v10, v6, v7 offset0:8 offset1:10
	ds_write2st64_b32 v10, v8, v9 offset0:12 offset1:14
	s_waitcnt lgkmcnt(0)
	s_barrier
	s_and_saveexec_b64 s[0:1], vcc
	s_cbranch_execz .LBB135_25
; %bb.22:
	v_lshlrev_b32_e32 v14, 2, v1
	v_lshl_add_u32 v14, s15, 2, v14
	s_mov_b64 s[2:3], 0
	s_brev_b32 s4, 1
	v_bfrev_b32_e32 v15, 1
.LBB135_23:                             ; =>This Inner Loop Header: Depth=1
	v_add_u32_e32 v16, v11, v13
	v_lshrrev_b32_e32 v16, 1, v16
	v_not_b32_e32 v17, v16
	v_lshlrev_b32_e32 v18, 2, v16
	ds_read_b32 v18, v18
	v_lshl_add_u32 v17, v17, 2, v14
	ds_read_b32 v17, v17
	v_add_u32_e32 v19, 1, v16
	s_waitcnt lgkmcnt(1)
	v_cmp_ne_u32_e32 vcc, s4, v18
	s_nop 1
	v_cndmask_b32_e32 v18, 0, v18, vcc
	s_waitcnt lgkmcnt(0)
	v_cmp_ne_u32_e32 vcc, s4, v17
	s_nop 1
	v_cndmask_b32_e32 v17, 0, v17, vcc
	v_cmp_lt_i32_e32 vcc, -1, v18
	s_nop 1
	v_cndmask_b32_e32 v20, -1, v15, vcc
	v_cmp_lt_i32_e32 vcc, -1, v17
	v_xor_b32_e32 v18, v20, v18
	s_nop 0
	v_cndmask_b32_e32 v20, -1, v15, vcc
	v_xor_b32_e32 v17, v20, v17
	v_cmp_gt_u32_e32 vcc, v18, v17
	s_nop 1
	v_cndmask_b32_e32 v11, v11, v16, vcc
	v_cndmask_b32_e32 v13, v19, v13, vcc
	v_cmp_ge_u32_e32 vcc, v13, v11
	s_or_b64 s[2:3], vcc, s[2:3]
	s_andn2_b64 exec, exec, s[2:3]
	s_cbranch_execnz .LBB135_23
; %bb.24:
	s_or_b64 exec, exec, s[2:3]
.LBB135_25:
	s_or_b64 exec, exec, s[0:1]
	v_sub_u32_e32 v1, v1, v13
	v_add_u32_e32 v14, s15, v1
	v_cmp_ge_u32_e32 vcc, s15, v13
	v_cmp_ge_u32_e64 s[0:1], s13, v14
	s_or_b64 s[0:1], vcc, s[0:1]
	v_mov_b32_e32 v23, 0
	v_mov_b32_e32 v22, 0
	v_mov_b32_e32 v21, 0
	v_mov_b32_e32 v20, 0
	v_mov_b32_e32 v19, 0
	v_mov_b32_e32 v18, 0
	v_mov_b32_e32 v11, 0
	v_mov_b32_e32 v1, 0
	s_and_saveexec_b64 s[2:3], s[0:1]
	s_cbranch_execz .LBB135_61
; %bb.26:
	v_cmp_le_u32_e32 vcc, s15, v13
	v_cmp_gt_u32_e64 s[0:1], s15, v13
                                        ; implicit-def: $vgpr2
	s_and_saveexec_b64 s[4:5], s[0:1]
; %bb.27:
	v_lshlrev_b32_e32 v1, 2, v13
	ds_read_b32 v2, v1
; %bb.28:
	s_or_b64 exec, exec, s[4:5]
	v_cmp_le_u32_e64 s[4:5], s13, v14
	v_cmp_gt_u32_e64 s[0:1], s13, v14
                                        ; implicit-def: $vgpr3
	s_and_saveexec_b64 s[22:23], s[0:1]
; %bb.29:
	v_lshlrev_b32_e32 v1, 2, v14
	ds_read_b32 v3, v1
; %bb.30:
	s_or_b64 exec, exec, s[22:23]
	s_nor_b64 s[22:23], vcc, s[4:5]
	s_and_saveexec_b64 s[0:1], s[22:23]
	s_cbranch_execz .LBB135_32
; %bb.31:
	s_brev_b32 s22, 1
	s_waitcnt lgkmcnt(0)
	v_cmp_ne_u32_e32 vcc, s22, v3
	v_bfrev_b32_e32 v5, 1
	s_andn2_b64 s[4:5], s[4:5], exec
	v_cndmask_b32_e32 v1, 0, v3, vcc
	v_cmp_ne_u32_e32 vcc, s22, v2
	s_nop 1
	v_cndmask_b32_e32 v4, 0, v2, vcc
	v_cmp_lt_i32_e32 vcc, -1, v1
	s_nop 1
	v_cndmask_b32_e32 v6, -1, v5, vcc
	v_cmp_lt_i32_e32 vcc, -1, v4
	v_xor_b32_e32 v1, v6, v1
	s_nop 0
	v_cndmask_b32_e32 v5, -1, v5, vcc
	v_xor_b32_e32 v4, v5, v4
	v_cmp_le_u32_e32 vcc, v4, v1
	s_and_b64 s[22:23], vcc, exec
	s_or_b64 s[4:5], s[4:5], s[22:23]
.LBB135_32:
	s_or_b64 exec, exec, s[0:1]
	v_mov_b32_e32 v4, s13
	v_mov_b32_e32 v5, s15
	v_cndmask_b32_e64 v1, v14, v13, s[4:5]
	v_cndmask_b32_e64 v4, v4, v5, s[4:5]
	v_add_u32_e32 v6, 1, v1
	v_add_u32_e32 v4, -1, v4
	v_min_u32_e32 v4, v6, v4
	v_lshlrev_b32_e32 v4, 2, v4
	ds_read_b32 v5, v4
	v_cndmask_b32_e64 v8, v6, v14, s[4:5]
	v_cndmask_b32_e64 v9, v13, v6, s[4:5]
	v_cmp_gt_u32_e32 vcc, s13, v8
	s_mov_b64 s[0:1], -1
	s_waitcnt lgkmcnt(0)
	v_cndmask_b32_e64 v4, v5, v3, s[4:5]
	v_cndmask_b32_e64 v5, v2, v5, s[4:5]
	s_mov_b64 s[22:23], -1
	s_and_saveexec_b64 s[24:25], vcc
	s_cbranch_execz .LBB135_36
; %bb.33:
	v_cmp_gt_u32_e32 vcc, s15, v9
	s_mov_b64 s[26:27], 0
	s_and_saveexec_b64 s[22:23], vcc
	s_cbranch_execz .LBB135_35
; %bb.34:
	s_brev_b32 s26, 1
	v_cmp_ne_u32_e32 vcc, s26, v5
	v_bfrev_b32_e32 v11, 1
	s_nop 0
	v_cndmask_b32_e32 v6, 0, v5, vcc
	v_cmp_ne_u32_e32 vcc, s26, v4
	s_nop 1
	v_cndmask_b32_e32 v7, 0, v4, vcc
	v_cmp_lt_i32_e32 vcc, -1, v6
	s_nop 1
	v_cndmask_b32_e32 v13, -1, v11, vcc
	v_cmp_lt_i32_e32 vcc, -1, v7
	v_xor_b32_e32 v6, v13, v6
	s_nop 0
	v_cndmask_b32_e32 v11, -1, v11, vcc
	v_xor_b32_e32 v7, v11, v7
	v_cmp_le_u32_e32 vcc, v6, v7
	s_and_b64 s[26:27], vcc, exec
.LBB135_35:
	s_or_b64 exec, exec, s[22:23]
	s_orn2_b64 s[22:23], s[26:27], exec
.LBB135_36:
	s_or_b64 exec, exec, s[24:25]
	v_mov_b32_e32 v6, s13
	v_mov_b32_e32 v7, s15
	v_cndmask_b32_e64 v11, v8, v9, s[22:23]
	v_cndmask_b32_e64 v6, v6, v7, s[22:23]
	v_add_u32_e32 v14, 1, v11
	v_add_u32_e32 v6, -1, v6
	v_min_u32_e32 v6, v14, v6
	v_lshlrev_b32_e32 v6, 2, v6
	ds_read_b32 v7, v6
	v_cndmask_b32_e64 v13, v14, v8, s[22:23]
	v_cndmask_b32_e64 v14, v9, v14, s[22:23]
	v_cmp_gt_u32_e32 vcc, s13, v13
	s_waitcnt lgkmcnt(0)
	v_cndmask_b32_e64 v6, v7, v4, s[22:23]
	v_cndmask_b32_e64 v7, v5, v7, s[22:23]
	s_and_saveexec_b64 s[24:25], vcc
	s_cbranch_execz .LBB135_40
; %bb.37:
	v_cmp_gt_u32_e32 vcc, s15, v14
	s_mov_b64 s[26:27], 0
	s_and_saveexec_b64 s[0:1], vcc
	s_cbranch_execz .LBB135_39
; %bb.38:
	s_brev_b32 s26, 1
	v_cmp_ne_u32_e32 vcc, s26, v7
	v_bfrev_b32_e32 v15, 1
	s_nop 0
	v_cndmask_b32_e32 v8, 0, v7, vcc
	v_cmp_ne_u32_e32 vcc, s26, v6
	s_nop 1
	v_cndmask_b32_e32 v9, 0, v6, vcc
	v_cmp_lt_i32_e32 vcc, -1, v8
	s_nop 1
	v_cndmask_b32_e32 v16, -1, v15, vcc
	v_cmp_lt_i32_e32 vcc, -1, v9
	v_xor_b32_e32 v8, v16, v8
	s_nop 0
	v_cndmask_b32_e32 v15, -1, v15, vcc
	v_xor_b32_e32 v9, v15, v9
	v_cmp_le_u32_e32 vcc, v8, v9
	s_and_b64 s[26:27], vcc, exec
.LBB135_39:
	s_or_b64 exec, exec, s[0:1]
	s_orn2_b64 s[0:1], s[26:27], exec
.LBB135_40:
	s_or_b64 exec, exec, s[24:25]
	v_mov_b32_e32 v8, s13
	v_mov_b32_e32 v9, s15
	v_cndmask_b32_e64 v18, v13, v14, s[0:1]
	v_cndmask_b32_e64 v8, v8, v9, s[0:1]
	v_add_u32_e32 v16, 1, v18
	v_add_u32_e32 v8, -1, v8
	v_min_u32_e32 v8, v16, v8
	v_lshlrev_b32_e32 v8, 2, v8
	ds_read_b32 v9, v8
	v_cndmask_b32_e64 v15, v16, v13, s[0:1]
	v_cndmask_b32_e64 v16, v14, v16, s[0:1]
	v_cmp_gt_u32_e32 vcc, s13, v15
	s_mov_b64 s[24:25], -1
	s_waitcnt lgkmcnt(0)
	v_cndmask_b32_e64 v8, v9, v6, s[0:1]
	v_cndmask_b32_e64 v9, v7, v9, s[0:1]
	s_mov_b64 s[26:27], -1
	s_and_saveexec_b64 s[28:29], vcc
	s_cbranch_execz .LBB135_44
; %bb.41:
	v_cmp_gt_u32_e32 vcc, s15, v16
	s_mov_b64 s[30:31], 0
	s_and_saveexec_b64 s[26:27], vcc
	s_cbranch_execz .LBB135_43
; %bb.42:
	s_brev_b32 s30, 1
	v_cmp_ne_u32_e32 vcc, s30, v9
	v_bfrev_b32_e32 v17, 1
	s_nop 0
	v_cndmask_b32_e32 v13, 0, v9, vcc
	v_cmp_ne_u32_e32 vcc, s30, v8
	s_nop 1
	v_cndmask_b32_e32 v14, 0, v8, vcc
	v_cmp_lt_i32_e32 vcc, -1, v13
	s_nop 1
	v_cndmask_b32_e32 v19, -1, v17, vcc
	v_cmp_lt_i32_e32 vcc, -1, v14
	v_xor_b32_e32 v13, v19, v13
	s_nop 0
	v_cndmask_b32_e32 v17, -1, v17, vcc
	v_xor_b32_e32 v14, v17, v14
	v_cmp_le_u32_e32 vcc, v13, v14
	s_and_b64 s[30:31], vcc, exec
.LBB135_43:
	s_or_b64 exec, exec, s[26:27]
	s_orn2_b64 s[26:27], s[30:31], exec
.LBB135_44:
	s_or_b64 exec, exec, s[28:29]
	v_mov_b32_e32 v13, s13
	v_mov_b32_e32 v14, s15
	v_cndmask_b32_e64 v19, v15, v16, s[26:27]
	v_cndmask_b32_e64 v13, v13, v14, s[26:27]
	v_add_u32_e32 v20, 1, v19
	v_add_u32_e32 v13, -1, v13
	v_min_u32_e32 v13, v20, v13
	v_lshlrev_b32_e32 v13, 2, v13
	ds_read_b32 v14, v13
	v_cndmask_b32_e64 v17, v20, v15, s[26:27]
	v_cndmask_b32_e64 v21, v16, v20, s[26:27]
	v_cmp_gt_u32_e32 vcc, s13, v17
	s_waitcnt lgkmcnt(0)
	v_cndmask_b32_e64 v13, v14, v8, s[26:27]
	v_cndmask_b32_e64 v14, v9, v14, s[26:27]
	s_and_saveexec_b64 s[28:29], vcc
	s_cbranch_execz .LBB135_48
; %bb.45:
	v_cmp_gt_u32_e32 vcc, s15, v21
	s_mov_b64 s[30:31], 0
	s_and_saveexec_b64 s[24:25], vcc
	s_cbranch_execz .LBB135_47
; %bb.46:
	s_brev_b32 s30, 1
	v_cmp_ne_u32_e32 vcc, s30, v14
	v_bfrev_b32_e32 v20, 1
	s_nop 0
	v_cndmask_b32_e32 v15, 0, v14, vcc
	v_cmp_ne_u32_e32 vcc, s30, v13
	s_nop 1
	v_cndmask_b32_e32 v16, 0, v13, vcc
	v_cmp_lt_i32_e32 vcc, -1, v15
	s_nop 1
	v_cndmask_b32_e32 v22, -1, v20, vcc
	v_cmp_lt_i32_e32 vcc, -1, v16
	v_xor_b32_e32 v15, v22, v15
	s_nop 0
	v_cndmask_b32_e32 v20, -1, v20, vcc
	v_xor_b32_e32 v16, v20, v16
	v_cmp_le_u32_e32 vcc, v15, v16
	s_and_b64 s[30:31], vcc, exec
.LBB135_47:
	s_or_b64 exec, exec, s[24:25]
	s_orn2_b64 s[24:25], s[30:31], exec
.LBB135_48:
	s_or_b64 exec, exec, s[28:29]
	v_mov_b32_e32 v15, s13
	v_mov_b32_e32 v16, s15
	v_cndmask_b32_e64 v20, v17, v21, s[24:25]
	v_cndmask_b32_e64 v15, v15, v16, s[24:25]
	v_add_u32_e32 v23, 1, v20
	v_add_u32_e32 v15, -1, v15
	v_min_u32_e32 v15, v23, v15
	v_lshlrev_b32_e32 v15, 2, v15
	ds_read_b32 v16, v15
	v_cndmask_b32_e64 v22, v23, v17, s[24:25]
	v_cndmask_b32_e64 v24, v21, v23, s[24:25]
	v_cmp_gt_u32_e32 vcc, s13, v22
	s_mov_b64 s[28:29], -1
	s_waitcnt lgkmcnt(0)
	v_cndmask_b32_e64 v15, v16, v13, s[24:25]
	v_cndmask_b32_e64 v16, v14, v16, s[24:25]
	s_mov_b64 s[30:31], -1
	s_and_saveexec_b64 s[34:35], vcc
	s_cbranch_execz .LBB135_52
; %bb.49:
	v_cmp_gt_u32_e32 vcc, s15, v24
	s_mov_b64 s[36:37], 0
	s_and_saveexec_b64 s[30:31], vcc
	s_cbranch_execz .LBB135_51
; %bb.50:
	s_brev_b32 s36, 1
	v_cmp_ne_u32_e32 vcc, s36, v16
	v_bfrev_b32_e32 v23, 1
	s_nop 0
	v_cndmask_b32_e32 v17, 0, v16, vcc
	v_cmp_ne_u32_e32 vcc, s36, v15
	s_nop 1
	v_cndmask_b32_e32 v21, 0, v15, vcc
	v_cmp_lt_i32_e32 vcc, -1, v17
	s_nop 1
	v_cndmask_b32_e32 v25, -1, v23, vcc
	v_cmp_lt_i32_e32 vcc, -1, v21
	v_xor_b32_e32 v17, v25, v17
	s_nop 0
	v_cndmask_b32_e32 v23, -1, v23, vcc
	v_xor_b32_e32 v21, v23, v21
	v_cmp_le_u32_e32 vcc, v17, v21
	s_and_b64 s[36:37], vcc, exec
.LBB135_51:
	s_or_b64 exec, exec, s[30:31]
	s_orn2_b64 s[30:31], s[36:37], exec
.LBB135_52:
	s_or_b64 exec, exec, s[34:35]
	v_mov_b32_e32 v17, s13
	v_mov_b32_e32 v23, s15
	v_cndmask_b32_e64 v21, v22, v24, s[30:31]
	v_cndmask_b32_e64 v17, v17, v23, s[30:31]
	v_add_u32_e32 v26, 1, v21
	v_add_u32_e32 v17, -1, v17
	v_min_u32_e32 v17, v26, v17
	v_lshlrev_b32_e32 v17, 2, v17
	ds_read_b32 v23, v17
	v_cndmask_b32_e64 v25, v26, v22, s[30:31]
	v_cndmask_b32_e64 v24, v24, v26, s[30:31]
	v_cmp_gt_u32_e32 vcc, s13, v25
	s_waitcnt lgkmcnt(0)
	v_cndmask_b32_e64 v17, v23, v15, s[30:31]
	v_cndmask_b32_e64 v23, v16, v23, s[30:31]
	s_and_saveexec_b64 s[34:35], vcc
	s_cbranch_execz .LBB135_56
; %bb.53:
	v_cmp_gt_u32_e32 vcc, s15, v24
	s_mov_b64 s[36:37], 0
	s_and_saveexec_b64 s[28:29], vcc
	s_cbranch_execz .LBB135_55
; %bb.54:
	s_brev_b32 s36, 1
	v_cmp_ne_u32_e32 vcc, s36, v23
	v_bfrev_b32_e32 v27, 1
	s_nop 0
	v_cndmask_b32_e32 v22, 0, v23, vcc
	v_cmp_ne_u32_e32 vcc, s36, v17
	s_nop 1
	v_cndmask_b32_e32 v26, 0, v17, vcc
	v_cmp_lt_i32_e32 vcc, -1, v22
	s_nop 1
	v_cndmask_b32_e32 v28, -1, v27, vcc
	v_cmp_lt_i32_e32 vcc, -1, v26
	v_xor_b32_e32 v22, v28, v22
	s_nop 0
	v_cndmask_b32_e32 v27, -1, v27, vcc
	v_xor_b32_e32 v26, v27, v26
	v_cmp_le_u32_e32 vcc, v22, v26
	s_and_b64 s[36:37], vcc, exec
.LBB135_55:
	s_or_b64 exec, exec, s[28:29]
	s_orn2_b64 s[28:29], s[36:37], exec
.LBB135_56:
	s_or_b64 exec, exec, s[34:35]
	v_mov_b32_e32 v26, s13
	v_mov_b32_e32 v27, s15
	v_cndmask_b32_e64 v22, v25, v24, s[28:29]
	v_cndmask_b32_e64 v26, v26, v27, s[28:29]
	v_add_u32_e32 v28, 1, v22
	v_add_u32_e32 v26, -1, v26
	v_min_u32_e32 v26, v28, v26
	v_lshlrev_b32_e32 v26, 2, v26
	ds_read_b32 v27, v26
	v_cndmask_b32_e64 v25, v28, v25, s[28:29]
	v_cndmask_b32_e64 v24, v24, v28, s[28:29]
	v_cmp_gt_u32_e32 vcc, s13, v25
	s_mov_b64 s[36:37], -1
	s_waitcnt lgkmcnt(0)
	v_cndmask_b32_e64 v26, v27, v17, s[28:29]
	v_cndmask_b32_e64 v27, v23, v27, s[28:29]
	s_and_saveexec_b64 s[34:35], vcc
	s_cbranch_execz .LBB135_60
; %bb.57:
	v_cmp_gt_u32_e32 vcc, s15, v24
	s_mov_b64 s[38:39], 0
	s_and_saveexec_b64 s[36:37], vcc
	s_cbranch_execz .LBB135_59
; %bb.58:
	s_brev_b32 s38, 1
	v_cmp_ne_u32_e32 vcc, s38, v27
	v_bfrev_b32_e32 v30, 1
	s_nop 0
	v_cndmask_b32_e32 v28, 0, v27, vcc
	v_cmp_ne_u32_e32 vcc, s38, v26
	s_nop 1
	v_cndmask_b32_e32 v29, 0, v26, vcc
	v_cmp_lt_i32_e32 vcc, -1, v28
	s_nop 1
	v_cndmask_b32_e32 v31, -1, v30, vcc
	v_cmp_lt_i32_e32 vcc, -1, v29
	v_xor_b32_e32 v28, v31, v28
	s_nop 0
	v_cndmask_b32_e32 v30, -1, v30, vcc
	v_xor_b32_e32 v29, v30, v29
	v_cmp_le_u32_e32 vcc, v28, v29
	s_and_b64 s[38:39], vcc, exec
.LBB135_59:
	s_or_b64 exec, exec, s[36:37]
	s_orn2_b64 s[36:37], s[38:39], exec
.LBB135_60:
	s_or_b64 exec, exec, s[34:35]
	v_cndmask_b32_e64 v2, v3, v2, s[4:5]
	v_cndmask_b32_e64 v3, v4, v5, s[22:23]
	;; [unrolled: 1-line block ×9, first 2 shown]
.LBB135_61:
	s_or_b64 exec, exec, s[2:3]
	s_lshl_b64 s[0:1], s[18:19], 3
	s_add_u32 s24, s8, s0
	s_addc_u32 s25, s9, s1
	s_lshl_b64 s[0:1], s[20:21], 3
	s_add_u32 s22, s8, s0
	v_cndmask_b32_e64 v14, 0, 1, s[16:17]
	v_mov_b32_e32 v13, 0
	s_addc_u32 s23, s9, s1
	v_cmp_gt_u32_e64 s[4:5], s15, v0
	v_cmp_ne_u32_e64 s[0:1], 1, v14
	s_andn2_b64 vcc, exec, s[16:17]
	v_cmp_le_u32_e64 s[2:3], s15, v0
	s_barrier
	s_cbranch_vccnz .LBB135_63
; %bb.62:
	v_subrev_u32_e32 v16, s15, v0
	v_lshlrev_b32_e32 v16, 3, v16
	v_mov_b32_e32 v17, v13
	v_lshl_add_u64 v[14:15], s[24:25], 0, v[12:13]
	v_lshl_add_u64 v[16:17], s[22:23], 0, v[16:17]
	v_cndmask_b32_e64 v15, v17, v15, s[4:5]
	v_cndmask_b32_e64 v14, v16, v14, s[4:5]
	global_load_dwordx2 v[24:25], v[14:15], off
	v_or_b32_e32 v14, 0x80, v0
	v_subrev_u32_e32 v15, s15, v14
	v_min_u32_e32 v16, v14, v15
	v_mov_b32_e32 v38, s23
	v_mov_b32_e32 v39, s25
	v_cmp_gt_u32_e32 vcc, s15, v14
	v_mov_b32_e32 v40, s22
	v_mov_b32_e32 v41, s24
	v_cndmask_b32_e32 v15, v38, v39, vcc
	v_cndmask_b32_e32 v14, v40, v41, vcc
	v_lshlrev_b32_e32 v16, 3, v16
	v_mov_b32_e32 v17, v13
	v_lshl_add_u64 v[14:15], v[14:15], 0, v[16:17]
	global_load_dwordx2 v[26:27], v[14:15], off
	v_or_b32_e32 v14, 0x100, v0
	v_subrev_u32_e32 v15, s15, v14
	v_min_u32_e32 v16, v14, v15
	v_cmp_gt_u32_e32 vcc, s15, v14
	v_lshlrev_b32_e32 v16, 3, v16
	v_or_b32_e32 v13, 0x380, v0
	v_cndmask_b32_e32 v15, v38, v39, vcc
	v_cndmask_b32_e32 v14, v40, v41, vcc
	v_lshl_add_u64 v[14:15], v[14:15], 0, v[16:17]
	global_load_dwordx2 v[28:29], v[14:15], off
	v_or_b32_e32 v14, 0x180, v0
	v_subrev_u32_e32 v15, s15, v14
	v_min_u32_e32 v16, v14, v15
	v_cmp_gt_u32_e32 vcc, s15, v14
	v_lshlrev_b32_e32 v16, 3, v16
	s_nop 0
	v_cndmask_b32_e32 v15, v38, v39, vcc
	v_cndmask_b32_e32 v14, v40, v41, vcc
	v_lshl_add_u64 v[14:15], v[14:15], 0, v[16:17]
	global_load_dwordx2 v[30:31], v[14:15], off
	v_or_b32_e32 v14, 0x200, v0
	v_subrev_u32_e32 v15, s15, v14
	v_min_u32_e32 v16, v14, v15
	v_cmp_gt_u32_e32 vcc, s15, v14
	v_lshlrev_b32_e32 v16, 3, v16
	s_mov_b64 s[4:5], -1
	v_cndmask_b32_e32 v15, v38, v39, vcc
	v_cndmask_b32_e32 v14, v40, v41, vcc
	v_lshl_add_u64 v[14:15], v[14:15], 0, v[16:17]
	global_load_dwordx2 v[32:33], v[14:15], off
	v_or_b32_e32 v14, 0x280, v0
	v_subrev_u32_e32 v15, s15, v14
	v_min_u32_e32 v16, v14, v15
	v_cmp_gt_u32_e32 vcc, s15, v14
	v_lshlrev_b32_e32 v16, 3, v16
	s_nop 0
	v_cndmask_b32_e32 v15, v38, v39, vcc
	v_cndmask_b32_e32 v14, v40, v41, vcc
	v_lshl_add_u64 v[14:15], v[14:15], 0, v[16:17]
	global_load_dwordx2 v[34:35], v[14:15], off
	v_or_b32_e32 v14, 0x300, v0
	v_subrev_u32_e32 v15, s15, v14
	v_min_u32_e32 v16, v14, v15
	v_cmp_gt_u32_e32 vcc, s15, v14
	v_lshlrev_b32_e32 v16, 3, v16
	s_nop 0
	v_cndmask_b32_e32 v15, v38, v39, vcc
	v_cndmask_b32_e32 v14, v40, v41, vcc
	v_lshl_add_u64 v[14:15], v[14:15], 0, v[16:17]
	global_load_dwordx2 v[36:37], v[14:15], off
	v_subrev_u32_e32 v14, s15, v13
	v_cmp_gt_u32_e32 vcc, s15, v13
	v_min_u32_e32 v16, v13, v14
	s_waitcnt vmcnt(5)
	ds_write2st64_b64 v12, v[24:25], v[26:27] offset1:2
	s_waitcnt vmcnt(3)
	ds_write2st64_b64 v12, v[28:29], v[30:31] offset0:4 offset1:6
	s_waitcnt vmcnt(1)
	ds_write2st64_b64 v12, v[32:33], v[34:35] offset0:8 offset1:10
	s_waitcnt vmcnt(0)
	ds_write_b64 v12, v[36:37] offset:6144
	v_cndmask_b32_e32 v15, v38, v39, vcc
	v_cndmask_b32_e32 v14, v40, v41, vcc
	s_cbranch_execz .LBB135_64
	s_branch .LBB135_97
.LBB135_63:
	s_mov_b64 s[4:5], 0
                                        ; implicit-def: $vgpr13
                                        ; implicit-def: $vgpr14_vgpr15
                                        ; implicit-def: $vgpr16
.LBB135_64:
	s_and_saveexec_b64 s[4:5], s[2:3]
	s_xor_b64 s[2:3], exec, s[4:5]
	s_cbranch_execz .LBB135_68
; %bb.65:
	v_subrev_u32_e32 v13, s15, v0
	v_cmp_gt_u32_e32 vcc, s33, v13
	s_and_saveexec_b64 s[4:5], vcc
	s_cbranch_execz .LBB135_67
; %bb.66:
	v_lshlrev_b32_e32 v13, 3, v13
	global_load_dwordx2 v[14:15], v13, s[22:23]
	s_waitcnt vmcnt(0)
	ds_write_b64 v12, v[14:15]
.LBB135_67:
	s_or_b64 exec, exec, s[4:5]
.LBB135_68:
	s_or_saveexec_b64 s[2:3], s[2:3]
	v_lshl_add_u32 v13, v0, 2, v10
	s_xor_b64 exec, exec, s[2:3]
	s_cbranch_execz .LBB135_70
; %bb.69:
	global_load_dwordx2 v[14:15], v12, s[24:25]
	s_waitcnt vmcnt(0)
	ds_write_b64 v13, v[14:15]
.LBB135_70:
	s_or_b64 exec, exec, s[2:3]
	v_or_b32_e32 v16, 0x80, v0
	v_cmp_le_u32_e32 vcc, s15, v16
	s_mov_b64 s[2:3], -1
	v_mov_b64_e32 v[14:15], s[18:19]
	s_and_saveexec_b64 s[4:5], vcc
; %bb.71:
	v_subrev_u32_e32 v16, s15, v16
	v_cmp_gt_u32_e32 vcc, s33, v16
	v_mov_b64_e32 v[14:15], s[20:21]
	s_orn2_b64 s[2:3], vcc, exec
; %bb.72:
	s_or_b64 exec, exec, s[4:5]
	s_and_saveexec_b64 s[4:5], s[2:3]
	s_cbranch_execz .LBB135_74
; %bb.73:
	v_lshl_add_u64 v[14:15], v[14:15], 3, s[8:9]
	v_lshlrev_b32_e32 v16, 3, v16
	v_mov_b32_e32 v17, 0
	v_lshl_add_u64 v[14:15], v[14:15], 0, v[16:17]
	global_load_dwordx2 v[14:15], v[14:15], off
	s_waitcnt vmcnt(0)
	ds_write_b64 v13, v[14:15] offset:1024
.LBB135_74:
	s_or_b64 exec, exec, s[4:5]
	v_or_b32_e32 v16, 0x100, v0
	v_cmp_le_u32_e32 vcc, s15, v16
	s_mov_b64 s[2:3], -1
	v_mov_b64_e32 v[14:15], s[18:19]
	s_and_saveexec_b64 s[4:5], vcc
; %bb.75:
	v_subrev_u32_e32 v16, s15, v16
	v_cmp_gt_u32_e32 vcc, s33, v16
	v_mov_b64_e32 v[14:15], s[20:21]
	s_orn2_b64 s[2:3], vcc, exec
; %bb.76:
	s_or_b64 exec, exec, s[4:5]
	s_and_saveexec_b64 s[4:5], s[2:3]
	s_cbranch_execz .LBB135_78
; %bb.77:
	v_lshl_add_u64 v[14:15], v[14:15], 3, s[8:9]
	v_lshlrev_b32_e32 v16, 3, v16
	v_mov_b32_e32 v17, 0
	v_lshl_add_u64 v[14:15], v[14:15], 0, v[16:17]
	global_load_dwordx2 v[14:15], v[14:15], off
	s_waitcnt vmcnt(0)
	ds_write_b64 v13, v[14:15] offset:2048
.LBB135_78:
	;; [unrolled: 24-line block ×6, first 2 shown]
	s_or_b64 exec, exec, s[4:5]
	v_or_b32_e32 v13, 0x380, v0
	v_cmp_le_u32_e32 vcc, s15, v13
	s_mov_b64 s[4:5], -1
	v_mov_b64_e32 v[14:15], s[24:25]
	v_mov_b32_e32 v16, v13
	s_and_saveexec_b64 s[2:3], vcc
; %bb.95:
	v_subrev_u32_e32 v16, s15, v13
	v_cmp_gt_u32_e32 vcc, s33, v16
	v_mov_b64_e32 v[14:15], s[22:23]
	s_orn2_b64 s[4:5], vcc, exec
; %bb.96:
	s_or_b64 exec, exec, s[2:3]
.LBB135_97:
	s_and_saveexec_b64 s[2:3], s[4:5]
	s_cbranch_execz .LBB135_99
; %bb.98:
	v_mov_b32_e32 v17, 0
	v_lshl_add_u64 v[14:15], v[16:17], 3, v[14:15]
	global_load_dwordx2 v[14:15], v[14:15], off
	v_lshlrev_b32_e32 v13, 3, v13
	s_waitcnt vmcnt(0)
	ds_write_b64 v13, v[14:15]
.LBB135_99:
	s_or_b64 exec, exec, s[2:3]
	s_and_b64 vcc, exec, s[0:1]
	v_add_u32_e32 v14, s14, v12
	s_waitcnt lgkmcnt(0)
	s_barrier
	s_cbranch_vccnz .LBB135_101
; %bb.100:
	v_lshlrev_b32_e32 v13, 3, v1
	v_lshlrev_b32_e32 v16, 3, v11
	v_lshlrev_b32_e32 v17, 3, v18
	v_lshlrev_b32_e32 v24, 3, v19
	ds_read_b64 v[26:27], v13
	ds_read_b64 v[28:29], v16
	ds_read_b64 v[30:31], v17
	ds_read_b64 v[32:33], v24
	v_lshlrev_b32_e32 v13, 3, v20
	v_lshlrev_b32_e32 v16, 3, v21
	;; [unrolled: 1-line block ×3, first 2 shown]
	ds_read_b64 v[34:35], v13
	ds_read_b64 v[36:37], v16
	;; [unrolled: 1-line block ×3, first 2 shown]
	v_mov_b32_e32 v15, 0
	v_lshl_add_u64 v[24:25], v[14:15], 3, s[10:11]
	s_mov_b64 s[0:1], -1
	s_waitcnt lgkmcnt(5)
	global_store_dwordx4 v[24:25], v[26:29], off
	s_waitcnt lgkmcnt(3)
	global_store_dwordx4 v[24:25], v[30:33], off offset:16
	s_waitcnt lgkmcnt(1)
	global_store_dwordx4 v[24:25], v[34:37], off offset:32
	s_waitcnt lgkmcnt(0)
	global_store_dwordx2 v[24:25], v[16:17], off offset:48
	s_cbranch_execz .LBB135_102
	s_branch .LBB135_119
.LBB135_101:
	s_mov_b64 s[0:1], 0
.LBB135_102:
	v_cmp_gt_u32_e32 vcc, s13, v12
	s_and_saveexec_b64 s[2:3], vcc
	s_cbranch_execz .LBB135_104
; %bb.103:
	v_lshlrev_b32_e32 v1, 3, v1
	ds_read_b64 v[16:17], v1
	v_mov_b32_e32 v15, 0
	v_lshl_add_u64 v[24:25], v[14:15], 3, s[10:11]
	s_waitcnt lgkmcnt(0)
	global_store_dwordx2 v[24:25], v[16:17], off
.LBB135_104:
	s_or_b64 exec, exec, s[2:3]
	v_or_b32_e32 v1, 1, v12
	v_cmp_gt_u32_e32 vcc, s13, v1
	s_and_saveexec_b64 s[2:3], vcc
	s_cbranch_execz .LBB135_106
; %bb.105:
	v_lshlrev_b32_e32 v1, 3, v11
	ds_read_b64 v[16:17], v1
	v_mov_b32_e32 v15, 0
	v_lshl_add_u64 v[24:25], v[14:15], 3, s[10:11]
	s_waitcnt lgkmcnt(0)
	global_store_dwordx2 v[24:25], v[16:17], off offset:8
.LBB135_106:
	s_or_b64 exec, exec, s[2:3]
	v_or_b32_e32 v1, 2, v12
	v_cmp_gt_u32_e32 vcc, s13, v1
	s_and_saveexec_b64 s[2:3], vcc
	s_cbranch_execz .LBB135_108
; %bb.107:
	v_lshlrev_b32_e32 v1, 3, v18
	ds_read_b64 v[16:17], v1
	v_mov_b32_e32 v15, 0
	v_lshl_add_u64 v[24:25], v[14:15], 3, s[10:11]
	s_waitcnt lgkmcnt(0)
	global_store_dwordx2 v[24:25], v[16:17], off offset:16
.LBB135_108:
	;; [unrolled: 13-line block ×6, first 2 shown]
	s_or_b64 exec, exec, s[2:3]
	v_or_b32_e32 v1, 7, v12
	v_cmp_gt_u32_e32 vcc, s13, v1
	s_and_saveexec_b64 s[2:3], vcc
; %bb.117:
	v_mov_b32_e32 v15, 0
	s_or_b64 s[0:1], s[0:1], exec
; %bb.118:
	s_or_b64 exec, exec, s[2:3]
.LBB135_119:
	s_and_saveexec_b64 s[2:3], s[0:1]
	s_cbranch_execz .LBB135_121
; %bb.120:
	v_lshlrev_b32_e32 v1, 3, v23
	ds_read_b64 v[16:17], v1
	v_lshl_add_u64 v[14:15], v[14:15], 3, s[10:11]
	s_waitcnt lgkmcnt(0)
	global_store_dwordx2 v[14:15], v[16:17], off offset:56
.LBB135_121:
	s_or_b64 exec, exec, s[2:3]
	v_and_b32_e32 v1, 0x7c, v0
	v_lshl_add_u32 v1, v12, 2, v1
	s_barrier
	s_barrier
	ds_write2_b32 v1, v2, v3 offset1:1
	ds_write2_b32 v1, v4, v5 offset0:2 offset1:3
	ds_write2_b32 v1, v6, v7 offset0:4 offset1:5
	;; [unrolled: 1-line block ×3, first 2 shown]
	v_lshrrev_b32_e32 v1, 3, v0
	v_and_b32_e32 v1, 12, v1
	v_or_b32_e32 v9, 0x80, v0
	v_add_u32_e32 v12, v1, v10
	v_lshrrev_b32_e32 v1, 3, v9
	v_and_b32_e32 v1, 28, v1
	v_or_b32_e32 v8, 0x100, v0
	v_add_u32_e32 v13, v1, v10
	;; [unrolled: 4-line block ×6, first 2 shown]
	v_lshrrev_b32_e32 v1, 3, v4
	s_mov_b32 s15, 0
	v_and_b32_e32 v1, 0x6c, v1
	s_lshl_b64 s[0:1], s[14:15], 2
	v_add_u32_e32 v18, v1, v10
	v_or_b32_e32 v1, 0x380, v0
	s_add_u32 s0, s6, s0
	v_lshrrev_b32_e32 v2, 3, v1
	s_addc_u32 s1, s7, s1
	v_and_b32_e32 v2, 0x7c, v2
	v_mov_b32_e32 v11, 0
	v_add_u32_e32 v19, v2, v10
	v_lshl_add_u64 v[2:3], s[0:1], 0, v[10:11]
	s_and_b64 vcc, exec, s[16:17]
	s_waitcnt lgkmcnt(0)
	s_cbranch_vccz .LBB135_123
; %bb.122:
	s_barrier
	ds_read_b32 v10, v12
	ds_read_b32 v11, v13 offset:512
	ds_read_b32 v20, v14 offset:1024
	ds_read_b32 v21, v15 offset:1536
	ds_read_b32 v23, v16 offset:2048
	ds_read_b32 v24, v17 offset:2560
	ds_read_b32 v25, v18 offset:3072
	ds_read_b32 v22, v19 offset:3584
	s_waitcnt lgkmcnt(7)
	global_store_dword v[2:3], v10, off
	s_waitcnt lgkmcnt(6)
	global_store_dword v[2:3], v11, off offset:512
	s_waitcnt lgkmcnt(5)
	global_store_dword v[2:3], v20, off offset:1024
	;; [unrolled: 2-line block ×6, first 2 shown]
	s_mov_b64 s[0:1], -1
	s_cbranch_execz .LBB135_124
	s_branch .LBB135_133
.LBB135_123:
	s_mov_b64 s[0:1], 0
                                        ; implicit-def: $vgpr22
.LBB135_124:
	s_barrier
	s_waitcnt lgkmcnt(0)
	ds_read_b32 v21, v13 offset:512
	ds_read_b32 v20, v14 offset:1024
	;; [unrolled: 1-line block ×7, first 2 shown]
	s_sub_i32 s2, s12, s14
	v_cmp_gt_u32_e32 vcc, s2, v0
	s_and_saveexec_b64 s[0:1], vcc
	s_cbranch_execnz .LBB135_136
; %bb.125:
	s_or_b64 exec, exec, s[0:1]
	v_cmp_gt_u32_e32 vcc, s2, v9
	s_and_saveexec_b64 s[0:1], vcc
	s_cbranch_execnz .LBB135_137
.LBB135_126:
	s_or_b64 exec, exec, s[0:1]
	v_cmp_gt_u32_e32 vcc, s2, v8
	s_and_saveexec_b64 s[0:1], vcc
	s_cbranch_execnz .LBB135_138
.LBB135_127:
	s_or_b64 exec, exec, s[0:1]
	v_cmp_gt_u32_e32 vcc, s2, v7
	s_and_saveexec_b64 s[0:1], vcc
	s_cbranch_execnz .LBB135_139
.LBB135_128:
	s_or_b64 exec, exec, s[0:1]
	v_cmp_gt_u32_e32 vcc, s2, v6
	s_and_saveexec_b64 s[0:1], vcc
	s_cbranch_execnz .LBB135_140
.LBB135_129:
	s_or_b64 exec, exec, s[0:1]
	v_cmp_gt_u32_e32 vcc, s2, v5
	s_and_saveexec_b64 s[0:1], vcc
	s_cbranch_execnz .LBB135_141
.LBB135_130:
	s_or_b64 exec, exec, s[0:1]
	v_cmp_gt_u32_e32 vcc, s2, v4
	s_and_saveexec_b64 s[0:1], vcc
	s_cbranch_execz .LBB135_132
.LBB135_131:
	s_waitcnt lgkmcnt(1)
	global_store_dword v[2:3], v10, off offset:3072
.LBB135_132:
	s_or_b64 exec, exec, s[0:1]
	v_cmp_gt_u32_e64 s[0:1], s2, v1
.LBB135_133:
	s_and_saveexec_b64 s[2:3], s[0:1]
	s_cbranch_execz .LBB135_135
; %bb.134:
	s_waitcnt lgkmcnt(0)
	global_store_dword v[2:3], v22, off offset:3584
.LBB135_135:
	s_endpgm
.LBB135_136:
	ds_read_b32 v0, v12
	s_waitcnt lgkmcnt(0)
	global_store_dword v[2:3], v0, off
	s_or_b64 exec, exec, s[0:1]
	v_cmp_gt_u32_e32 vcc, s2, v9
	s_and_saveexec_b64 s[0:1], vcc
	s_cbranch_execz .LBB135_126
.LBB135_137:
	s_waitcnt lgkmcnt(6)
	global_store_dword v[2:3], v21, off offset:512
	s_or_b64 exec, exec, s[0:1]
	v_cmp_gt_u32_e32 vcc, s2, v8
	s_and_saveexec_b64 s[0:1], vcc
	s_cbranch_execz .LBB135_127
.LBB135_138:
	s_waitcnt lgkmcnt(5)
	global_store_dword v[2:3], v20, off offset:1024
	s_or_b64 exec, exec, s[0:1]
	v_cmp_gt_u32_e32 vcc, s2, v7
	s_and_saveexec_b64 s[0:1], vcc
	s_cbranch_execz .LBB135_128
.LBB135_139:
	s_waitcnt lgkmcnt(4)
	global_store_dword v[2:3], v14, off offset:1536
	s_or_b64 exec, exec, s[0:1]
	v_cmp_gt_u32_e32 vcc, s2, v6
	s_and_saveexec_b64 s[0:1], vcc
	s_cbranch_execz .LBB135_129
.LBB135_140:
	s_waitcnt lgkmcnt(3)
	global_store_dword v[2:3], v13, off offset:2048
	s_or_b64 exec, exec, s[0:1]
	v_cmp_gt_u32_e32 vcc, s2, v5
	s_and_saveexec_b64 s[0:1], vcc
	s_cbranch_execz .LBB135_130
.LBB135_141:
	s_waitcnt lgkmcnt(2)
	global_store_dword v[2:3], v11, off offset:2560
	s_or_b64 exec, exec, s[0:1]
	v_cmp_gt_u32_e32 vcc, s2, v4
	s_and_saveexec_b64 s[0:1], vcc
	s_cbranch_execnz .LBB135_131
	s_branch .LBB135_132
	.section	.rodata,"a",@progbits
	.p2align	6, 0x0
	.amdhsa_kernel _ZN7rocprim17ROCPRIM_304000_NS6detail35device_block_merge_mergepath_kernelINS1_37wrapped_merge_sort_block_merge_configINS0_14default_configEfN2at4cuda3cub6detail10OpaqueTypeILi8EEEEEPfSC_PSA_SD_jNS1_19radix_merge_compareILb0ELb0EfNS0_19identity_decomposerEEEEEvT0_T1_T2_T3_T4_SL_jT5_PKSL_NS1_7vsmem_tE
		.amdhsa_group_segment_fixed_size 8208
		.amdhsa_private_segment_fixed_size 0
		.amdhsa_kernarg_size 320
		.amdhsa_user_sgpr_count 2
		.amdhsa_user_sgpr_dispatch_ptr 0
		.amdhsa_user_sgpr_queue_ptr 0
		.amdhsa_user_sgpr_kernarg_segment_ptr 1
		.amdhsa_user_sgpr_dispatch_id 0
		.amdhsa_user_sgpr_kernarg_preload_length 0
		.amdhsa_user_sgpr_kernarg_preload_offset 0
		.amdhsa_user_sgpr_private_segment_size 0
		.amdhsa_uses_dynamic_stack 0
		.amdhsa_enable_private_segment 0
		.amdhsa_system_sgpr_workgroup_id_x 1
		.amdhsa_system_sgpr_workgroup_id_y 1
		.amdhsa_system_sgpr_workgroup_id_z 1
		.amdhsa_system_sgpr_workgroup_info 0
		.amdhsa_system_vgpr_workitem_id 0
		.amdhsa_next_free_vgpr 42
		.amdhsa_next_free_sgpr 40
		.amdhsa_accum_offset 44
		.amdhsa_reserve_vcc 1
		.amdhsa_float_round_mode_32 0
		.amdhsa_float_round_mode_16_64 0
		.amdhsa_float_denorm_mode_32 3
		.amdhsa_float_denorm_mode_16_64 3
		.amdhsa_dx10_clamp 1
		.amdhsa_ieee_mode 1
		.amdhsa_fp16_overflow 0
		.amdhsa_tg_split 0
		.amdhsa_exception_fp_ieee_invalid_op 0
		.amdhsa_exception_fp_denorm_src 0
		.amdhsa_exception_fp_ieee_div_zero 0
		.amdhsa_exception_fp_ieee_overflow 0
		.amdhsa_exception_fp_ieee_underflow 0
		.amdhsa_exception_fp_ieee_inexact 0
		.amdhsa_exception_int_div_zero 0
	.end_amdhsa_kernel
	.section	.text._ZN7rocprim17ROCPRIM_304000_NS6detail35device_block_merge_mergepath_kernelINS1_37wrapped_merge_sort_block_merge_configINS0_14default_configEfN2at4cuda3cub6detail10OpaqueTypeILi8EEEEEPfSC_PSA_SD_jNS1_19radix_merge_compareILb0ELb0EfNS0_19identity_decomposerEEEEEvT0_T1_T2_T3_T4_SL_jT5_PKSL_NS1_7vsmem_tE,"axG",@progbits,_ZN7rocprim17ROCPRIM_304000_NS6detail35device_block_merge_mergepath_kernelINS1_37wrapped_merge_sort_block_merge_configINS0_14default_configEfN2at4cuda3cub6detail10OpaqueTypeILi8EEEEEPfSC_PSA_SD_jNS1_19radix_merge_compareILb0ELb0EfNS0_19identity_decomposerEEEEEvT0_T1_T2_T3_T4_SL_jT5_PKSL_NS1_7vsmem_tE,comdat
.Lfunc_end135:
	.size	_ZN7rocprim17ROCPRIM_304000_NS6detail35device_block_merge_mergepath_kernelINS1_37wrapped_merge_sort_block_merge_configINS0_14default_configEfN2at4cuda3cub6detail10OpaqueTypeILi8EEEEEPfSC_PSA_SD_jNS1_19radix_merge_compareILb0ELb0EfNS0_19identity_decomposerEEEEEvT0_T1_T2_T3_T4_SL_jT5_PKSL_NS1_7vsmem_tE, .Lfunc_end135-_ZN7rocprim17ROCPRIM_304000_NS6detail35device_block_merge_mergepath_kernelINS1_37wrapped_merge_sort_block_merge_configINS0_14default_configEfN2at4cuda3cub6detail10OpaqueTypeILi8EEEEEPfSC_PSA_SD_jNS1_19radix_merge_compareILb0ELb0EfNS0_19identity_decomposerEEEEEvT0_T1_T2_T3_T4_SL_jT5_PKSL_NS1_7vsmem_tE
                                        ; -- End function
	.set _ZN7rocprim17ROCPRIM_304000_NS6detail35device_block_merge_mergepath_kernelINS1_37wrapped_merge_sort_block_merge_configINS0_14default_configEfN2at4cuda3cub6detail10OpaqueTypeILi8EEEEEPfSC_PSA_SD_jNS1_19radix_merge_compareILb0ELb0EfNS0_19identity_decomposerEEEEEvT0_T1_T2_T3_T4_SL_jT5_PKSL_NS1_7vsmem_tE.num_vgpr, 42
	.set _ZN7rocprim17ROCPRIM_304000_NS6detail35device_block_merge_mergepath_kernelINS1_37wrapped_merge_sort_block_merge_configINS0_14default_configEfN2at4cuda3cub6detail10OpaqueTypeILi8EEEEEPfSC_PSA_SD_jNS1_19radix_merge_compareILb0ELb0EfNS0_19identity_decomposerEEEEEvT0_T1_T2_T3_T4_SL_jT5_PKSL_NS1_7vsmem_tE.num_agpr, 0
	.set _ZN7rocprim17ROCPRIM_304000_NS6detail35device_block_merge_mergepath_kernelINS1_37wrapped_merge_sort_block_merge_configINS0_14default_configEfN2at4cuda3cub6detail10OpaqueTypeILi8EEEEEPfSC_PSA_SD_jNS1_19radix_merge_compareILb0ELb0EfNS0_19identity_decomposerEEEEEvT0_T1_T2_T3_T4_SL_jT5_PKSL_NS1_7vsmem_tE.numbered_sgpr, 40
	.set _ZN7rocprim17ROCPRIM_304000_NS6detail35device_block_merge_mergepath_kernelINS1_37wrapped_merge_sort_block_merge_configINS0_14default_configEfN2at4cuda3cub6detail10OpaqueTypeILi8EEEEEPfSC_PSA_SD_jNS1_19radix_merge_compareILb0ELb0EfNS0_19identity_decomposerEEEEEvT0_T1_T2_T3_T4_SL_jT5_PKSL_NS1_7vsmem_tE.num_named_barrier, 0
	.set _ZN7rocprim17ROCPRIM_304000_NS6detail35device_block_merge_mergepath_kernelINS1_37wrapped_merge_sort_block_merge_configINS0_14default_configEfN2at4cuda3cub6detail10OpaqueTypeILi8EEEEEPfSC_PSA_SD_jNS1_19radix_merge_compareILb0ELb0EfNS0_19identity_decomposerEEEEEvT0_T1_T2_T3_T4_SL_jT5_PKSL_NS1_7vsmem_tE.private_seg_size, 0
	.set _ZN7rocprim17ROCPRIM_304000_NS6detail35device_block_merge_mergepath_kernelINS1_37wrapped_merge_sort_block_merge_configINS0_14default_configEfN2at4cuda3cub6detail10OpaqueTypeILi8EEEEEPfSC_PSA_SD_jNS1_19radix_merge_compareILb0ELb0EfNS0_19identity_decomposerEEEEEvT0_T1_T2_T3_T4_SL_jT5_PKSL_NS1_7vsmem_tE.uses_vcc, 1
	.set _ZN7rocprim17ROCPRIM_304000_NS6detail35device_block_merge_mergepath_kernelINS1_37wrapped_merge_sort_block_merge_configINS0_14default_configEfN2at4cuda3cub6detail10OpaqueTypeILi8EEEEEPfSC_PSA_SD_jNS1_19radix_merge_compareILb0ELb0EfNS0_19identity_decomposerEEEEEvT0_T1_T2_T3_T4_SL_jT5_PKSL_NS1_7vsmem_tE.uses_flat_scratch, 0
	.set _ZN7rocprim17ROCPRIM_304000_NS6detail35device_block_merge_mergepath_kernelINS1_37wrapped_merge_sort_block_merge_configINS0_14default_configEfN2at4cuda3cub6detail10OpaqueTypeILi8EEEEEPfSC_PSA_SD_jNS1_19radix_merge_compareILb0ELb0EfNS0_19identity_decomposerEEEEEvT0_T1_T2_T3_T4_SL_jT5_PKSL_NS1_7vsmem_tE.has_dyn_sized_stack, 0
	.set _ZN7rocprim17ROCPRIM_304000_NS6detail35device_block_merge_mergepath_kernelINS1_37wrapped_merge_sort_block_merge_configINS0_14default_configEfN2at4cuda3cub6detail10OpaqueTypeILi8EEEEEPfSC_PSA_SD_jNS1_19radix_merge_compareILb0ELb0EfNS0_19identity_decomposerEEEEEvT0_T1_T2_T3_T4_SL_jT5_PKSL_NS1_7vsmem_tE.has_recursion, 0
	.set _ZN7rocprim17ROCPRIM_304000_NS6detail35device_block_merge_mergepath_kernelINS1_37wrapped_merge_sort_block_merge_configINS0_14default_configEfN2at4cuda3cub6detail10OpaqueTypeILi8EEEEEPfSC_PSA_SD_jNS1_19radix_merge_compareILb0ELb0EfNS0_19identity_decomposerEEEEEvT0_T1_T2_T3_T4_SL_jT5_PKSL_NS1_7vsmem_tE.has_indirect_call, 0
	.section	.AMDGPU.csdata,"",@progbits
; Kernel info:
; codeLenInByte = 6096
; TotalNumSgprs: 46
; NumVgprs: 42
; NumAgprs: 0
; TotalNumVgprs: 42
; ScratchSize: 0
; MemoryBound: 0
; FloatMode: 240
; IeeeMode: 1
; LDSByteSize: 8208 bytes/workgroup (compile time only)
; SGPRBlocks: 5
; VGPRBlocks: 5
; NumSGPRsForWavesPerEU: 46
; NumVGPRsForWavesPerEU: 42
; AccumOffset: 44
; Occupancy: 8
; WaveLimiterHint : 1
; COMPUTE_PGM_RSRC2:SCRATCH_EN: 0
; COMPUTE_PGM_RSRC2:USER_SGPR: 2
; COMPUTE_PGM_RSRC2:TRAP_HANDLER: 0
; COMPUTE_PGM_RSRC2:TGID_X_EN: 1
; COMPUTE_PGM_RSRC2:TGID_Y_EN: 1
; COMPUTE_PGM_RSRC2:TGID_Z_EN: 1
; COMPUTE_PGM_RSRC2:TIDIG_COMP_CNT: 0
; COMPUTE_PGM_RSRC3_GFX90A:ACCUM_OFFSET: 10
; COMPUTE_PGM_RSRC3_GFX90A:TG_SPLIT: 0
	.section	.text._ZN7rocprim17ROCPRIM_304000_NS6detail33device_block_merge_oddeven_kernelINS1_37wrapped_merge_sort_block_merge_configINS0_14default_configEfN2at4cuda3cub6detail10OpaqueTypeILi8EEEEEPfSC_PSA_SD_jNS1_19radix_merge_compareILb0ELb0EfNS0_19identity_decomposerEEEEEvT0_T1_T2_T3_T4_SL_T5_,"axG",@progbits,_ZN7rocprim17ROCPRIM_304000_NS6detail33device_block_merge_oddeven_kernelINS1_37wrapped_merge_sort_block_merge_configINS0_14default_configEfN2at4cuda3cub6detail10OpaqueTypeILi8EEEEEPfSC_PSA_SD_jNS1_19radix_merge_compareILb0ELb0EfNS0_19identity_decomposerEEEEEvT0_T1_T2_T3_T4_SL_T5_,comdat
	.protected	_ZN7rocprim17ROCPRIM_304000_NS6detail33device_block_merge_oddeven_kernelINS1_37wrapped_merge_sort_block_merge_configINS0_14default_configEfN2at4cuda3cub6detail10OpaqueTypeILi8EEEEEPfSC_PSA_SD_jNS1_19radix_merge_compareILb0ELb0EfNS0_19identity_decomposerEEEEEvT0_T1_T2_T3_T4_SL_T5_ ; -- Begin function _ZN7rocprim17ROCPRIM_304000_NS6detail33device_block_merge_oddeven_kernelINS1_37wrapped_merge_sort_block_merge_configINS0_14default_configEfN2at4cuda3cub6detail10OpaqueTypeILi8EEEEEPfSC_PSA_SD_jNS1_19radix_merge_compareILb0ELb0EfNS0_19identity_decomposerEEEEEvT0_T1_T2_T3_T4_SL_T5_
	.globl	_ZN7rocprim17ROCPRIM_304000_NS6detail33device_block_merge_oddeven_kernelINS1_37wrapped_merge_sort_block_merge_configINS0_14default_configEfN2at4cuda3cub6detail10OpaqueTypeILi8EEEEEPfSC_PSA_SD_jNS1_19radix_merge_compareILb0ELb0EfNS0_19identity_decomposerEEEEEvT0_T1_T2_T3_T4_SL_T5_
	.p2align	8
	.type	_ZN7rocprim17ROCPRIM_304000_NS6detail33device_block_merge_oddeven_kernelINS1_37wrapped_merge_sort_block_merge_configINS0_14default_configEfN2at4cuda3cub6detail10OpaqueTypeILi8EEEEEPfSC_PSA_SD_jNS1_19radix_merge_compareILb0ELb0EfNS0_19identity_decomposerEEEEEvT0_T1_T2_T3_T4_SL_T5_,@function
_ZN7rocprim17ROCPRIM_304000_NS6detail33device_block_merge_oddeven_kernelINS1_37wrapped_merge_sort_block_merge_configINS0_14default_configEfN2at4cuda3cub6detail10OpaqueTypeILi8EEEEEPfSC_PSA_SD_jNS1_19radix_merge_compareILb0ELb0EfNS0_19identity_decomposerEEEEEvT0_T1_T2_T3_T4_SL_T5_: ; @_ZN7rocprim17ROCPRIM_304000_NS6detail33device_block_merge_oddeven_kernelINS1_37wrapped_merge_sort_block_merge_configINS0_14default_configEfN2at4cuda3cub6detail10OpaqueTypeILi8EEEEEPfSC_PSA_SD_jNS1_19radix_merge_compareILb0ELb0EfNS0_19identity_decomposerEEEEEvT0_T1_T2_T3_T4_SL_T5_
; %bb.0:
	s_load_dwordx2 s[16:17], s[0:1], 0x20
	s_waitcnt lgkmcnt(0)
	s_lshr_b32 s3, s16, 8
	s_cmp_eq_u32 s2, s3
	s_cselect_b64 s[6:7], -1, 0
	s_cmp_lg_u32 s2, s3
	s_cselect_b64 s[8:9], -1, 0
	s_lshl_b32 s18, s2, 8
	s_sub_i32 s3, s16, s18
	v_cmp_gt_u32_e64 s[4:5], s3, v0
	s_or_b64 s[8:9], s[8:9], s[4:5]
	s_and_saveexec_b64 s[10:11], s[8:9]
	s_cbranch_execz .LBB136_24
; %bb.1:
	s_load_dwordx8 s[8:15], s[0:1], 0x0
	s_mov_b32 s19, 0
	s_lshl_b64 s[0:1], s[18:19], 2
	v_lshlrev_b32_e32 v5, 3, v0
	v_lshlrev_b32_e32 v1, 2, v0
	s_waitcnt lgkmcnt(0)
	s_add_u32 s0, s8, s0
	s_addc_u32 s1, s9, s1
	s_lshl_b64 s[20:21], s[18:19], 3
	s_add_u32 s12, s12, s20
	s_addc_u32 s13, s13, s21
	global_load_dwordx2 v[2:3], v5, s[12:13]
	global_load_dword v4, v1, s[0:1]
	s_lshr_b32 s0, s17, 8
	s_sub_i32 s1, 0, s0
	s_and_b32 s1, s2, s1
	s_and_b32 s0, s1, s0
	s_lshl_b32 s19, s1, 8
	s_sub_i32 s12, 0, s17
	s_cmp_eq_u32 s0, 0
	s_cselect_b64 s[0:1], -1, 0
	s_and_b64 s[2:3], s[0:1], exec
	s_cselect_b32 s12, s17, s12
	s_add_i32 s12, s12, s19
	s_mov_b64 s[2:3], -1
	s_cmp_gt_u32 s16, s12
	v_add_u32_e32 v0, s18, v0
	s_cbranch_scc1 .LBB136_9
; %bb.2:
	s_and_b64 vcc, exec, s[6:7]
	s_cbranch_vccz .LBB136_6
; %bb.3:
	v_cmp_gt_u32_e32 vcc, s16, v0
	s_and_saveexec_b64 s[2:3], vcc
	s_cbranch_execz .LBB136_5
; %bb.4:
	v_mov_b32_e32 v1, 0
	v_lshl_add_u64 v[8:9], v[0:1], 2, s[10:11]
	v_lshl_add_u64 v[6:7], v[0:1], 3, s[14:15]
	s_waitcnt vmcnt(0)
	global_store_dword v[8:9], v4, off
	global_store_dwordx2 v[6:7], v[2:3], off
.LBB136_5:
	s_or_b64 exec, exec, s[2:3]
	s_mov_b64 s[2:3], 0
.LBB136_6:
	s_andn2_b64 vcc, exec, s[2:3]
	s_cbranch_vccnz .LBB136_8
; %bb.7:
	v_mov_b32_e32 v1, 0
	v_lshl_add_u64 v[6:7], v[0:1], 2, s[10:11]
	v_lshl_add_u64 v[8:9], v[0:1], 3, s[14:15]
	s_waitcnt vmcnt(0)
	global_store_dword v[6:7], v4, off
	global_store_dwordx2 v[8:9], v[2:3], off
.LBB136_8:
	s_mov_b64 s[2:3], 0
.LBB136_9:
	s_andn2_b64 vcc, exec, s[2:3]
	s_cbranch_vccnz .LBB136_24
; %bb.10:
	s_min_u32 s13, s12, s16
	s_add_i32 s2, s13, s17
	s_min_u32 s16, s2, s16
	s_min_u32 s2, s19, s13
	s_add_i32 s19, s19, s13
	v_subrev_u32_e32 v0, s19, v0
	v_add_u32_e32 v5, s2, v0
	s_brev_b32 s2, 1
	s_waitcnt vmcnt(0)
	v_cmp_ne_u32_e32 vcc, s2, v4
	v_bfrev_b32_e32 v1, 1
	s_mov_b64 s[2:3], -1
	v_cndmask_b32_e32 v0, 0, v4, vcc
	v_cmp_lt_i32_e32 vcc, -1, v0
	s_nop 1
	v_cndmask_b32_e32 v1, -1, v1, vcc
	v_xor_b32_e32 v6, v1, v0
	s_and_b64 vcc, exec, s[6:7]
	s_cbranch_vccz .LBB136_18
; %bb.11:
	s_and_saveexec_b64 s[2:3], s[4:5]
	s_cbranch_execz .LBB136_17
; %bb.12:
	s_cmp_ge_u32 s12, s16
	v_mov_b32_e32 v7, s13
	s_cbranch_scc1 .LBB136_16
; %bb.13:
	s_mov_b64 s[4:5], 0
	v_mov_b32_e32 v8, s16
	v_mov_b32_e32 v7, s13
	;; [unrolled: 1-line block ×3, first 2 shown]
	s_brev_b32 s6, 1
	v_bfrev_b32_e32 v9, 1
.LBB136_14:                             ; =>This Inner Loop Header: Depth=1
	v_add_u32_e32 v0, v7, v8
	v_lshrrev_b32_e32 v0, 1, v0
	v_lshl_add_u64 v[10:11], v[0:1], 2, s[8:9]
	global_load_dword v10, v[10:11], off
	v_add_u32_e32 v11, 1, v0
	s_waitcnt vmcnt(0)
	v_cmp_ne_u32_e32 vcc, s6, v10
	s_nop 1
	v_cndmask_b32_e32 v10, 0, v10, vcc
	v_cmp_lt_i32_e32 vcc, -1, v10
	s_nop 1
	v_cndmask_b32_e32 v12, -1, v9, vcc
	v_xor_b32_e32 v10, v12, v10
	v_cmp_gt_u32_e32 vcc, v6, v10
	s_nop 1
	v_cndmask_b32_e64 v12, 0, 1, vcc
	v_cmp_le_u32_e32 vcc, v10, v6
	s_nop 1
	v_cndmask_b32_e64 v10, 0, 1, vcc
	v_cndmask_b32_e64 v10, v10, v12, s[0:1]
	v_and_b32_e32 v10, 1, v10
	v_cmp_eq_u32_e32 vcc, 1, v10
	s_nop 1
	v_cndmask_b32_e32 v8, v0, v8, vcc
	v_cndmask_b32_e32 v7, v7, v11, vcc
	v_cmp_ge_u32_e32 vcc, v7, v8
	s_or_b64 s[4:5], vcc, s[4:5]
	s_andn2_b64 exec, exec, s[4:5]
	s_cbranch_execnz .LBB136_14
; %bb.15:
	s_or_b64 exec, exec, s[4:5]
.LBB136_16:
	v_add_u32_e32 v0, v7, v5
	v_mov_b32_e32 v1, 0
	v_lshl_add_u64 v[8:9], v[0:1], 2, s[10:11]
	v_lshl_add_u64 v[0:1], v[0:1], 3, s[14:15]
	global_store_dword v[8:9], v4, off
	global_store_dwordx2 v[0:1], v[2:3], off
.LBB136_17:
	s_or_b64 exec, exec, s[2:3]
	s_mov_b64 s[2:3], 0
.LBB136_18:
	s_andn2_b64 vcc, exec, s[2:3]
	s_cbranch_vccnz .LBB136_24
; %bb.19:
	s_cmp_ge_u32 s12, s16
	v_mov_b32_e32 v7, s13
	s_cbranch_scc1 .LBB136_23
; %bb.20:
	s_mov_b64 s[2:3], 0
	v_mov_b32_e32 v8, s16
	v_mov_b32_e32 v7, s13
	;; [unrolled: 1-line block ×3, first 2 shown]
	s_brev_b32 s4, 1
	v_bfrev_b32_e32 v9, 1
.LBB136_21:                             ; =>This Inner Loop Header: Depth=1
	v_add_u32_e32 v0, v7, v8
	v_lshrrev_b32_e32 v0, 1, v0
	v_lshl_add_u64 v[10:11], v[0:1], 2, s[8:9]
	global_load_dword v10, v[10:11], off
	v_add_u32_e32 v11, 1, v0
	s_waitcnt vmcnt(0)
	v_cmp_ne_u32_e32 vcc, s4, v10
	s_nop 1
	v_cndmask_b32_e32 v10, 0, v10, vcc
	v_cmp_lt_i32_e32 vcc, -1, v10
	s_nop 1
	v_cndmask_b32_e32 v12, -1, v9, vcc
	v_xor_b32_e32 v10, v12, v10
	v_cmp_gt_u32_e32 vcc, v6, v10
	s_nop 1
	v_cndmask_b32_e64 v12, 0, 1, vcc
	v_cmp_le_u32_e32 vcc, v10, v6
	s_nop 1
	v_cndmask_b32_e64 v10, 0, 1, vcc
	v_cndmask_b32_e64 v10, v10, v12, s[0:1]
	v_and_b32_e32 v10, 1, v10
	v_cmp_eq_u32_e32 vcc, 1, v10
	s_nop 1
	v_cndmask_b32_e32 v8, v0, v8, vcc
	v_cndmask_b32_e32 v7, v7, v11, vcc
	v_cmp_ge_u32_e32 vcc, v7, v8
	s_or_b64 s[2:3], vcc, s[2:3]
	s_andn2_b64 exec, exec, s[2:3]
	s_cbranch_execnz .LBB136_21
; %bb.22:
	s_or_b64 exec, exec, s[2:3]
.LBB136_23:
	v_add_u32_e32 v0, v7, v5
	v_mov_b32_e32 v1, 0
	v_lshl_add_u64 v[6:7], v[0:1], 2, s[10:11]
	v_lshl_add_u64 v[0:1], v[0:1], 3, s[14:15]
	global_store_dword v[6:7], v4, off
	global_store_dwordx2 v[0:1], v[2:3], off
.LBB136_24:
	s_endpgm
	.section	.rodata,"a",@progbits
	.p2align	6, 0x0
	.amdhsa_kernel _ZN7rocprim17ROCPRIM_304000_NS6detail33device_block_merge_oddeven_kernelINS1_37wrapped_merge_sort_block_merge_configINS0_14default_configEfN2at4cuda3cub6detail10OpaqueTypeILi8EEEEEPfSC_PSA_SD_jNS1_19radix_merge_compareILb0ELb0EfNS0_19identity_decomposerEEEEEvT0_T1_T2_T3_T4_SL_T5_
		.amdhsa_group_segment_fixed_size 0
		.amdhsa_private_segment_fixed_size 0
		.amdhsa_kernarg_size 44
		.amdhsa_user_sgpr_count 2
		.amdhsa_user_sgpr_dispatch_ptr 0
		.amdhsa_user_sgpr_queue_ptr 0
		.amdhsa_user_sgpr_kernarg_segment_ptr 1
		.amdhsa_user_sgpr_dispatch_id 0
		.amdhsa_user_sgpr_kernarg_preload_length 0
		.amdhsa_user_sgpr_kernarg_preload_offset 0
		.amdhsa_user_sgpr_private_segment_size 0
		.amdhsa_uses_dynamic_stack 0
		.amdhsa_enable_private_segment 0
		.amdhsa_system_sgpr_workgroup_id_x 1
		.amdhsa_system_sgpr_workgroup_id_y 0
		.amdhsa_system_sgpr_workgroup_id_z 0
		.amdhsa_system_sgpr_workgroup_info 0
		.amdhsa_system_vgpr_workitem_id 0
		.amdhsa_next_free_vgpr 13
		.amdhsa_next_free_sgpr 22
		.amdhsa_accum_offset 16
		.amdhsa_reserve_vcc 1
		.amdhsa_float_round_mode_32 0
		.amdhsa_float_round_mode_16_64 0
		.amdhsa_float_denorm_mode_32 3
		.amdhsa_float_denorm_mode_16_64 3
		.amdhsa_dx10_clamp 1
		.amdhsa_ieee_mode 1
		.amdhsa_fp16_overflow 0
		.amdhsa_tg_split 0
		.amdhsa_exception_fp_ieee_invalid_op 0
		.amdhsa_exception_fp_denorm_src 0
		.amdhsa_exception_fp_ieee_div_zero 0
		.amdhsa_exception_fp_ieee_overflow 0
		.amdhsa_exception_fp_ieee_underflow 0
		.amdhsa_exception_fp_ieee_inexact 0
		.amdhsa_exception_int_div_zero 0
	.end_amdhsa_kernel
	.section	.text._ZN7rocprim17ROCPRIM_304000_NS6detail33device_block_merge_oddeven_kernelINS1_37wrapped_merge_sort_block_merge_configINS0_14default_configEfN2at4cuda3cub6detail10OpaqueTypeILi8EEEEEPfSC_PSA_SD_jNS1_19radix_merge_compareILb0ELb0EfNS0_19identity_decomposerEEEEEvT0_T1_T2_T3_T4_SL_T5_,"axG",@progbits,_ZN7rocprim17ROCPRIM_304000_NS6detail33device_block_merge_oddeven_kernelINS1_37wrapped_merge_sort_block_merge_configINS0_14default_configEfN2at4cuda3cub6detail10OpaqueTypeILi8EEEEEPfSC_PSA_SD_jNS1_19radix_merge_compareILb0ELb0EfNS0_19identity_decomposerEEEEEvT0_T1_T2_T3_T4_SL_T5_,comdat
.Lfunc_end136:
	.size	_ZN7rocprim17ROCPRIM_304000_NS6detail33device_block_merge_oddeven_kernelINS1_37wrapped_merge_sort_block_merge_configINS0_14default_configEfN2at4cuda3cub6detail10OpaqueTypeILi8EEEEEPfSC_PSA_SD_jNS1_19radix_merge_compareILb0ELb0EfNS0_19identity_decomposerEEEEEvT0_T1_T2_T3_T4_SL_T5_, .Lfunc_end136-_ZN7rocprim17ROCPRIM_304000_NS6detail33device_block_merge_oddeven_kernelINS1_37wrapped_merge_sort_block_merge_configINS0_14default_configEfN2at4cuda3cub6detail10OpaqueTypeILi8EEEEEPfSC_PSA_SD_jNS1_19radix_merge_compareILb0ELb0EfNS0_19identity_decomposerEEEEEvT0_T1_T2_T3_T4_SL_T5_
                                        ; -- End function
	.set _ZN7rocprim17ROCPRIM_304000_NS6detail33device_block_merge_oddeven_kernelINS1_37wrapped_merge_sort_block_merge_configINS0_14default_configEfN2at4cuda3cub6detail10OpaqueTypeILi8EEEEEPfSC_PSA_SD_jNS1_19radix_merge_compareILb0ELb0EfNS0_19identity_decomposerEEEEEvT0_T1_T2_T3_T4_SL_T5_.num_vgpr, 13
	.set _ZN7rocprim17ROCPRIM_304000_NS6detail33device_block_merge_oddeven_kernelINS1_37wrapped_merge_sort_block_merge_configINS0_14default_configEfN2at4cuda3cub6detail10OpaqueTypeILi8EEEEEPfSC_PSA_SD_jNS1_19radix_merge_compareILb0ELb0EfNS0_19identity_decomposerEEEEEvT0_T1_T2_T3_T4_SL_T5_.num_agpr, 0
	.set _ZN7rocprim17ROCPRIM_304000_NS6detail33device_block_merge_oddeven_kernelINS1_37wrapped_merge_sort_block_merge_configINS0_14default_configEfN2at4cuda3cub6detail10OpaqueTypeILi8EEEEEPfSC_PSA_SD_jNS1_19radix_merge_compareILb0ELb0EfNS0_19identity_decomposerEEEEEvT0_T1_T2_T3_T4_SL_T5_.numbered_sgpr, 22
	.set _ZN7rocprim17ROCPRIM_304000_NS6detail33device_block_merge_oddeven_kernelINS1_37wrapped_merge_sort_block_merge_configINS0_14default_configEfN2at4cuda3cub6detail10OpaqueTypeILi8EEEEEPfSC_PSA_SD_jNS1_19radix_merge_compareILb0ELb0EfNS0_19identity_decomposerEEEEEvT0_T1_T2_T3_T4_SL_T5_.num_named_barrier, 0
	.set _ZN7rocprim17ROCPRIM_304000_NS6detail33device_block_merge_oddeven_kernelINS1_37wrapped_merge_sort_block_merge_configINS0_14default_configEfN2at4cuda3cub6detail10OpaqueTypeILi8EEEEEPfSC_PSA_SD_jNS1_19radix_merge_compareILb0ELb0EfNS0_19identity_decomposerEEEEEvT0_T1_T2_T3_T4_SL_T5_.private_seg_size, 0
	.set _ZN7rocprim17ROCPRIM_304000_NS6detail33device_block_merge_oddeven_kernelINS1_37wrapped_merge_sort_block_merge_configINS0_14default_configEfN2at4cuda3cub6detail10OpaqueTypeILi8EEEEEPfSC_PSA_SD_jNS1_19radix_merge_compareILb0ELb0EfNS0_19identity_decomposerEEEEEvT0_T1_T2_T3_T4_SL_T5_.uses_vcc, 1
	.set _ZN7rocprim17ROCPRIM_304000_NS6detail33device_block_merge_oddeven_kernelINS1_37wrapped_merge_sort_block_merge_configINS0_14default_configEfN2at4cuda3cub6detail10OpaqueTypeILi8EEEEEPfSC_PSA_SD_jNS1_19radix_merge_compareILb0ELb0EfNS0_19identity_decomposerEEEEEvT0_T1_T2_T3_T4_SL_T5_.uses_flat_scratch, 0
	.set _ZN7rocprim17ROCPRIM_304000_NS6detail33device_block_merge_oddeven_kernelINS1_37wrapped_merge_sort_block_merge_configINS0_14default_configEfN2at4cuda3cub6detail10OpaqueTypeILi8EEEEEPfSC_PSA_SD_jNS1_19radix_merge_compareILb0ELb0EfNS0_19identity_decomposerEEEEEvT0_T1_T2_T3_T4_SL_T5_.has_dyn_sized_stack, 0
	.set _ZN7rocprim17ROCPRIM_304000_NS6detail33device_block_merge_oddeven_kernelINS1_37wrapped_merge_sort_block_merge_configINS0_14default_configEfN2at4cuda3cub6detail10OpaqueTypeILi8EEEEEPfSC_PSA_SD_jNS1_19radix_merge_compareILb0ELb0EfNS0_19identity_decomposerEEEEEvT0_T1_T2_T3_T4_SL_T5_.has_recursion, 0
	.set _ZN7rocprim17ROCPRIM_304000_NS6detail33device_block_merge_oddeven_kernelINS1_37wrapped_merge_sort_block_merge_configINS0_14default_configEfN2at4cuda3cub6detail10OpaqueTypeILi8EEEEEPfSC_PSA_SD_jNS1_19radix_merge_compareILb0ELb0EfNS0_19identity_decomposerEEEEEvT0_T1_T2_T3_T4_SL_T5_.has_indirect_call, 0
	.section	.AMDGPU.csdata,"",@progbits
; Kernel info:
; codeLenInByte = 848
; TotalNumSgprs: 28
; NumVgprs: 13
; NumAgprs: 0
; TotalNumVgprs: 13
; ScratchSize: 0
; MemoryBound: 0
; FloatMode: 240
; IeeeMode: 1
; LDSByteSize: 0 bytes/workgroup (compile time only)
; SGPRBlocks: 3
; VGPRBlocks: 1
; NumSGPRsForWavesPerEU: 28
; NumVGPRsForWavesPerEU: 13
; AccumOffset: 16
; Occupancy: 8
; WaveLimiterHint : 0
; COMPUTE_PGM_RSRC2:SCRATCH_EN: 0
; COMPUTE_PGM_RSRC2:USER_SGPR: 2
; COMPUTE_PGM_RSRC2:TRAP_HANDLER: 0
; COMPUTE_PGM_RSRC2:TGID_X_EN: 1
; COMPUTE_PGM_RSRC2:TGID_Y_EN: 0
; COMPUTE_PGM_RSRC2:TGID_Z_EN: 0
; COMPUTE_PGM_RSRC2:TIDIG_COMP_CNT: 0
; COMPUTE_PGM_RSRC3_GFX90A:ACCUM_OFFSET: 3
; COMPUTE_PGM_RSRC3_GFX90A:TG_SPLIT: 0
	.section	.text._ZN7rocprim17ROCPRIM_304000_NS6detail26onesweep_histograms_kernelINS1_34wrapped_radix_sort_onesweep_configINS0_14default_configEfN2at4cuda3cub6detail10OpaqueTypeILi8EEEEELb0EPKfmNS0_19identity_decomposerEEEvT1_PT2_SG_SG_T3_jj,"axG",@progbits,_ZN7rocprim17ROCPRIM_304000_NS6detail26onesweep_histograms_kernelINS1_34wrapped_radix_sort_onesweep_configINS0_14default_configEfN2at4cuda3cub6detail10OpaqueTypeILi8EEEEELb0EPKfmNS0_19identity_decomposerEEEvT1_PT2_SG_SG_T3_jj,comdat
	.protected	_ZN7rocprim17ROCPRIM_304000_NS6detail26onesweep_histograms_kernelINS1_34wrapped_radix_sort_onesweep_configINS0_14default_configEfN2at4cuda3cub6detail10OpaqueTypeILi8EEEEELb0EPKfmNS0_19identity_decomposerEEEvT1_PT2_SG_SG_T3_jj ; -- Begin function _ZN7rocprim17ROCPRIM_304000_NS6detail26onesweep_histograms_kernelINS1_34wrapped_radix_sort_onesweep_configINS0_14default_configEfN2at4cuda3cub6detail10OpaqueTypeILi8EEEEELb0EPKfmNS0_19identity_decomposerEEEvT1_PT2_SG_SG_T3_jj
	.globl	_ZN7rocprim17ROCPRIM_304000_NS6detail26onesweep_histograms_kernelINS1_34wrapped_radix_sort_onesweep_configINS0_14default_configEfN2at4cuda3cub6detail10OpaqueTypeILi8EEEEELb0EPKfmNS0_19identity_decomposerEEEvT1_PT2_SG_SG_T3_jj
	.p2align	8
	.type	_ZN7rocprim17ROCPRIM_304000_NS6detail26onesweep_histograms_kernelINS1_34wrapped_radix_sort_onesweep_configINS0_14default_configEfN2at4cuda3cub6detail10OpaqueTypeILi8EEEEELb0EPKfmNS0_19identity_decomposerEEEvT1_PT2_SG_SG_T3_jj,@function
_ZN7rocprim17ROCPRIM_304000_NS6detail26onesweep_histograms_kernelINS1_34wrapped_radix_sort_onesweep_configINS0_14default_configEfN2at4cuda3cub6detail10OpaqueTypeILi8EEEEELb0EPKfmNS0_19identity_decomposerEEEvT1_PT2_SG_SG_T3_jj: ; @_ZN7rocprim17ROCPRIM_304000_NS6detail26onesweep_histograms_kernelINS1_34wrapped_radix_sort_onesweep_configINS0_14default_configEfN2at4cuda3cub6detail10OpaqueTypeILi8EEEEELb0EPKfmNS0_19identity_decomposerEEEvT1_PT2_SG_SG_T3_jj
; %bb.0:
	s_load_dwordx8 s[12:19], s[0:1], 0x0
	s_load_dwordx2 s[20:21], s[0:1], 0x24
	v_mov_b32_e32 v8, s2
	v_mov_b32_e32 v9, 0
	s_mul_hi_u32 s0, s2, 0x6000
	s_mulk_i32 s2, 0x6000
	s_waitcnt lgkmcnt(0)
	v_cmp_le_u64_e32 vcc, s[18:19], v[8:9]
	s_add_u32 s12, s12, s2
	s_addc_u32 s13, s13, s0
	s_mov_b64 s[0:1], -1
	v_lshlrev_b32_e32 v8, 2, v0
	s_cbranch_vccz .LBB137_44
; %bb.1:
	s_mul_i32 s0, s18, 0xffffe800
	s_add_i32 s16, s0, s16
	v_lshl_add_u64 v[10:11], s[12:13], 0, v[8:9]
	v_cmp_gt_u32_e64 s[10:11], s16, v0
	v_mov_b32_e32 v6, v9
	v_mov_b32_e32 v1, v9
	;; [unrolled: 1-line block ×6, first 2 shown]
	s_and_saveexec_b64 s[0:1], s[10:11]
	s_cbranch_execz .LBB137_3
; %bb.2:
	global_load_dword v6, v[10:11], off
	v_mov_b32_e32 v1, v9
	v_mov_b32_e32 v2, v9
	;; [unrolled: 1-line block ×5, first 2 shown]
.LBB137_3:
	s_or_b64 exec, exec, s[0:1]
	v_or_b32_e32 v7, 0x400, v0
	v_cmp_gt_u32_e64 s[8:9], s16, v7
	s_and_saveexec_b64 s[0:1], s[8:9]
	s_cbranch_execz .LBB137_5
; %bb.4:
	v_add_co_u32_e32 v12, vcc, 0x1000, v10
	s_nop 1
	v_addc_co_u32_e32 v13, vcc, 0, v11, vcc
	global_load_dword v1, v[12:13], off
.LBB137_5:
	s_or_b64 exec, exec, s[0:1]
	v_or_b32_e32 v7, 0x800, v0
	v_cmp_gt_u32_e64 s[6:7], s16, v7
	s_and_saveexec_b64 s[0:1], s[6:7]
	s_cbranch_execz .LBB137_7
; %bb.6:
	v_add_co_u32_e32 v12, vcc, 0x2000, v10
	s_nop 1
	v_addc_co_u32_e32 v13, vcc, 0, v11, vcc
	global_load_dword v2, v[12:13], off
.LBB137_7:
	;; [unrolled: 11-line block ×5, first 2 shown]
	s_or_b64 exec, exec, s[16:17]
	s_cmp_gt_u32 s21, s20
	v_mov_b32_e32 v7, 0
	s_cselect_b64 s[16:17], -1, 0
	s_cmp_le_u32 s21, s20
	ds_write2st64_b32 v8, v7, v7 offset1:16
	ds_write2st64_b32 v8, v7, v7 offset0:32 offset1:48
	s_waitcnt lgkmcnt(0)
	s_barrier
	s_cbranch_scc1 .LBB137_38
; %bb.14:
	v_bfrev_b32_e32 v7, 1
	s_waitcnt vmcnt(0)
	v_cmp_lt_i32_e32 vcc, -1, v6
	s_brev_b32 s18, -2
	v_and_b32_e32 v9, 3, v0
	v_cndmask_b32_e32 v10, -1, v7, vcc
	v_xor_b32_e32 v6, v10, v6
	v_cmp_ne_u32_e32 vcc, s18, v6
	s_sub_i32 s22, s21, s20
	s_mov_b32 s23, s22
	v_cndmask_b32_e32 v7, v7, v6, vcc
	v_lshlrev_b32_e32 v6, 2, v9
	v_mov_b32_e32 v9, 1
	v_mov_b32_e32 v10, v6
	s_mov_b32 s24, s20
	s_branch .LBB137_16
.LBB137_15:                             ;   in Loop: Header=BB137_16 Depth=1
	s_or_b64 exec, exec, s[18:19]
	s_add_i32 s24, s24, 8
	s_add_i32 s23, s23, -8
	s_cmp_ge_u32 s24, s21
	v_add_u32_e32 v10, 0x1000, v10
	s_cbranch_scc1 .LBB137_18
.LBB137_16:                             ; =>This Inner Loop Header: Depth=1
	s_and_saveexec_b64 s[18:19], s[10:11]
	s_cbranch_execz .LBB137_15
; %bb.17:                               ;   in Loop: Header=BB137_16 Depth=1
	s_min_u32 s25, s23, 8
	v_lshrrev_b32_e32 v11, s24, v7
	v_bfe_u32 v11, v11, 0, s25
	v_lshl_add_u32 v11, v11, 4, v10
	ds_add_u32 v11, v9
	s_branch .LBB137_15
.LBB137_18:
	v_bfrev_b32_e32 v7, 1
	v_cmp_lt_i32_e32 vcc, -1, v1
	s_brev_b32 s10, -2
	s_mov_b32 s18, s22
	v_cndmask_b32_e32 v9, -1, v7, vcc
	v_xor_b32_e32 v1, v9, v1
	v_cmp_ne_u32_e32 vcc, s10, v1
	v_mov_b32_e32 v9, v6
	s_mov_b32 s19, s20
	v_cndmask_b32_e32 v1, v7, v1, vcc
	v_mov_b32_e32 v7, 1
	s_branch .LBB137_20
.LBB137_19:                             ;   in Loop: Header=BB137_20 Depth=1
	s_or_b64 exec, exec, s[10:11]
	s_add_i32 s19, s19, 8
	s_add_i32 s18, s18, -8
	s_cmp_lt_u32 s19, s21
	v_add_u32_e32 v9, 0x1000, v9
	s_cbranch_scc0 .LBB137_22
.LBB137_20:                             ; =>This Inner Loop Header: Depth=1
	s_and_saveexec_b64 s[10:11], s[8:9]
	s_cbranch_execz .LBB137_19
; %bb.21:                               ;   in Loop: Header=BB137_20 Depth=1
	s_min_u32 s23, s18, 8
	v_lshrrev_b32_e32 v10, s19, v1
	v_bfe_u32 v10, v10, 0, s23
	v_lshl_add_u32 v10, v10, 4, v9
	ds_add_u32 v10, v7
	s_branch .LBB137_19
.LBB137_22:
	v_bfrev_b32_e32 v1, 1
	v_cmp_lt_i32_e32 vcc, -1, v2
	s_brev_b32 s8, -2
	s_mov_b32 s10, s22
	v_cndmask_b32_e32 v7, -1, v1, vcc
	v_xor_b32_e32 v2, v7, v2
	v_cmp_ne_u32_e32 vcc, s8, v2
	v_mov_b32_e32 v7, v6
	s_mov_b32 s11, s20
	v_cndmask_b32_e32 v1, v1, v2, vcc
	v_mov_b32_e32 v2, 1
	s_branch .LBB137_24
.LBB137_23:                             ;   in Loop: Header=BB137_24 Depth=1
	s_or_b64 exec, exec, s[8:9]
	s_add_i32 s11, s11, 8
	s_add_i32 s10, s10, -8
	s_cmp_lt_u32 s11, s21
	v_add_u32_e32 v7, 0x1000, v7
	s_cbranch_scc0 .LBB137_26
.LBB137_24:                             ; =>This Inner Loop Header: Depth=1
	s_and_saveexec_b64 s[8:9], s[6:7]
	s_cbranch_execz .LBB137_23
; %bb.25:                               ;   in Loop: Header=BB137_24 Depth=1
	s_min_u32 s18, s10, 8
	v_lshrrev_b32_e32 v9, s11, v1
	v_bfe_u32 v9, v9, 0, s18
	v_lshl_add_u32 v9, v9, 4, v7
	ds_add_u32 v9, v2
	s_branch .LBB137_23
.LBB137_26:
	;; [unrolled: 30-line block ×4, first 2 shown]
	v_bfrev_b32_e32 v1, 1
	v_cmp_lt_i32_e32 vcc, -1, v5
	s_brev_b32 s2, -2
	s_mov_b32 s4, s20
	v_cndmask_b32_e32 v2, -1, v1, vcc
	v_xor_b32_e32 v2, v2, v5
	v_cmp_ne_u32_e32 vcc, s2, v2
	s_nop 1
	v_cndmask_b32_e32 v1, v1, v2, vcc
	v_mov_b32_e32 v2, 1
	s_branch .LBB137_36
.LBB137_35:                             ;   in Loop: Header=BB137_36 Depth=1
	s_or_b64 exec, exec, s[2:3]
	s_add_i32 s4, s4, 8
	s_add_i32 s22, s22, -8
	s_cmp_lt_u32 s4, s21
	v_add_u32_e32 v6, 0x1000, v6
	s_cbranch_scc0 .LBB137_38
.LBB137_36:                             ; =>This Inner Loop Header: Depth=1
	s_and_saveexec_b64 s[2:3], s[0:1]
	s_cbranch_execz .LBB137_35
; %bb.37:                               ;   in Loop: Header=BB137_36 Depth=1
	s_min_u32 s5, s22, 8
	v_lshrrev_b32_e32 v3, s4, v1
	v_bfe_u32 v3, v3, 0, s5
	v_lshl_add_u32 v3, v3, 4, v6
	ds_add_u32 v3, v2
	s_branch .LBB137_35
.LBB137_38:
	s_and_b64 vcc, exec, s[16:17]
	s_waitcnt lgkmcnt(0)
	s_barrier
	s_cbranch_vccz .LBB137_43
; %bb.39:
	s_movk_i32 s0, 0x100
	v_cmp_gt_u32_e32 vcc, s0, v0
	s_waitcnt vmcnt(0)
	v_lshlrev_b32_e32 v1, 4, v0
	v_mov_b32_e32 v3, 0
	v_mov_b32_e32 v2, v0
	s_mov_b32 s2, s20
	s_branch .LBB137_41
.LBB137_40:                             ;   in Loop: Header=BB137_41 Depth=1
	s_or_b64 exec, exec, s[0:1]
	s_add_i32 s2, s2, 8
	v_add_u32_e32 v2, 0x100, v2
	s_cmp_lt_u32 s2, s21
	v_add_u32_e32 v1, 0x1000, v1
	s_cbranch_scc0 .LBB137_43
.LBB137_41:                             ; =>This Inner Loop Header: Depth=1
	s_and_saveexec_b64 s[0:1], vcc
	s_cbranch_execz .LBB137_40
; %bb.42:                               ;   in Loop: Header=BB137_41 Depth=1
	ds_read2_b32 v[4:5], v1 offset1:1
	ds_read2_b32 v[6:7], v1 offset0:2 offset1:3
	v_lshl_add_u64 v[10:11], v[2:3], 3, s[14:15]
	s_waitcnt lgkmcnt(1)
	v_add_u32_e32 v4, v5, v4
	s_waitcnt lgkmcnt(0)
	v_add3_u32 v4, v4, v6, v7
	v_mov_b32_e32 v5, v3
	global_atomic_add_x2 v[10:11], v[4:5], off
	s_branch .LBB137_40
.LBB137_43:
	s_mov_b64 s[0:1], 0
.LBB137_44:
	s_and_b64 vcc, exec, s[0:1]
	s_cbranch_vccz .LBB137_68
; %bb.45:
	v_mov_b32_e32 v9, 0
	s_waitcnt vmcnt(0)
	v_lshl_add_u64 v[2:3], s[12:13], 0, v[8:9]
	v_add_co_u32_e32 v12, vcc, 0x1000, v2
	s_cmp_eq_u32 s20, 0
	s_nop 0
	v_addc_co_u32_e32 v13, vcc, 0, v3, vcc
	v_add_co_u32_e32 v14, vcc, 0x2000, v2
	s_cselect_b64 s[0:1], -1, 0
	s_nop 0
	v_addc_co_u32_e32 v15, vcc, 0, v3, vcc
	v_add_co_u32_e32 v16, vcc, 0x3000, v2
	s_cmp_eq_u32 s21, 32
	s_nop 0
	v_addc_co_u32_e32 v17, vcc, 0, v3, vcc
	v_add_co_u32_e32 v18, vcc, 0x4000, v2
	s_cselect_b64 s[2:3], -1, 0
	s_nop 0
	v_addc_co_u32_e32 v19, vcc, 0, v3, vcc
	v_add_co_u32_e32 v2, vcc, 0x5000, v2
	s_and_b64 s[2:3], s[0:1], s[2:3]
	s_nop 0
	v_addc_co_u32_e32 v3, vcc, 0, v3, vcc
	global_load_dword v11, v8, s[12:13]
	global_load_dword v10, v[12:13], off
	global_load_dword v7, v[14:15], off
	;; [unrolled: 1-line block ×5, first 2 shown]
	s_mov_b64 s[0:1], -1
	s_and_b64 vcc, exec, s[2:3]
	s_cbranch_vccnz .LBB137_65
; %bb.46:
	s_cmp_gt_u32 s21, s20
	s_cselect_b64 s[0:1], -1, 0
	s_and_b64 vcc, exec, s[0:1]
	ds_write2st64_b32 v8, v9, v9 offset1:16
	ds_write2st64_b32 v8, v9, v9 offset0:32 offset1:48
	s_waitcnt lgkmcnt(0)
	s_barrier
	s_cbranch_vccz .LBB137_59
; %bb.47:
	v_bfrev_b32_e32 v2, 1
	s_waitcnt vmcnt(5)
	v_cmp_lt_i32_e32 vcc, -1, v11
	v_and_b32_e32 v1, 3, v0
	s_brev_b32 s2, -2
	v_cndmask_b32_e32 v3, -1, v2, vcc
	v_xor_b32_e32 v3, v3, v11
	v_cmp_ne_u32_e32 vcc, s2, v3
	v_lshlrev_b32_e32 v1, 2, v1
	s_sub_i32 s2, s21, s20
	v_cndmask_b32_e32 v2, v2, v3, vcc
	v_mov_b32_e32 v3, 1
	s_mov_b32 s3, s2
	v_mov_b32_e32 v9, v1
	s_mov_b32 s4, s20
.LBB137_48:                             ; =>This Inner Loop Header: Depth=1
	s_min_u32 s5, s3, 8
	v_lshrrev_b32_e32 v12, s4, v2
	v_bfe_u32 v12, v12, 0, s5
	v_lshl_add_u32 v12, v12, 4, v9
	ds_add_u32 v12, v3
	s_add_i32 s4, s4, 8
	s_add_i32 s3, s3, -8
	s_cmp_ge_u32 s4, s21
	v_add_u32_e32 v9, 0x1000, v9
	s_cbranch_scc0 .LBB137_48
; %bb.49:
	v_bfrev_b32_e32 v2, 1
	s_waitcnt vmcnt(4)
	v_cmp_lt_i32_e32 vcc, -1, v10
	s_brev_b32 s3, -2
	v_mov_b32_e32 v9, v1
	v_cndmask_b32_e32 v3, -1, v2, vcc
	v_xor_b32_e32 v3, v3, v10
	v_cmp_ne_u32_e32 vcc, s3, v3
	s_mov_b32 s3, s2
	s_mov_b32 s4, s20
	v_cndmask_b32_e32 v2, v2, v3, vcc
	v_mov_b32_e32 v3, 1
.LBB137_50:                             ; =>This Inner Loop Header: Depth=1
	s_min_u32 s5, s3, 8
	v_lshrrev_b32_e32 v12, s4, v2
	v_bfe_u32 v12, v12, 0, s5
	v_lshl_add_u32 v12, v12, 4, v9
	ds_add_u32 v12, v3
	s_add_i32 s4, s4, 8
	s_add_i32 s3, s3, -8
	s_cmp_lt_u32 s4, s21
	v_add_u32_e32 v9, 0x1000, v9
	s_cbranch_scc1 .LBB137_50
; %bb.51:
	v_bfrev_b32_e32 v2, 1
	s_waitcnt vmcnt(3)
	v_cmp_lt_i32_e32 vcc, -1, v7
	s_brev_b32 s3, -2
	v_mov_b32_e32 v9, v1
	v_cndmask_b32_e32 v3, -1, v2, vcc
	v_xor_b32_e32 v3, v3, v7
	v_cmp_ne_u32_e32 vcc, s3, v3
	s_mov_b32 s3, s2
	s_mov_b32 s4, s20
	v_cndmask_b32_e32 v2, v2, v3, vcc
	v_mov_b32_e32 v3, 1
.LBB137_52:                             ; =>This Inner Loop Header: Depth=1
	s_min_u32 s5, s3, 8
	v_lshrrev_b32_e32 v12, s4, v2
	v_bfe_u32 v12, v12, 0, s5
	v_lshl_add_u32 v12, v12, 4, v9
	ds_add_u32 v12, v3
	s_add_i32 s4, s4, 8
	s_add_i32 s3, s3, -8
	s_cmp_lt_u32 s4, s21
	v_add_u32_e32 v9, 0x1000, v9
	s_cbranch_scc1 .LBB137_52
	;; [unrolled: 24-line block ×4, first 2 shown]
; %bb.57:
	v_bfrev_b32_e32 v2, 1
	s_waitcnt vmcnt(0)
	v_cmp_lt_i32_e32 vcc, -1, v5
	s_brev_b32 s3, -2
	s_nop 0
	v_cndmask_b32_e32 v3, -1, v2, vcc
	v_xor_b32_e32 v3, v3, v5
	v_cmp_ne_u32_e32 vcc, s3, v3
	s_mov_b32 s3, s20
	s_nop 0
	v_cndmask_b32_e32 v2, v2, v3, vcc
	v_mov_b32_e32 v3, 1
.LBB137_58:                             ; =>This Inner Loop Header: Depth=1
	s_min_u32 s4, s2, 8
	v_lshrrev_b32_e32 v9, s3, v2
	v_bfe_u32 v9, v9, 0, s4
	v_lshl_add_u32 v9, v9, 4, v1
	ds_add_u32 v9, v3
	s_add_i32 s3, s3, 8
	s_add_i32 s2, s2, -8
	s_cmp_lt_u32 s3, s21
	v_add_u32_e32 v1, 0x1000, v1
	s_cbranch_scc1 .LBB137_58
.LBB137_59:
	s_and_b64 vcc, exec, s[0:1]
	s_waitcnt lgkmcnt(0)
	s_barrier
	s_cbranch_vccz .LBB137_64
; %bb.60:
	s_movk_i32 s0, 0x100
	v_cmp_gt_u32_e32 vcc, s0, v0
	v_lshlrev_b32_e32 v1, 4, v0
	v_mov_b32_e32 v3, 0
	v_mov_b32_e32 v2, v0
	s_branch .LBB137_62
.LBB137_61:                             ;   in Loop: Header=BB137_62 Depth=1
	s_or_b64 exec, exec, s[0:1]
	s_add_i32 s20, s20, 8
	v_add_u32_e32 v2, 0x100, v2
	s_cmp_ge_u32 s20, s21
	v_add_u32_e32 v1, 0x1000, v1
	s_cbranch_scc1 .LBB137_64
.LBB137_62:                             ; =>This Inner Loop Header: Depth=1
	s_and_saveexec_b64 s[0:1], vcc
	s_cbranch_execz .LBB137_61
; %bb.63:                               ;   in Loop: Header=BB137_62 Depth=1
	ds_read2_b32 v[12:13], v1 offset1:1
	ds_read2_b32 v[14:15], v1 offset0:2 offset1:3
	v_lshl_add_u64 v[16:17], v[2:3], 3, s[14:15]
	s_waitcnt lgkmcnt(1)
	v_add_u32_e32 v9, v13, v12
	s_waitcnt lgkmcnt(0)
	v_add3_u32 v12, v9, v14, v15
	v_mov_b32_e32 v13, v3
	global_atomic_add_x2 v[16:17], v[12:13], off
	s_branch .LBB137_61
.LBB137_64:
	s_mov_b64 s[0:1], 0
.LBB137_65:
	s_and_b64 vcc, exec, s[0:1]
	s_cbranch_vccz .LBB137_68
; %bb.66:
	v_bfrev_b32_e32 v2, 1
	s_waitcnt vmcnt(5)
	v_cmp_lt_i32_e32 vcc, -1, v11
	v_mov_b32_e32 v1, 0
	ds_write2st64_b32 v8, v1, v1 offset1:16
	ds_write2st64_b32 v8, v1, v1 offset0:32 offset1:48
	v_cndmask_b32_e32 v3, -1, v2, vcc
	s_waitcnt vmcnt(4)
	v_cmp_lt_i32_e32 vcc, -1, v10
	v_xor_b32_e32 v3, v3, v11
	s_brev_b32 s0, -2
	v_cndmask_b32_e32 v8, -1, v2, vcc
	s_waitcnt vmcnt(3)
	v_cmp_lt_i32_e32 vcc, -1, v7
	v_xor_b32_e32 v8, v8, v10
	s_movk_i32 s1, 0xff0
	v_cndmask_b32_e32 v9, -1, v2, vcc
	s_waitcnt vmcnt(2)
	v_cmp_lt_i32_e32 vcc, -1, v6
	v_xor_b32_e32 v7, v9, v7
	v_mov_b32_e32 v11, 1
	v_cndmask_b32_e32 v9, -1, v2, vcc
	s_waitcnt vmcnt(1)
	v_cmp_lt_i32_e32 vcc, -1, v4
	v_xor_b32_e32 v6, v9, v6
	s_waitcnt lgkmcnt(0)
	v_cndmask_b32_e32 v9, -1, v2, vcc
	s_waitcnt vmcnt(0)
	v_cmp_lt_i32_e32 vcc, -1, v5
	v_xor_b32_e32 v4, v9, v4
	s_barrier
	v_cndmask_b32_e32 v9, -1, v2, vcc
	v_cmp_ne_u32_e32 vcc, s0, v3
	v_xor_b32_e32 v5, v9, v5
	v_and_b32_e32 v9, 3, v0
	v_cndmask_b32_e32 v3, v2, v3, vcc
	v_lshlrev_b32_e32 v10, 4, v3
	v_lshlrev_b32_e32 v9, 2, v9
	v_and_or_b32 v10, v10, s1, v9
	ds_add_u32 v10, v11
	v_bfe_u32 v10, v3, 8, 8
	v_lshl_or_b32 v10, v10, 4, v9
	ds_add_u32 v10, v11 offset:4096
	v_bfe_u32 v10, v3, 16, 8
	v_lshl_or_b32 v10, v10, 4, v9
	v_lshrrev_b32_e32 v3, 24, v3
	ds_add_u32 v10, v11 offset:8192
	v_lshl_or_b32 v3, v3, 4, v9
	v_cmp_ne_u32_e32 vcc, s0, v8
	ds_add_u32 v3, v11 offset:12288
	s_nop 0
	v_cndmask_b32_e32 v3, v2, v8, vcc
	v_lshlrev_b32_e32 v8, 4, v3
	v_and_or_b32 v8, v8, s1, v9
	ds_add_u32 v8, v11
	v_bfe_u32 v8, v3, 8, 8
	v_lshl_or_b32 v8, v8, 4, v9
	ds_add_u32 v8, v11 offset:4096
	v_bfe_u32 v8, v3, 16, 8
	v_lshl_or_b32 v8, v8, 4, v9
	v_lshrrev_b32_e32 v3, 24, v3
	ds_add_u32 v8, v11 offset:8192
	v_lshl_or_b32 v3, v3, 4, v9
	v_cmp_ne_u32_e32 vcc, s0, v7
	ds_add_u32 v3, v11 offset:12288
	s_nop 0
	v_cndmask_b32_e32 v3, v2, v7, vcc
	v_lshlrev_b32_e32 v7, 4, v3
	v_and_or_b32 v7, v7, s1, v9
	ds_add_u32 v7, v11
	v_bfe_u32 v7, v3, 8, 8
	v_lshl_or_b32 v7, v7, 4, v9
	ds_add_u32 v7, v11 offset:4096
	v_bfe_u32 v7, v3, 16, 8
	v_lshl_or_b32 v7, v7, 4, v9
	v_lshrrev_b32_e32 v3, 24, v3
	ds_add_u32 v7, v11 offset:8192
	v_lshl_or_b32 v3, v3, 4, v9
	v_cmp_ne_u32_e32 vcc, s0, v6
	ds_add_u32 v3, v11 offset:12288
	s_nop 0
	v_cndmask_b32_e32 v3, v2, v6, vcc
	v_lshlrev_b32_e32 v6, 4, v3
	v_and_or_b32 v6, v6, s1, v9
	ds_add_u32 v6, v11
	v_bfe_u32 v6, v3, 8, 8
	v_lshl_or_b32 v6, v6, 4, v9
	ds_add_u32 v6, v11 offset:4096
	v_bfe_u32 v6, v3, 16, 8
	v_lshl_or_b32 v6, v6, 4, v9
	v_lshrrev_b32_e32 v3, 24, v3
	ds_add_u32 v6, v11 offset:8192
	v_lshl_or_b32 v3, v3, 4, v9
	v_cmp_ne_u32_e32 vcc, s0, v4
	ds_add_u32 v3, v11 offset:12288
	s_nop 0
	v_cndmask_b32_e32 v3, v2, v4, vcc
	v_lshlrev_b32_e32 v4, 4, v3
	v_and_or_b32 v4, v4, s1, v9
	ds_add_u32 v4, v11
	v_bfe_u32 v4, v3, 8, 8
	v_lshl_or_b32 v4, v4, 4, v9
	ds_add_u32 v4, v11 offset:4096
	v_bfe_u32 v4, v3, 16, 8
	v_lshl_or_b32 v4, v4, 4, v9
	v_lshrrev_b32_e32 v3, 24, v3
	v_cmp_ne_u32_e32 vcc, s0, v5
	ds_add_u32 v4, v11 offset:8192
	v_lshl_or_b32 v3, v3, 4, v9
	v_cndmask_b32_e32 v2, v2, v5, vcc
	ds_add_u32 v3, v11 offset:12288
	v_lshlrev_b32_e32 v3, 4, v2
	v_and_or_b32 v3, v3, s1, v9
	ds_add_u32 v3, v11
	v_bfe_u32 v3, v2, 8, 8
	v_lshl_or_b32 v3, v3, 4, v9
	ds_add_u32 v3, v11 offset:4096
	v_bfe_u32 v3, v2, 16, 8
	v_lshl_or_b32 v3, v3, 4, v9
	v_lshrrev_b32_e32 v2, 24, v2
	ds_add_u32 v3, v11 offset:8192
	v_lshl_or_b32 v2, v2, 4, v9
	ds_add_u32 v2, v11 offset:12288
	s_movk_i32 s0, 0x100
	v_cmp_gt_u32_e32 vcc, s0, v0
	s_waitcnt lgkmcnt(0)
	s_barrier
	s_and_saveexec_b64 s[0:1], vcc
	s_cbranch_execz .LBB137_68
; %bb.67:
	v_lshlrev_b32_e32 v8, 4, v0
	ds_read2_b32 v[2:3], v8 offset1:1
	ds_read2_b32 v[4:5], v8 offset0:2 offset1:3
	v_lshlrev_b32_e32 v0, 3, v0
	v_mov_b32_e32 v7, v1
	v_add_u32_e32 v9, 0x1000, v8
	s_waitcnt lgkmcnt(1)
	v_add_u32_e32 v2, v3, v2
	s_waitcnt lgkmcnt(0)
	v_add3_u32 v6, v2, v4, v5
	global_atomic_add_x2 v0, v[6:7], s[14:15]
	v_add_u32_e32 v4, 0x1008, v8
	ds_read2_b32 v[2:3], v9 offset1:1
	ds_read2_b32 v[4:5], v4 offset1:1
	v_add_u32_e32 v9, 0x2000, v8
	s_movk_i32 s0, 0x1000
	s_waitcnt lgkmcnt(1)
	v_add_u32_e32 v2, v3, v2
	s_waitcnt lgkmcnt(0)
	v_add3_u32 v6, v2, v4, v5
	global_atomic_add_x2 v0, v[6:7], s[14:15] offset:2048
	v_add_u32_e32 v4, 0x2008, v8
	ds_read2_b32 v[2:3], v9 offset1:1
	ds_read2_b32 v[4:5], v4 offset1:1
	v_lshl_add_u64 v[6:7], s[14:15], 0, v[0:1]
	s_waitcnt lgkmcnt(1)
	v_add_u32_e32 v0, v3, v2
	v_add_co_u32_e32 v2, vcc, s0, v6
	s_waitcnt lgkmcnt(0)
	v_add3_u32 v0, v0, v4, v5
	v_addc_co_u32_e32 v3, vcc, 0, v7, vcc
	global_atomic_add_x2 v[2:3], v[0:1], off
	v_add_u32_e32 v0, 0x3000, v8
	v_add_u32_e32 v6, 0x3008, v8
	ds_read2_b32 v[4:5], v0 offset1:1
	ds_read2_b32 v[6:7], v6 offset1:1
	s_waitcnt lgkmcnt(1)
	v_add_u32_e32 v0, v5, v4
	s_waitcnt lgkmcnt(0)
	v_add3_u32 v0, v0, v6, v7
	global_atomic_add_x2 v[2:3], v[0:1], off offset:2048
.LBB137_68:
	s_endpgm
	.section	.rodata,"a",@progbits
	.p2align	6, 0x0
	.amdhsa_kernel _ZN7rocprim17ROCPRIM_304000_NS6detail26onesweep_histograms_kernelINS1_34wrapped_radix_sort_onesweep_configINS0_14default_configEfN2at4cuda3cub6detail10OpaqueTypeILi8EEEEELb0EPKfmNS0_19identity_decomposerEEEvT1_PT2_SG_SG_T3_jj
		.amdhsa_group_segment_fixed_size 16384
		.amdhsa_private_segment_fixed_size 0
		.amdhsa_kernarg_size 44
		.amdhsa_user_sgpr_count 2
		.amdhsa_user_sgpr_dispatch_ptr 0
		.amdhsa_user_sgpr_queue_ptr 0
		.amdhsa_user_sgpr_kernarg_segment_ptr 1
		.amdhsa_user_sgpr_dispatch_id 0
		.amdhsa_user_sgpr_kernarg_preload_length 0
		.amdhsa_user_sgpr_kernarg_preload_offset 0
		.amdhsa_user_sgpr_private_segment_size 0
		.amdhsa_uses_dynamic_stack 0
		.amdhsa_enable_private_segment 0
		.amdhsa_system_sgpr_workgroup_id_x 1
		.amdhsa_system_sgpr_workgroup_id_y 0
		.amdhsa_system_sgpr_workgroup_id_z 0
		.amdhsa_system_sgpr_workgroup_info 0
		.amdhsa_system_vgpr_workitem_id 0
		.amdhsa_next_free_vgpr 20
		.amdhsa_next_free_sgpr 26
		.amdhsa_accum_offset 20
		.amdhsa_reserve_vcc 1
		.amdhsa_float_round_mode_32 0
		.amdhsa_float_round_mode_16_64 0
		.amdhsa_float_denorm_mode_32 3
		.amdhsa_float_denorm_mode_16_64 3
		.amdhsa_dx10_clamp 1
		.amdhsa_ieee_mode 1
		.amdhsa_fp16_overflow 0
		.amdhsa_tg_split 0
		.amdhsa_exception_fp_ieee_invalid_op 0
		.amdhsa_exception_fp_denorm_src 0
		.amdhsa_exception_fp_ieee_div_zero 0
		.amdhsa_exception_fp_ieee_overflow 0
		.amdhsa_exception_fp_ieee_underflow 0
		.amdhsa_exception_fp_ieee_inexact 0
		.amdhsa_exception_int_div_zero 0
	.end_amdhsa_kernel
	.section	.text._ZN7rocprim17ROCPRIM_304000_NS6detail26onesweep_histograms_kernelINS1_34wrapped_radix_sort_onesweep_configINS0_14default_configEfN2at4cuda3cub6detail10OpaqueTypeILi8EEEEELb0EPKfmNS0_19identity_decomposerEEEvT1_PT2_SG_SG_T3_jj,"axG",@progbits,_ZN7rocprim17ROCPRIM_304000_NS6detail26onesweep_histograms_kernelINS1_34wrapped_radix_sort_onesweep_configINS0_14default_configEfN2at4cuda3cub6detail10OpaqueTypeILi8EEEEELb0EPKfmNS0_19identity_decomposerEEEvT1_PT2_SG_SG_T3_jj,comdat
.Lfunc_end137:
	.size	_ZN7rocprim17ROCPRIM_304000_NS6detail26onesweep_histograms_kernelINS1_34wrapped_radix_sort_onesweep_configINS0_14default_configEfN2at4cuda3cub6detail10OpaqueTypeILi8EEEEELb0EPKfmNS0_19identity_decomposerEEEvT1_PT2_SG_SG_T3_jj, .Lfunc_end137-_ZN7rocprim17ROCPRIM_304000_NS6detail26onesweep_histograms_kernelINS1_34wrapped_radix_sort_onesweep_configINS0_14default_configEfN2at4cuda3cub6detail10OpaqueTypeILi8EEEEELb0EPKfmNS0_19identity_decomposerEEEvT1_PT2_SG_SG_T3_jj
                                        ; -- End function
	.set _ZN7rocprim17ROCPRIM_304000_NS6detail26onesweep_histograms_kernelINS1_34wrapped_radix_sort_onesweep_configINS0_14default_configEfN2at4cuda3cub6detail10OpaqueTypeILi8EEEEELb0EPKfmNS0_19identity_decomposerEEEvT1_PT2_SG_SG_T3_jj.num_vgpr, 20
	.set _ZN7rocprim17ROCPRIM_304000_NS6detail26onesweep_histograms_kernelINS1_34wrapped_radix_sort_onesweep_configINS0_14default_configEfN2at4cuda3cub6detail10OpaqueTypeILi8EEEEELb0EPKfmNS0_19identity_decomposerEEEvT1_PT2_SG_SG_T3_jj.num_agpr, 0
	.set _ZN7rocprim17ROCPRIM_304000_NS6detail26onesweep_histograms_kernelINS1_34wrapped_radix_sort_onesweep_configINS0_14default_configEfN2at4cuda3cub6detail10OpaqueTypeILi8EEEEELb0EPKfmNS0_19identity_decomposerEEEvT1_PT2_SG_SG_T3_jj.numbered_sgpr, 26
	.set _ZN7rocprim17ROCPRIM_304000_NS6detail26onesweep_histograms_kernelINS1_34wrapped_radix_sort_onesweep_configINS0_14default_configEfN2at4cuda3cub6detail10OpaqueTypeILi8EEEEELb0EPKfmNS0_19identity_decomposerEEEvT1_PT2_SG_SG_T3_jj.num_named_barrier, 0
	.set _ZN7rocprim17ROCPRIM_304000_NS6detail26onesweep_histograms_kernelINS1_34wrapped_radix_sort_onesweep_configINS0_14default_configEfN2at4cuda3cub6detail10OpaqueTypeILi8EEEEELb0EPKfmNS0_19identity_decomposerEEEvT1_PT2_SG_SG_T3_jj.private_seg_size, 0
	.set _ZN7rocprim17ROCPRIM_304000_NS6detail26onesweep_histograms_kernelINS1_34wrapped_radix_sort_onesweep_configINS0_14default_configEfN2at4cuda3cub6detail10OpaqueTypeILi8EEEEELb0EPKfmNS0_19identity_decomposerEEEvT1_PT2_SG_SG_T3_jj.uses_vcc, 1
	.set _ZN7rocprim17ROCPRIM_304000_NS6detail26onesweep_histograms_kernelINS1_34wrapped_radix_sort_onesweep_configINS0_14default_configEfN2at4cuda3cub6detail10OpaqueTypeILi8EEEEELb0EPKfmNS0_19identity_decomposerEEEvT1_PT2_SG_SG_T3_jj.uses_flat_scratch, 0
	.set _ZN7rocprim17ROCPRIM_304000_NS6detail26onesweep_histograms_kernelINS1_34wrapped_radix_sort_onesweep_configINS0_14default_configEfN2at4cuda3cub6detail10OpaqueTypeILi8EEEEELb0EPKfmNS0_19identity_decomposerEEEvT1_PT2_SG_SG_T3_jj.has_dyn_sized_stack, 0
	.set _ZN7rocprim17ROCPRIM_304000_NS6detail26onesweep_histograms_kernelINS1_34wrapped_radix_sort_onesweep_configINS0_14default_configEfN2at4cuda3cub6detail10OpaqueTypeILi8EEEEELb0EPKfmNS0_19identity_decomposerEEEvT1_PT2_SG_SG_T3_jj.has_recursion, 0
	.set _ZN7rocprim17ROCPRIM_304000_NS6detail26onesweep_histograms_kernelINS1_34wrapped_radix_sort_onesweep_configINS0_14default_configEfN2at4cuda3cub6detail10OpaqueTypeILi8EEEEELb0EPKfmNS0_19identity_decomposerEEEvT1_PT2_SG_SG_T3_jj.has_indirect_call, 0
	.section	.AMDGPU.csdata,"",@progbits
; Kernel info:
; codeLenInByte = 3380
; TotalNumSgprs: 32
; NumVgprs: 20
; NumAgprs: 0
; TotalNumVgprs: 20
; ScratchSize: 0
; MemoryBound: 0
; FloatMode: 240
; IeeeMode: 1
; LDSByteSize: 16384 bytes/workgroup (compile time only)
; SGPRBlocks: 3
; VGPRBlocks: 2
; NumSGPRsForWavesPerEU: 32
; NumVGPRsForWavesPerEU: 20
; AccumOffset: 20
; Occupancy: 8
; WaveLimiterHint : 1
; COMPUTE_PGM_RSRC2:SCRATCH_EN: 0
; COMPUTE_PGM_RSRC2:USER_SGPR: 2
; COMPUTE_PGM_RSRC2:TRAP_HANDLER: 0
; COMPUTE_PGM_RSRC2:TGID_X_EN: 1
; COMPUTE_PGM_RSRC2:TGID_Y_EN: 0
; COMPUTE_PGM_RSRC2:TGID_Z_EN: 0
; COMPUTE_PGM_RSRC2:TIDIG_COMP_CNT: 0
; COMPUTE_PGM_RSRC3_GFX90A:ACCUM_OFFSET: 4
; COMPUTE_PGM_RSRC3_GFX90A:TG_SPLIT: 0
	.section	.text._ZN7rocprim17ROCPRIM_304000_NS6detail25onesweep_iteration_kernelINS1_34wrapped_radix_sort_onesweep_configINS0_14default_configEfN2at4cuda3cub6detail10OpaqueTypeILi8EEEEELb0EPKfPfPKSA_PSA_mNS0_19identity_decomposerEEEvT1_T2_T3_T4_jPT5_SO_PNS1_23onesweep_lookback_stateET6_jjj,"axG",@progbits,_ZN7rocprim17ROCPRIM_304000_NS6detail25onesweep_iteration_kernelINS1_34wrapped_radix_sort_onesweep_configINS0_14default_configEfN2at4cuda3cub6detail10OpaqueTypeILi8EEEEELb0EPKfPfPKSA_PSA_mNS0_19identity_decomposerEEEvT1_T2_T3_T4_jPT5_SO_PNS1_23onesweep_lookback_stateET6_jjj,comdat
	.protected	_ZN7rocprim17ROCPRIM_304000_NS6detail25onesweep_iteration_kernelINS1_34wrapped_radix_sort_onesweep_configINS0_14default_configEfN2at4cuda3cub6detail10OpaqueTypeILi8EEEEELb0EPKfPfPKSA_PSA_mNS0_19identity_decomposerEEEvT1_T2_T3_T4_jPT5_SO_PNS1_23onesweep_lookback_stateET6_jjj ; -- Begin function _ZN7rocprim17ROCPRIM_304000_NS6detail25onesweep_iteration_kernelINS1_34wrapped_radix_sort_onesweep_configINS0_14default_configEfN2at4cuda3cub6detail10OpaqueTypeILi8EEEEELb0EPKfPfPKSA_PSA_mNS0_19identity_decomposerEEEvT1_T2_T3_T4_jPT5_SO_PNS1_23onesweep_lookback_stateET6_jjj
	.globl	_ZN7rocprim17ROCPRIM_304000_NS6detail25onesweep_iteration_kernelINS1_34wrapped_radix_sort_onesweep_configINS0_14default_configEfN2at4cuda3cub6detail10OpaqueTypeILi8EEEEELb0EPKfPfPKSA_PSA_mNS0_19identity_decomposerEEEvT1_T2_T3_T4_jPT5_SO_PNS1_23onesweep_lookback_stateET6_jjj
	.p2align	8
	.type	_ZN7rocprim17ROCPRIM_304000_NS6detail25onesweep_iteration_kernelINS1_34wrapped_radix_sort_onesweep_configINS0_14default_configEfN2at4cuda3cub6detail10OpaqueTypeILi8EEEEELb0EPKfPfPKSA_PSA_mNS0_19identity_decomposerEEEvT1_T2_T3_T4_jPT5_SO_PNS1_23onesweep_lookback_stateET6_jjj,@function
_ZN7rocprim17ROCPRIM_304000_NS6detail25onesweep_iteration_kernelINS1_34wrapped_radix_sort_onesweep_configINS0_14default_configEfN2at4cuda3cub6detail10OpaqueTypeILi8EEEEELb0EPKfPfPKSA_PSA_mNS0_19identity_decomposerEEEvT1_T2_T3_T4_jPT5_SO_PNS1_23onesweep_lookback_stateET6_jjj: ; @_ZN7rocprim17ROCPRIM_304000_NS6detail25onesweep_iteration_kernelINS1_34wrapped_radix_sort_onesweep_configINS0_14default_configEfN2at4cuda3cub6detail10OpaqueTypeILi8EEEEELb0EPKfPfPKSA_PSA_mNS0_19identity_decomposerEEEvT1_T2_T3_T4_jPT5_SO_PNS1_23onesweep_lookback_stateET6_jjj
; %bb.0:
	s_load_dwordx4 s[48:51], s[0:1], 0x44
	s_load_dwordx8 s[36:43], s[0:1], 0x0
	s_load_dwordx4 s[44:47], s[0:1], 0x28
	s_load_dwordx2 s[34:35], s[0:1], 0x38
	s_mov_b64 s[4:5], -1
	s_waitcnt lgkmcnt(0)
	s_cmp_ge_u32 s2, s50
	s_mul_i32 s30, s2, 0x1800
	v_mbcnt_lo_u32_b32 v1, -1, 0
	s_cbranch_scc0 .LBB138_96
; %bb.1:
	s_load_dword s3, s[0:1], 0x20
	s_mul_i32 s33, s50, 0xffffe800
	s_mov_b32 s31, 0
	s_lshl_b64 s[4:5], s[30:31], 2
	v_mbcnt_hi_u32_b32 v9, -1, v1
	s_waitcnt lgkmcnt(0)
	s_add_i32 s33, s33, s3
	s_add_u32 s4, s36, s4
	v_and_b32_e32 v2, 0x3c0, v0
	s_addc_u32 s5, s37, s5
	v_mul_u32_u24_e32 v18, 6, v2
	v_mov_b32_e32 v3, 0
	v_lshlrev_b32_e32 v2, 2, v9
	v_lshl_add_u64 v[4:5], s[4:5], 0, v[2:3]
	v_lshlrev_b32_e32 v2, 2, v18
	v_lshl_add_u64 v[10:11], v[4:5], 0, v[2:3]
	v_or_b32_e32 v12, v9, v18
	v_bfrev_b32_e32 v2, -2
	v_cmp_gt_u32_e32 vcc, s33, v12
	v_mov_b32_e32 v3, v2
	v_mov_b32_e32 v4, v2
	v_mov_b32_e32 v5, v2
	v_mov_b32_e32 v6, v2
	v_mov_b32_e32 v7, v2
	s_and_saveexec_b64 s[4:5], vcc
	s_cbranch_execz .LBB138_3
; %bb.2:
	global_load_dword v20, v[10:11], off
	v_mov_b32_e32 v21, v2
	v_mov_b32_e32 v22, v2
	;; [unrolled: 1-line block ×5, first 2 shown]
	s_waitcnt vmcnt(0)
	v_mov_b64_e32 v[2:3], v[20:21]
	v_mov_b64_e32 v[4:5], v[22:23]
	;; [unrolled: 1-line block ×3, first 2 shown]
.LBB138_3:
	s_or_b64 exec, exec, s[4:5]
	v_add_u32_e32 v8, 64, v12
	v_cmp_gt_u32_e64 s[26:27], s33, v8
	s_and_saveexec_b64 s[4:5], s[26:27]
	s_cbranch_execz .LBB138_5
; %bb.4:
	global_load_dword v3, v[10:11], off offset:256
.LBB138_5:
	s_or_b64 exec, exec, s[4:5]
	v_add_u32_e32 v8, 0x80, v12
	v_cmp_gt_u32_e64 s[4:5], s33, v8
	s_and_saveexec_b64 s[6:7], s[4:5]
	s_cbranch_execz .LBB138_7
; %bb.6:
	global_load_dword v4, v[10:11], off offset:512
.LBB138_7:
	;; [unrolled: 8-line block ×4, first 2 shown]
	s_or_b64 exec, exec, s[10:11]
	v_add_u32_e32 v12, 0x140, v12
	v_and_b32_e32 v8, 0x3ff, v0
	v_cmp_gt_u32_e64 s[10:11], s33, v12
	s_and_saveexec_b64 s[12:13], s[10:11]
	s_cbranch_execz .LBB138_13
; %bb.12:
	global_load_dword v7, v[10:11], off offset:1280
.LBB138_13:
	s_or_b64 exec, exec, s[12:13]
	s_load_dword s12, s[0:1], 0x5c
	s_load_dword s3, s[0:1], 0x50
	s_add_u32 s13, s0, 0x50
	s_addc_u32 s14, s1, 0
	v_mov_b32_e32 v11, 0
	s_waitcnt lgkmcnt(0)
	s_lshr_b32 s15, s12, 16
	s_cmp_lt_u32 s2, s3
	s_cselect_b32 s12, 12, 18
	s_add_u32 s12, s13, s12
	s_addc_u32 s13, s14, 0
	global_load_ushort v30, v11, s[12:13]
	v_bfrev_b32_e32 v19, 1
	v_cmp_lt_i32_e64 s[12:13], -1, v2
	s_brev_b32 s28, -2
	v_bfe_u32 v10, v0, 10, 10
	v_cndmask_b32_e64 v15, -1, v19, s[12:13]
	v_xor_b32_e32 v15, v15, v2
	v_cmp_ne_u32_e64 s[12:13], s28, v15
	v_bfe_u32 v13, v0, 20, 10
	v_mad_u32_u24 v31, v13, s15, v10
	v_cndmask_b32_e64 v2, v19, v15, s[12:13]
	v_lshrrev_b32_e32 v2, s48, v2
	s_lshl_b32 s12, -1, s49
	v_bitop3_b32 v2, v2, s12, v2 bitop3:0x30
	v_and_b32_e32 v10, 1, v2
	v_lshlrev_b32_e32 v13, 30, v2
	v_mov_b32_e32 v12, v11
	v_mov_b32_e32 v20, v11
	s_not_b32 s52, s12
	v_lshlrev_b32_e32 v17, 29, v2
	v_lshlrev_b32_e32 v21, 28, v2
	v_lshl_add_u64 v[28:29], v[10:11], 0, -1
	v_cmp_ne_u32_e64 s[12:13], 0, v10
	v_not_b32_e32 v10, v13
	v_mov_b32_e32 v16, v11
	v_mov_b32_e32 v22, v11
	v_lshlrev_b32_e32 v23, 27, v2
	v_cmp_gt_i64_e64 s[14:15], 0, v[12:13]
	v_not_b32_e32 v12, v17
	v_cmp_gt_i64_e64 s[18:19], 0, v[20:21]
	v_xor_b32_e32 v20, s13, v29
	v_ashrrev_i32_e32 v10, 31, v10
	v_cmp_gt_i64_e64 s[16:17], 0, v[16:17]
	v_not_b32_e32 v13, v21
	v_cmp_gt_i64_e64 s[20:21], 0, v[22:23]
	v_xor_b32_e32 v21, s12, v28
	v_ashrrev_i32_e32 v12, 31, v12
	v_and_b32_e32 v20, exec_hi, v20
	v_xor_b32_e32 v22, s15, v10
	v_mov_b32_e32 v24, v11
	v_lshlrev_b32_e32 v25, 26, v2
	v_not_b32_e32 v16, v23
	v_ashrrev_i32_e32 v13, 31, v13
	v_and_b32_e32 v21, exec_lo, v21
	v_xor_b32_e32 v10, s14, v10
	v_xor_b32_e32 v23, s17, v12
	v_and_b32_e32 v20, v20, v22
	v_cmp_gt_i64_e64 s[22:23], 0, v[24:25]
	v_not_b32_e32 v17, v25
	v_ashrrev_i32_e32 v16, 31, v16
	v_xor_b32_e32 v12, s16, v12
	v_xor_b32_e32 v24, s19, v13
	v_and_b32_e32 v10, v21, v10
	v_and_b32_e32 v20, v20, v23
	v_mov_b32_e32 v26, v11
	v_lshlrev_b32_e32 v27, 25, v2
	v_ashrrev_i32_e32 v17, 31, v17
	v_xor_b32_e32 v13, s18, v13
	v_xor_b32_e32 v25, s21, v16
	v_and_b32_e32 v10, v10, v12
	v_and_b32_e32 v12, v20, v24
	v_cmp_gt_i64_e64 s[24:25], 0, v[26:27]
	v_xor_b32_e32 v16, s20, v16
	v_xor_b32_e32 v26, s23, v17
	v_and_b32_e32 v10, v10, v13
	v_and_b32_e32 v12, v12, v25
	;; [unrolled: 1-line block ×4, first 2 shown]
	v_xor_b32_e32 v17, s22, v17
	s_movk_i32 s29, 0x44
	v_and_b32_e32 v10, v10, v17
	v_mul_lo_u32 v32, v2, s29
	v_mul_u32_u24_e32 v14, 20, v8
	ds_write2_b32 v14, v11, v11 offset0:16 offset1:17
	ds_write2_b32 v14, v11, v11 offset0:18 offset1:19
	ds_write_b32 v14, v11 offset:80
	s_waitcnt lgkmcnt(0)
	s_barrier
	s_waitcnt vmcnt(0)
	; wave barrier
	v_mad_u64_u32 v[12:13], s[12:13], v31, v30, v[8:9]
	v_lshrrev_b32_e32 v12, 4, v12
	v_and_b32_e32 v25, 0xffffffc, v12
	v_not_b32_e32 v12, v27
	v_ashrrev_i32_e32 v12, 31, v12
	v_xor_b32_e32 v13, s25, v12
	v_xor_b32_e32 v12, s24, v12
	v_and_b32_e32 v16, v16, v13
	v_lshlrev_b32_e32 v13, 24, v2
	v_and_b32_e32 v10, v10, v12
	v_mov_b32_e32 v12, v11
	v_not_b32_e32 v2, v13
	v_cmp_gt_i64_e64 s[12:13], 0, v[12:13]
	v_ashrrev_i32_e32 v2, 31, v2
	v_add_u32_e32 v17, v25, v32
	v_xor_b32_e32 v12, s13, v2
	v_xor_b32_e32 v2, s12, v2
	v_and_b32_e32 v13, v16, v12
	v_and_b32_e32 v12, v10, v2
	v_mbcnt_lo_u32_b32 v2, v12, 0
	v_mbcnt_hi_u32_b32 v16, v13, v2
	v_cmp_eq_u32_e64 s[12:13], 0, v16
	v_cmp_ne_u64_e64 s[14:15], 0, v[12:13]
	s_and_b64 s[14:15], s[14:15], s[12:13]
	s_and_saveexec_b64 s[12:13], s[14:15]
; %bb.14:
	v_bcnt_u32_b32 v2, v12, 0
	v_bcnt_u32_b32 v2, v13, v2
	ds_write_b32 v17, v2 offset:64
; %bb.15:
	s_or_b64 exec, exec, s[12:13]
	v_cmp_lt_i32_e64 s[12:13], -1, v3
	; wave barrier
	s_nop 1
	v_cndmask_b32_e64 v2, -1, v19, s[12:13]
	v_xor_b32_e32 v12, v2, v3
	v_cmp_ne_u32_e64 s[12:13], s28, v12
	s_nop 1
	v_cndmask_b32_e64 v2, v19, v12, s[12:13]
	v_lshrrev_b32_e32 v2, s48, v2
	v_and_b32_e32 v20, s52, v2
	v_mul_lo_u32 v2, v20, s29
	v_and_b32_e32 v10, 1, v20
	v_add_u32_e32 v19, v25, v2
	v_lshl_add_u64 v[2:3], v[10:11], 0, -1
	v_cmp_ne_u32_e64 s[12:13], 0, v10
	ds_read_b32 v13, v19 offset:64
	s_nop 0
	v_xor_b32_e32 v3, s13, v3
	v_xor_b32_e32 v2, s12, v2
	v_and_b32_e32 v10, exec_hi, v3
	v_and_b32_e32 v21, exec_lo, v2
	v_lshlrev_b32_e32 v3, 30, v20
	v_mov_b32_e32 v2, v11
	v_cmp_gt_i64_e64 s[12:13], 0, v[2:3]
	v_not_b32_e32 v2, v3
	v_ashrrev_i32_e32 v2, 31, v2
	v_xor_b32_e32 v3, s13, v2
	v_xor_b32_e32 v2, s12, v2
	v_and_b32_e32 v10, v10, v3
	v_and_b32_e32 v21, v21, v2
	v_lshlrev_b32_e32 v3, 29, v20
	v_mov_b32_e32 v2, v11
	v_cmp_gt_i64_e64 s[12:13], 0, v[2:3]
	v_not_b32_e32 v2, v3
	v_ashrrev_i32_e32 v2, 31, v2
	v_xor_b32_e32 v3, s13, v2
	v_xor_b32_e32 v2, s12, v2
	v_and_b32_e32 v10, v10, v3
	v_and_b32_e32 v21, v21, v2
	;; [unrolled: 9-line block ×7, first 2 shown]
	v_mbcnt_lo_u32_b32 v10, v2, 0
	v_mbcnt_hi_u32_b32 v20, v3, v10
	v_cmp_eq_u32_e64 s[12:13], 0, v20
	v_cmp_ne_u64_e64 s[14:15], 0, v[2:3]
	s_and_b64 s[14:15], s[14:15], s[12:13]
	; wave barrier
	s_and_saveexec_b64 s[12:13], s[14:15]
	s_cbranch_execz .LBB138_17
; %bb.16:
	v_bcnt_u32_b32 v2, v2, 0
	v_bcnt_u32_b32 v2, v3, v2
	s_waitcnt lgkmcnt(0)
	v_add_u32_e32 v2, v13, v2
	ds_write_b32 v19, v2 offset:64
.LBB138_17:
	s_or_b64 exec, exec, s[12:13]
	v_bfrev_b32_e32 v26, 1
	v_cmp_lt_i32_e64 s[12:13], -1, v4
	s_brev_b32 s16, -2
	s_movk_i32 s17, 0x44
	v_cndmask_b32_e64 v2, -1, v26, s[12:13]
	v_xor_b32_e32 v21, v2, v4
	v_cmp_ne_u32_e64 s[12:13], s16, v21
	v_mov_b32_e32 v3, 0
	s_nop 0
	v_cndmask_b32_e64 v2, v26, v21, s[12:13]
	v_lshrrev_b32_e32 v2, s48, v2
	v_and_b32_e32 v4, s52, v2
	v_mul_lo_u32 v2, v4, s17
	v_add_u32_e32 v23, v25, v2
	v_and_b32_e32 v2, 1, v4
	v_lshl_add_u64 v[10:11], v[2:3], 0, -1
	v_cmp_ne_u32_e64 s[12:13], 0, v2
	; wave barrier
	ds_read_b32 v22, v23 offset:64
	s_nop 0
	v_xor_b32_e32 v10, s12, v10
	v_xor_b32_e32 v2, s13, v11
	v_and_b32_e32 v24, exec_lo, v10
	v_lshlrev_b32_e32 v11, 30, v4
	v_mov_b32_e32 v10, v3
	v_cmp_gt_i64_e64 s[12:13], 0, v[10:11]
	v_not_b32_e32 v10, v11
	v_ashrrev_i32_e32 v10, 31, v10
	v_and_b32_e32 v2, exec_hi, v2
	v_xor_b32_e32 v11, s13, v10
	v_xor_b32_e32 v10, s12, v10
	v_and_b32_e32 v2, v2, v11
	v_and_b32_e32 v24, v24, v10
	v_lshlrev_b32_e32 v11, 29, v4
	v_mov_b32_e32 v10, v3
	v_cmp_gt_i64_e64 s[12:13], 0, v[10:11]
	v_not_b32_e32 v10, v11
	v_ashrrev_i32_e32 v10, 31, v10
	v_xor_b32_e32 v11, s13, v10
	v_xor_b32_e32 v10, s12, v10
	v_and_b32_e32 v2, v2, v11
	v_and_b32_e32 v24, v24, v10
	v_lshlrev_b32_e32 v11, 28, v4
	v_mov_b32_e32 v10, v3
	v_cmp_gt_i64_e64 s[12:13], 0, v[10:11]
	v_not_b32_e32 v10, v11
	v_ashrrev_i32_e32 v10, 31, v10
	;; [unrolled: 9-line block ×5, first 2 shown]
	v_xor_b32_e32 v11, s13, v10
	v_xor_b32_e32 v10, s12, v10
	v_and_b32_e32 v2, v2, v11
	v_lshlrev_b32_e32 v11, 24, v4
	v_and_b32_e32 v24, v24, v10
	v_mov_b32_e32 v10, v3
	v_not_b32_e32 v4, v11
	v_cmp_gt_i64_e64 s[12:13], 0, v[10:11]
	v_ashrrev_i32_e32 v4, 31, v4
	s_nop 0
	v_xor_b32_e32 v10, s13, v4
	v_xor_b32_e32 v4, s12, v4
	v_and_b32_e32 v11, v2, v10
	v_and_b32_e32 v10, v24, v4
	v_mbcnt_lo_u32_b32 v2, v10, 0
	v_mbcnt_hi_u32_b32 v24, v11, v2
	v_cmp_eq_u32_e64 s[12:13], 0, v24
	v_cmp_ne_u64_e64 s[14:15], 0, v[10:11]
	s_and_b64 s[14:15], s[14:15], s[12:13]
	; wave barrier
	s_and_saveexec_b64 s[12:13], s[14:15]
	s_cbranch_execz .LBB138_19
; %bb.18:
	v_bcnt_u32_b32 v2, v10, 0
	v_bcnt_u32_b32 v2, v11, v2
	s_waitcnt lgkmcnt(0)
	v_add_u32_e32 v2, v22, v2
	ds_write_b32 v23, v2 offset:64
.LBB138_19:
	s_or_b64 exec, exec, s[12:13]
	v_cmp_lt_i32_e64 s[12:13], -1, v5
	; wave barrier
	s_nop 1
	v_cndmask_b32_e64 v2, -1, v26, s[12:13]
	v_xor_b32_e32 v11, v2, v5
	v_cmp_ne_u32_e64 s[12:13], s16, v11
	s_nop 1
	v_cndmask_b32_e64 v2, v26, v11, s[12:13]
	v_lshrrev_b32_e32 v2, s48, v2
	v_and_b32_e32 v10, s52, v2
	v_mul_lo_u32 v2, v10, s17
	v_add_u32_e32 v26, v25, v2
	v_and_b32_e32 v2, 1, v10
	v_lshl_add_u64 v[4:5], v[2:3], 0, -1
	v_cmp_ne_u32_e64 s[12:13], 0, v2
	ds_read_b32 v28, v26 offset:64
	s_nop 0
	v_xor_b32_e32 v4, s12, v4
	v_xor_b32_e32 v2, s13, v5
	v_and_b32_e32 v27, exec_lo, v4
	v_lshlrev_b32_e32 v5, 30, v10
	v_mov_b32_e32 v4, v3
	v_cmp_gt_i64_e64 s[12:13], 0, v[4:5]
	v_not_b32_e32 v4, v5
	v_ashrrev_i32_e32 v4, 31, v4
	v_and_b32_e32 v2, exec_hi, v2
	v_xor_b32_e32 v5, s13, v4
	v_xor_b32_e32 v4, s12, v4
	v_and_b32_e32 v2, v2, v5
	v_and_b32_e32 v27, v27, v4
	v_lshlrev_b32_e32 v5, 29, v10
	v_mov_b32_e32 v4, v3
	v_cmp_gt_i64_e64 s[12:13], 0, v[4:5]
	v_not_b32_e32 v4, v5
	v_ashrrev_i32_e32 v4, 31, v4
	v_xor_b32_e32 v5, s13, v4
	v_xor_b32_e32 v4, s12, v4
	v_and_b32_e32 v2, v2, v5
	v_and_b32_e32 v27, v27, v4
	v_lshlrev_b32_e32 v5, 28, v10
	v_mov_b32_e32 v4, v3
	v_cmp_gt_i64_e64 s[12:13], 0, v[4:5]
	v_not_b32_e32 v4, v5
	v_ashrrev_i32_e32 v4, 31, v4
	v_xor_b32_e32 v5, s13, v4
	v_xor_b32_e32 v4, s12, v4
	v_and_b32_e32 v2, v2, v5
	v_and_b32_e32 v27, v27, v4
	v_lshlrev_b32_e32 v5, 27, v10
	v_mov_b32_e32 v4, v3
	v_cmp_gt_i64_e64 s[12:13], 0, v[4:5]
	v_not_b32_e32 v4, v5
	v_ashrrev_i32_e32 v4, 31, v4
	v_xor_b32_e32 v5, s13, v4
	v_xor_b32_e32 v4, s12, v4
	v_and_b32_e32 v2, v2, v5
	v_and_b32_e32 v27, v27, v4
	v_lshlrev_b32_e32 v5, 26, v10
	v_mov_b32_e32 v4, v3
	v_cmp_gt_i64_e64 s[12:13], 0, v[4:5]
	v_not_b32_e32 v4, v5
	v_ashrrev_i32_e32 v4, 31, v4
	v_xor_b32_e32 v5, s13, v4
	v_xor_b32_e32 v4, s12, v4
	v_and_b32_e32 v2, v2, v5
	v_and_b32_e32 v27, v27, v4
	v_lshlrev_b32_e32 v5, 25, v10
	v_mov_b32_e32 v4, v3
	v_cmp_gt_i64_e64 s[12:13], 0, v[4:5]
	v_not_b32_e32 v4, v5
	v_ashrrev_i32_e32 v4, 31, v4
	v_xor_b32_e32 v5, s13, v4
	v_xor_b32_e32 v4, s12, v4
	v_and_b32_e32 v2, v2, v5
	v_lshlrev_b32_e32 v5, 24, v10
	v_and_b32_e32 v27, v27, v4
	v_mov_b32_e32 v4, v3
	v_not_b32_e32 v3, v5
	v_cmp_gt_i64_e64 s[12:13], 0, v[4:5]
	v_ashrrev_i32_e32 v3, 31, v3
	; wave barrier
	s_nop 0
	v_xor_b32_e32 v4, s13, v3
	v_xor_b32_e32 v5, s12, v3
	v_and_b32_e32 v3, v2, v4
	v_and_b32_e32 v2, v27, v5
	v_mbcnt_lo_u32_b32 v4, v2, 0
	v_mbcnt_hi_u32_b32 v29, v3, v4
	v_cmp_eq_u32_e64 s[12:13], 0, v29
	v_cmp_ne_u64_e64 s[14:15], 0, v[2:3]
	s_and_b64 s[14:15], s[14:15], s[12:13]
	s_and_saveexec_b64 s[12:13], s[14:15]
	s_cbranch_execz .LBB138_21
; %bb.20:
	v_bcnt_u32_b32 v2, v2, 0
	v_bcnt_u32_b32 v2, v3, v2
	s_waitcnt lgkmcnt(0)
	v_add_u32_e32 v2, v28, v2
	ds_write_b32 v26, v2 offset:64
.LBB138_21:
	s_or_b64 exec, exec, s[12:13]
	v_bfrev_b32_e32 v10, 1
	v_cmp_lt_i32_e64 s[12:13], -1, v6
	v_mov_b32_e32 v3, 0
	s_nop 0
	v_cndmask_b32_e64 v2, -1, v10, s[12:13]
	v_xor_b32_e32 v6, v2, v6
	v_cmp_ne_u32_e64 s[12:13], s16, v6
	; wave barrier
	s_nop 1
	v_cndmask_b32_e64 v2, v10, v6, s[12:13]
	v_lshrrev_b32_e32 v2, s48, v2
	v_and_b32_e32 v31, s52, v2
	v_mul_lo_u32 v2, v31, s17
	v_add_u32_e32 v27, v25, v2
	v_and_b32_e32 v2, 1, v31
	v_lshl_add_u64 v[4:5], v[2:3], 0, -1
	v_cmp_ne_u32_e64 s[12:13], 0, v2
	ds_read_b32 v30, v27 offset:64
	s_nop 0
	v_xor_b32_e32 v4, s12, v4
	v_xor_b32_e32 v2, s13, v5
	v_and_b32_e32 v32, exec_lo, v4
	v_lshlrev_b32_e32 v5, 30, v31
	v_mov_b32_e32 v4, v3
	v_cmp_gt_i64_e64 s[12:13], 0, v[4:5]
	v_not_b32_e32 v4, v5
	v_ashrrev_i32_e32 v4, 31, v4
	v_and_b32_e32 v2, exec_hi, v2
	v_xor_b32_e32 v5, s13, v4
	v_xor_b32_e32 v4, s12, v4
	v_and_b32_e32 v2, v2, v5
	v_and_b32_e32 v32, v32, v4
	v_lshlrev_b32_e32 v5, 29, v31
	v_mov_b32_e32 v4, v3
	v_cmp_gt_i64_e64 s[12:13], 0, v[4:5]
	v_not_b32_e32 v4, v5
	v_ashrrev_i32_e32 v4, 31, v4
	v_xor_b32_e32 v5, s13, v4
	v_xor_b32_e32 v4, s12, v4
	v_and_b32_e32 v2, v2, v5
	v_and_b32_e32 v32, v32, v4
	v_lshlrev_b32_e32 v5, 28, v31
	v_mov_b32_e32 v4, v3
	v_cmp_gt_i64_e64 s[12:13], 0, v[4:5]
	v_not_b32_e32 v4, v5
	v_ashrrev_i32_e32 v4, 31, v4
	;; [unrolled: 9-line block ×6, first 2 shown]
	v_xor_b32_e32 v5, s13, v4
	v_xor_b32_e32 v4, s12, v4
	v_and_b32_e32 v4, v32, v4
	v_and_b32_e32 v5, v2, v5
	v_mbcnt_lo_u32_b32 v2, v4, 0
	v_mbcnt_hi_u32_b32 v31, v5, v2
	v_cmp_eq_u32_e64 s[12:13], 0, v31
	v_cmp_ne_u64_e64 s[14:15], 0, v[4:5]
	s_and_b64 s[14:15], s[14:15], s[12:13]
	; wave barrier
	s_and_saveexec_b64 s[12:13], s[14:15]
	s_cbranch_execz .LBB138_23
; %bb.22:
	v_bcnt_u32_b32 v2, v4, 0
	v_bcnt_u32_b32 v2, v5, v2
	s_waitcnt lgkmcnt(0)
	v_add_u32_e32 v2, v30, v2
	ds_write_b32 v27, v2 offset:64
.LBB138_23:
	s_or_b64 exec, exec, s[12:13]
	v_cmp_lt_i32_e64 s[12:13], -1, v7
	; wave barrier
	s_nop 1
	v_cndmask_b32_e64 v2, -1, v10, s[12:13]
	v_xor_b32_e32 v32, v2, v7
	v_cmp_ne_u32_e64 s[12:13], s16, v32
	s_nop 1
	v_cndmask_b32_e64 v2, v10, v32, s[12:13]
	v_lshrrev_b32_e32 v2, s48, v2
	v_and_b32_e32 v10, s52, v2
	v_mul_lo_u32 v2, v10, s17
	v_add_u32_e32 v7, v25, v2
	v_and_b32_e32 v2, 1, v10
	v_lshl_add_u64 v[4:5], v[2:3], 0, -1
	v_cmp_ne_u32_e64 s[12:13], 0, v2
	ds_read_b32 v33, v7 offset:64
	s_nop 0
	v_xor_b32_e32 v4, s12, v4
	v_xor_b32_e32 v2, s13, v5
	v_and_b32_e32 v25, exec_lo, v4
	v_lshlrev_b32_e32 v5, 30, v10
	v_mov_b32_e32 v4, v3
	v_cmp_gt_i64_e64 s[12:13], 0, v[4:5]
	v_not_b32_e32 v4, v5
	v_ashrrev_i32_e32 v4, 31, v4
	v_and_b32_e32 v2, exec_hi, v2
	v_xor_b32_e32 v5, s13, v4
	v_xor_b32_e32 v4, s12, v4
	v_and_b32_e32 v2, v2, v5
	v_and_b32_e32 v25, v25, v4
	v_lshlrev_b32_e32 v5, 29, v10
	v_mov_b32_e32 v4, v3
	v_cmp_gt_i64_e64 s[12:13], 0, v[4:5]
	v_not_b32_e32 v4, v5
	v_ashrrev_i32_e32 v4, 31, v4
	v_xor_b32_e32 v5, s13, v4
	v_xor_b32_e32 v4, s12, v4
	v_and_b32_e32 v2, v2, v5
	v_and_b32_e32 v25, v25, v4
	v_lshlrev_b32_e32 v5, 28, v10
	v_mov_b32_e32 v4, v3
	v_cmp_gt_i64_e64 s[12:13], 0, v[4:5]
	v_not_b32_e32 v4, v5
	v_ashrrev_i32_e32 v4, 31, v4
	;; [unrolled: 9-line block ×5, first 2 shown]
	v_xor_b32_e32 v5, s13, v4
	v_xor_b32_e32 v4, s12, v4
	v_and_b32_e32 v2, v2, v5
	v_lshlrev_b32_e32 v5, 24, v10
	v_and_b32_e32 v25, v25, v4
	v_mov_b32_e32 v4, v3
	v_not_b32_e32 v3, v5
	v_cmp_gt_i64_e64 s[12:13], 0, v[4:5]
	v_ashrrev_i32_e32 v3, 31, v3
	; wave barrier
	s_nop 0
	v_xor_b32_e32 v4, s13, v3
	v_xor_b32_e32 v5, s12, v3
	v_and_b32_e32 v3, v2, v4
	v_and_b32_e32 v2, v25, v5
	v_mbcnt_lo_u32_b32 v4, v2, 0
	v_mbcnt_hi_u32_b32 v34, v3, v4
	v_cmp_eq_u32_e64 s[12:13], 0, v34
	v_cmp_ne_u64_e64 s[14:15], 0, v[2:3]
	s_and_b64 s[14:15], s[14:15], s[12:13]
	s_and_saveexec_b64 s[12:13], s[14:15]
	s_cbranch_execz .LBB138_25
; %bb.24:
	v_bcnt_u32_b32 v2, v2, 0
	v_bcnt_u32_b32 v2, v3, v2
	s_waitcnt lgkmcnt(0)
	v_add_u32_e32 v2, v33, v2
	ds_write_b32 v7, v2 offset:64
.LBB138_25:
	s_or_b64 exec, exec, s[12:13]
	; wave barrier
	s_waitcnt lgkmcnt(0)
	s_barrier
	ds_read2_b32 v[4:5], v14 offset0:16 offset1:17
	ds_read2_b32 v[2:3], v14 offset0:18 offset1:19
	ds_read_b32 v10, v14 offset:80
	v_cmp_lt_u32_e64 s[20:21], 31, v9
	s_waitcnt lgkmcnt(1)
	v_add3_u32 v25, v5, v4, v2
	s_waitcnt lgkmcnt(0)
	v_add3_u32 v10, v25, v3, v10
	v_and_b32_e32 v25, 15, v9
	v_cmp_eq_u32_e64 s[12:13], 0, v25
	v_mov_b32_dpp v35, v10 row_shr:1 row_mask:0xf bank_mask:0xf
	v_cmp_lt_u32_e64 s[14:15], 1, v25
	v_cndmask_b32_e64 v35, v35, 0, s[12:13]
	v_add_u32_e32 v10, v35, v10
	v_cmp_lt_u32_e64 s[16:17], 3, v25
	v_cmp_lt_u32_e64 s[18:19], 7, v25
	v_mov_b32_dpp v35, v10 row_shr:2 row_mask:0xf bank_mask:0xf
	v_cndmask_b32_e64 v35, 0, v35, s[14:15]
	v_add_u32_e32 v10, v10, v35
	s_nop 1
	v_mov_b32_dpp v35, v10 row_shr:4 row_mask:0xf bank_mask:0xf
	v_cndmask_b32_e64 v35, 0, v35, s[16:17]
	v_add_u32_e32 v10, v10, v35
	s_nop 1
	v_mov_b32_dpp v35, v10 row_shr:8 row_mask:0xf bank_mask:0xf
	v_cndmask_b32_e64 v25, 0, v35, s[18:19]
	v_add_u32_e32 v10, v10, v25
	v_bfe_i32 v35, v9, 4, 1
	s_nop 0
	v_mov_b32_dpp v25, v10 row_bcast:15 row_mask:0xf bank_mask:0xf
	v_and_b32_e32 v25, v35, v25
	v_add_u32_e32 v10, v10, v25
	v_lshrrev_b32_e32 v35, 6, v8
	s_nop 0
	v_mov_b32_dpp v25, v10 row_bcast:31 row_mask:0xf bank_mask:0xf
	v_cndmask_b32_e64 v25, 0, v25, s[20:21]
	v_add_u32_e32 v25, v10, v25
	v_and_b32_e32 v10, 63, v8
	v_cmp_eq_u32_e64 s[20:21], 63, v10
	s_and_saveexec_b64 s[22:23], s[20:21]
; %bb.26:
	v_lshlrev_b32_e32 v10, 2, v35
	ds_write_b32 v10, v25
; %bb.27:
	s_or_b64 exec, exec, s[22:23]
	v_cmp_gt_u32_e64 s[20:21], 16, v8
	v_lshlrev_b32_e32 v10, 2, v8
	s_waitcnt lgkmcnt(0)
	s_barrier
	s_and_saveexec_b64 s[22:23], s[20:21]
	s_cbranch_execz .LBB138_29
; %bb.28:
	ds_read_b32 v36, v10
	s_waitcnt lgkmcnt(0)
	s_nop 0
	v_mov_b32_dpp v37, v36 row_shr:1 row_mask:0xf bank_mask:0xf
	v_cndmask_b32_e64 v37, v37, 0, s[12:13]
	v_add_u32_e32 v36, v37, v36
	s_nop 1
	v_mov_b32_dpp v37, v36 row_shr:2 row_mask:0xf bank_mask:0xf
	v_cndmask_b32_e64 v37, 0, v37, s[14:15]
	v_add_u32_e32 v36, v36, v37
	;; [unrolled: 4-line block ×4, first 2 shown]
	ds_write_b32 v10, v36
.LBB138_29:
	s_or_b64 exec, exec, s[22:23]
	v_cmp_lt_u32_e64 s[12:13], 63, v8
	v_mov_b32_e32 v36, 0
	s_waitcnt lgkmcnt(0)
	s_barrier
	s_and_saveexec_b64 s[14:15], s[12:13]
; %bb.30:
	v_lshl_add_u32 v35, v35, 2, -4
	ds_read_b32 v36, v35
; %bb.31:
	s_or_b64 exec, exec, s[14:15]
	v_add_u32_e32 v35, -1, v9
	v_and_b32_e32 v37, 64, v9
	v_cmp_lt_i32_e64 s[12:13], v35, v37
	s_waitcnt lgkmcnt(0)
	v_add_u32_e32 v25, v36, v25
	s_movk_i32 s16, 0x100
	v_cndmask_b32_e64 v35, v35, v9, s[12:13]
	v_lshlrev_b32_e32 v35, 2, v35
	ds_bpermute_b32 v25, v35, v25
	v_cmp_eq_u32_e64 s[12:13], 0, v9
	v_cmp_gt_u32_e64 s[14:15], s16, v8
	s_waitcnt lgkmcnt(0)
	v_cndmask_b32_e64 v25, v25, v36, s[12:13]
	v_cmp_ne_u32_e64 s[12:13], 0, v8
	s_nop 1
	v_cndmask_b32_e64 v25, 0, v25, s[12:13]
	v_add_u32_e32 v4, v25, v4
	v_add_u32_e32 v5, v4, v5
	v_add_u32_e32 v2, v5, v2
	v_add_u32_e32 v3, v2, v3
	ds_write2_b32 v14, v25, v4 offset0:16 offset1:17
	ds_write2_b32 v14, v5, v2 offset0:18 offset1:19
	ds_write_b32 v14, v3 offset:80
	s_waitcnt lgkmcnt(0)
	s_barrier
	ds_read_b32 v5, v17 offset:64
	ds_read_b32 v14, v19 offset:64
	ds_read_b32 v17, v23 offset:64
	ds_read_b32 v19, v26 offset:64
	ds_read_b32 v23, v27 offset:64
	ds_read_b32 v35, v7 offset:64
	s_movk_i32 s12, 0xff
	v_cmp_lt_u32_e64 s[12:13], s12, v8
	v_mov_b64_e32 v[2:3], 0
                                        ; implicit-def: $vgpr4
	s_and_saveexec_b64 s[18:19], s[14:15]
	s_cbranch_execz .LBB138_35
; %bb.32:
	v_mul_u32_u24_e32 v2, 0x44, v8
	ds_read_b32 v2, v2 offset:64
	v_add_u32_e32 v4, 1, v8
	v_cmp_ne_u32_e64 s[16:17], s16, v4
	v_mov_b32_e32 v3, 0x1800
	s_and_saveexec_b64 s[20:21], s[16:17]
; %bb.33:
	v_mul_u32_u24_e32 v3, 0x44, v4
	ds_read_b32 v3, v3 offset:64
; %bb.34:
	s_or_b64 exec, exec, s[20:21]
	s_waitcnt lgkmcnt(0)
	v_sub_u32_e32 v4, v3, v2
	v_mov_b32_e32 v3, 0
.LBB138_35:
	s_or_b64 exec, exec, s[18:19]
	s_waitcnt lgkmcnt(5)
	v_add_u32_e32 v27, v5, v16
	s_waitcnt lgkmcnt(4)
	v_add3_u32 v26, v20, v13, v14
	v_lshlrev_b32_e32 v13, 2, v27
	s_waitcnt lgkmcnt(3)
	v_add3_u32 v25, v24, v22, v17
	s_waitcnt lgkmcnt(0)
	s_barrier
	ds_write_b32 v13, v15 offset:2048
	v_lshlrev_b32_e32 v13, 2, v26
	v_add3_u32 v24, v29, v28, v19
	ds_write_b32 v13, v12 offset:2048
	v_lshlrev_b32_e32 v12, 2, v25
	v_add3_u32 v7, v31, v30, v23
	;; [unrolled: 3-line block ×3, first 2 shown]
	ds_write_b32 v12, v11 offset:2048
	v_lshlrev_b32_e32 v11, 2, v7
	ds_write_b32 v11, v6 offset:2048
	v_lshlrev_b32_e32 v6, 2, v5
	ds_write_b32 v6, v32 offset:2048
	v_mov_b32_e32 v13, 0
	v_lshlrev_b32_e32 v6, 3, v8
	s_waitcnt lgkmcnt(0)
	s_barrier
	s_and_saveexec_b64 s[16:17], s[14:15]
	s_cbranch_execz .LBB138_45
; %bb.36:
	v_lshl_add_u32 v12, s2, 8, v8
	v_lshl_add_u64 v[14:15], v[12:13], 2, s[34:35]
	v_or_b32_e32 v11, 2.0, v4
	global_store_dword v[14:15], v11, off sc1
	s_mov_b64 s[18:19], 0
	s_brev_b32 s24, -4
	s_mov_b32 s25, s2
	v_mov_b32_e32 v11, 0
                                        ; implicit-def: $sgpr14_sgpr15
	s_branch .LBB138_39
.LBB138_37:                             ;   in Loop: Header=BB138_39 Depth=1
	s_or_b64 exec, exec, s[22:23]
.LBB138_38:                             ;   in Loop: Header=BB138_39 Depth=1
	s_or_b64 exec, exec, s[20:21]
	v_and_b32_e32 v16, 0x3fffffff, v12
	v_add_u32_e32 v11, v16, v11
	v_cmp_gt_i32_e64 s[14:15], -2.0, v12
	s_and_b64 s[20:21], exec, s[14:15]
	s_or_b64 s[18:19], s[20:21], s[18:19]
	s_andn2_b64 exec, exec, s[18:19]
	s_cbranch_execz .LBB138_44
.LBB138_39:                             ; =>This Loop Header: Depth=1
                                        ;     Child Loop BB138_42 Depth 2
	s_or_b64 s[14:15], s[14:15], exec
	s_cmp_eq_u32 s25, 0
	s_cbranch_scc1 .LBB138_43
; %bb.40:                               ;   in Loop: Header=BB138_39 Depth=1
	s_add_i32 s25, s25, -1
	v_lshl_or_b32 v12, s25, 8, v8
	v_lshl_add_u64 v[16:17], v[12:13], 2, s[34:35]
	global_load_dword v12, v[16:17], off sc1
	s_waitcnt vmcnt(0)
	v_cmp_gt_u32_e64 s[14:15], 2.0, v12
	s_and_saveexec_b64 s[20:21], s[14:15]
	s_cbranch_execz .LBB138_38
; %bb.41:                               ;   in Loop: Header=BB138_39 Depth=1
	s_mov_b64 s[22:23], 0
.LBB138_42:                             ;   Parent Loop BB138_39 Depth=1
                                        ; =>  This Inner Loop Header: Depth=2
	global_load_dword v12, v[16:17], off sc1
	s_waitcnt vmcnt(0)
	v_cmp_lt_u32_e64 s[14:15], s24, v12
	s_or_b64 s[22:23], s[14:15], s[22:23]
	s_andn2_b64 exec, exec, s[22:23]
	s_cbranch_execnz .LBB138_42
	s_branch .LBB138_37
.LBB138_43:                             ;   in Loop: Header=BB138_39 Depth=1
                                        ; implicit-def: $sgpr25
	s_and_b64 s[20:21], exec, s[14:15]
	s_or_b64 s[18:19], s[20:21], s[18:19]
	s_andn2_b64 exec, exec, s[18:19]
	s_cbranch_execnz .LBB138_39
.LBB138_44:
	s_or_b64 exec, exec, s[18:19]
	v_add_u32_e32 v12, v11, v4
	v_or_b32_e32 v12, 0x80000000, v12
	global_store_dword v[14:15], v12, off sc1
	global_load_dwordx2 v[12:13], v6, s[44:45]
	v_sub_co_u32_e64 v14, s[14:15], v11, v2
	s_nop 1
	v_subb_co_u32_e64 v15, s[14:15], 0, v3, s[14:15]
	s_waitcnt vmcnt(0)
	v_lshl_add_u64 v[12:13], v[14:15], 0, v[12:13]
	ds_write_b64 v6, v[12:13]
.LBB138_45:
	s_or_b64 exec, exec, s[16:17]
	v_cmp_gt_u32_e64 s[14:15], s33, v8
	s_waitcnt lgkmcnt(0)
	s_barrier
	s_and_saveexec_b64 s[18:19], s[14:15]
	s_cbranch_execz .LBB138_47
; %bb.46:
	v_sub_u32_e32 v11, v6, v10
	ds_read_b32 v11, v11 offset:2048
	s_brev_b32 s16, -2
	v_bfrev_b32_e32 v14, 1
	s_waitcnt lgkmcnt(0)
	v_cmp_ne_u32_e64 s[16:17], s16, v11
	s_nop 1
	v_cndmask_b32_e64 v12, v14, v11, s[16:17]
	v_lshrrev_b32_e32 v12, s48, v12
	v_and_b32_e32 v12, s52, v12
	v_lshlrev_b32_e32 v12, 3, v12
	ds_read_b64 v[12:13], v12
	v_cmp_lt_i32_e64 s[16:17], -1, v11
	s_waitcnt lgkmcnt(0)
	v_lshl_add_u64 v[12:13], v[12:13], 2, s[38:39]
	v_cndmask_b32_e64 v14, v14, -1, s[16:17]
	v_xor_b32_e32 v14, v14, v11
	v_mov_b32_e32 v11, 0
	v_lshl_add_u64 v[12:13], v[12:13], 0, v[10:11]
	global_store_dword v[12:13], v14, off
.LBB138_47:
	s_or_b64 exec, exec, s[18:19]
	v_or_b32_e32 v11, 0x400, v8
	v_cmp_gt_u32_e64 s[16:17], s33, v11
	s_and_saveexec_b64 s[20:21], s[16:17]
	s_cbranch_execz .LBB138_49
; %bb.48:
	v_sub_u32_e32 v12, v6, v10
	ds_read_b32 v15, v12 offset:6144
	s_brev_b32 s18, -2
	v_bfrev_b32_e32 v16, 1
	v_lshlrev_b32_e32 v14, 2, v11
	s_waitcnt lgkmcnt(0)
	v_cmp_ne_u32_e64 s[18:19], s18, v15
	s_nop 1
	v_cndmask_b32_e64 v12, v16, v15, s[18:19]
	v_lshrrev_b32_e32 v12, s48, v12
	v_and_b32_e32 v12, s52, v12
	v_lshlrev_b32_e32 v12, 3, v12
	ds_read_b64 v[12:13], v12
	v_cmp_lt_i32_e64 s[18:19], -1, v15
	s_waitcnt lgkmcnt(0)
	v_lshl_add_u64 v[12:13], v[12:13], 2, s[38:39]
	v_cndmask_b32_e64 v16, v16, -1, s[18:19]
	v_xor_b32_e32 v16, v16, v15
	v_mov_b32_e32 v15, 0
	v_lshl_add_u64 v[12:13], v[12:13], 0, v[14:15]
	global_store_dword v[12:13], v16, off
.LBB138_49:
	s_or_b64 exec, exec, s[20:21]
	v_or_b32_e32 v28, 0x800, v8
	v_cmp_gt_u32_e64 s[18:19], s33, v28
	s_and_saveexec_b64 s[22:23], s[18:19]
	s_cbranch_execz .LBB138_51
; %bb.50:
	v_sub_u32_e32 v12, v6, v10
	ds_read_b32 v15, v12 offset:10240
	s_brev_b32 s20, -2
	v_bfrev_b32_e32 v16, 1
	v_lshlrev_b32_e32 v14, 2, v28
	s_waitcnt lgkmcnt(0)
	v_cmp_ne_u32_e64 s[20:21], s20, v15
	s_nop 1
	v_cndmask_b32_e64 v12, v16, v15, s[20:21]
	v_lshrrev_b32_e32 v12, s48, v12
	v_and_b32_e32 v12, s52, v12
	v_lshlrev_b32_e32 v12, 3, v12
	ds_read_b64 v[12:13], v12
	v_cmp_lt_i32_e64 s[20:21], -1, v15
	s_waitcnt lgkmcnt(0)
	v_lshl_add_u64 v[12:13], v[12:13], 2, s[38:39]
	v_cndmask_b32_e64 v16, v16, -1, s[20:21]
	v_xor_b32_e32 v16, v16, v15
	v_mov_b32_e32 v15, 0
	v_lshl_add_u64 v[12:13], v[12:13], 0, v[14:15]
	global_store_dword v[12:13], v16, off
.LBB138_51:
	;; [unrolled: 28-line block ×5, first 2 shown]
	s_or_b64 exec, exec, s[50:51]
	s_lshl_b64 s[28:29], s[30:31], 3
	s_add_u32 s28, s40, s28
	s_addc_u32 s29, s41, s29
	v_lshlrev_b32_e32 v8, 3, v9
	v_mov_b32_e32 v9, 0
	v_lshl_add_u64 v[12:13], s[28:29], 0, v[8:9]
	v_lshlrev_b32_e32 v8, 3, v18
	v_lshl_add_u64 v[22:23], v[12:13], 0, v[8:9]
                                        ; implicit-def: $vgpr8_vgpr9
	s_and_saveexec_b64 s[28:29], vcc
	s_xor_b64 s[28:29], exec, s[28:29]
	s_cbranch_execz .LBB138_63
; %bb.58:
	global_load_dwordx2 v[8:9], v[22:23], off
	s_or_b64 exec, exec, s[28:29]
                                        ; implicit-def: $vgpr12_vgpr13
	s_and_saveexec_b64 s[28:29], s[26:27]
	s_cbranch_execnz .LBB138_64
.LBB138_59:
	s_or_b64 exec, exec, s[28:29]
                                        ; implicit-def: $vgpr14_vgpr15
	s_and_saveexec_b64 s[26:27], s[4:5]
	s_cbranch_execz .LBB138_65
.LBB138_60:
	global_load_dwordx2 v[14:15], v[22:23], off offset:1024
	s_or_b64 exec, exec, s[26:27]
                                        ; implicit-def: $vgpr16_vgpr17
	s_and_saveexec_b64 s[4:5], s[6:7]
	s_cbranch_execnz .LBB138_66
.LBB138_61:
	s_or_b64 exec, exec, s[4:5]
                                        ; implicit-def: $vgpr18_vgpr19
	s_and_saveexec_b64 s[4:5], s[8:9]
	s_cbranch_execz .LBB138_67
.LBB138_62:
	global_load_dwordx2 v[18:19], v[22:23], off offset:2048
	s_or_b64 exec, exec, s[4:5]
                                        ; implicit-def: $vgpr20_vgpr21
	s_and_saveexec_b64 s[4:5], s[10:11]
	s_cbranch_execnz .LBB138_68
	s_branch .LBB138_69
.LBB138_63:
	s_or_b64 exec, exec, s[28:29]
                                        ; implicit-def: $vgpr12_vgpr13
	s_and_saveexec_b64 s[28:29], s[26:27]
	s_cbranch_execz .LBB138_59
.LBB138_64:
	global_load_dwordx2 v[12:13], v[22:23], off offset:512
	s_or_b64 exec, exec, s[28:29]
                                        ; implicit-def: $vgpr14_vgpr15
	s_and_saveexec_b64 s[26:27], s[4:5]
	s_cbranch_execnz .LBB138_60
.LBB138_65:
	s_or_b64 exec, exec, s[26:27]
                                        ; implicit-def: $vgpr16_vgpr17
	s_and_saveexec_b64 s[4:5], s[6:7]
	s_cbranch_execz .LBB138_61
.LBB138_66:
	global_load_dwordx2 v[16:17], v[22:23], off offset:1536
	s_or_b64 exec, exec, s[4:5]
                                        ; implicit-def: $vgpr18_vgpr19
	s_and_saveexec_b64 s[4:5], s[8:9]
	s_cbranch_execnz .LBB138_62
.LBB138_67:
	s_or_b64 exec, exec, s[4:5]
                                        ; implicit-def: $vgpr20_vgpr21
	s_and_saveexec_b64 s[4:5], s[10:11]
	s_cbranch_execz .LBB138_69
.LBB138_68:
	global_load_dwordx2 v[20:21], v[22:23], off offset:2560
.LBB138_69:
	s_or_b64 exec, exec, s[4:5]
	v_mov_b32_e32 v22, 0
	v_mov_b32_e32 v33, 0
	s_and_saveexec_b64 s[4:5], s[14:15]
	s_cbranch_execz .LBB138_71
; %bb.70:
	v_sub_u32_e32 v23, v6, v10
	ds_read_b32 v23, v23 offset:2048
	s_brev_b32 s6, -2
	v_bfrev_b32_e32 v32, 1
	s_waitcnt lgkmcnt(0)
	v_cmp_ne_u32_e32 vcc, s6, v23
	s_nop 1
	v_cndmask_b32_e32 v23, v32, v23, vcc
	v_lshrrev_b32_e32 v23, s48, v23
	v_and_b32_e32 v33, s52, v23
.LBB138_71:
	s_or_b64 exec, exec, s[4:5]
	s_and_saveexec_b64 s[4:5], s[16:17]
	s_cbranch_execz .LBB138_73
; %bb.72:
	v_sub_u32_e32 v22, v6, v10
	ds_read_b32 v22, v22 offset:6144
	s_brev_b32 s6, -2
	v_bfrev_b32_e32 v23, 1
	s_waitcnt lgkmcnt(0)
	v_cmp_ne_u32_e32 vcc, s6, v22
	s_nop 1
	v_cndmask_b32_e32 v22, v23, v22, vcc
	v_lshrrev_b32_e32 v22, s48, v22
	v_and_b32_e32 v22, s52, v22
.LBB138_73:
	s_or_b64 exec, exec, s[4:5]
	v_mov_b32_e32 v23, 0
	v_mov_b32_e32 v34, 0
	s_and_saveexec_b64 s[4:5], s[18:19]
	s_cbranch_execz .LBB138_75
; %bb.74:
	v_sub_u32_e32 v32, v6, v10
	ds_read_b32 v32, v32 offset:10240
	s_brev_b32 s6, -2
	v_bfrev_b32_e32 v34, 1
	s_waitcnt lgkmcnt(0)
	v_cmp_ne_u32_e32 vcc, s6, v32
	s_nop 1
	v_cndmask_b32_e32 v32, v34, v32, vcc
	v_lshrrev_b32_e32 v32, s48, v32
	v_and_b32_e32 v34, s52, v32
.LBB138_75:
	s_or_b64 exec, exec, s[4:5]
	s_and_saveexec_b64 s[4:5], s[20:21]
	s_cbranch_execz .LBB138_77
; %bb.76:
	v_sub_u32_e32 v23, v6, v10
	ds_read_b32 v23, v23 offset:14336
	s_brev_b32 s6, -2
	v_bfrev_b32_e32 v32, 1
	s_waitcnt lgkmcnt(0)
	v_cmp_ne_u32_e32 vcc, s6, v23
	s_nop 1
	v_cndmask_b32_e32 v23, v32, v23, vcc
	v_lshrrev_b32_e32 v23, s48, v23
	v_and_b32_e32 v23, s52, v23
.LBB138_77:
	;; [unrolled: 32-line block ×3, first 2 shown]
	s_or_b64 exec, exec, s[4:5]
	v_lshlrev_b32_e32 v10, 3, v27
	s_barrier
	s_waitcnt vmcnt(0)
	ds_write_b64 v10, v[8:9] offset:2048
	v_lshlrev_b32_e32 v8, 3, v26
	ds_write_b64 v8, v[12:13] offset:2048
	v_lshlrev_b32_e32 v8, 3, v25
	;; [unrolled: 2-line block ×3, first 2 shown]
	v_lshlrev_b32_e32 v7, 3, v7
	v_lshlrev_b32_e32 v5, 3, v5
	ds_write_b64 v8, v[16:17] offset:2048
	ds_write_b64 v7, v[18:19] offset:2048
	;; [unrolled: 1-line block ×3, first 2 shown]
	s_waitcnt lgkmcnt(0)
	s_barrier
	s_and_saveexec_b64 s[4:5], s[14:15]
	s_cbranch_execz .LBB138_87
; %bb.82:
	v_lshlrev_b32_e32 v5, 3, v33
	ds_read_b64 v[8:9], v5
	ds_read_b64 v[12:13], v6 offset:2048
	v_mov_b32_e32 v7, 0
	s_waitcnt lgkmcnt(1)
	v_lshl_add_u64 v[8:9], v[8:9], 3, s[42:43]
	v_lshl_add_u64 v[8:9], v[8:9], 0, v[6:7]
	s_waitcnt lgkmcnt(0)
	global_store_dwordx2 v[8:9], v[12:13], off
	s_or_b64 exec, exec, s[4:5]
	s_and_saveexec_b64 s[4:5], s[16:17]
	s_cbranch_execnz .LBB138_88
.LBB138_83:
	s_or_b64 exec, exec, s[4:5]
	s_and_saveexec_b64 s[4:5], s[18:19]
	s_cbranch_execz .LBB138_89
.LBB138_84:
	v_lshlrev_b32_e32 v5, 3, v34
	ds_read_b64 v[8:9], v5
	ds_read_b64 v[10:11], v6 offset:18432
	v_lshlrev_b32_e32 v12, 3, v28
	v_mov_b32_e32 v13, 0
	s_waitcnt lgkmcnt(1)
	v_lshl_add_u64 v[8:9], v[8:9], 3, s[42:43]
	v_lshl_add_u64 v[8:9], v[8:9], 0, v[12:13]
	s_waitcnt lgkmcnt(0)
	global_store_dwordx2 v[8:9], v[10:11], off
	s_or_b64 exec, exec, s[4:5]
	s_and_saveexec_b64 s[4:5], s[20:21]
	s_cbranch_execnz .LBB138_90
.LBB138_85:
	s_or_b64 exec, exec, s[4:5]
	s_and_saveexec_b64 s[4:5], s[22:23]
	s_cbranch_execz .LBB138_91
.LBB138_86:
	v_lshlrev_b32_e32 v5, 3, v35
	ds_read_b64 v[8:9], v5
	ds_read_b64 v[10:11], v6 offset:34816
	v_lshlrev_b32_e32 v12, 3, v30
	v_mov_b32_e32 v13, 0
	s_waitcnt lgkmcnt(1)
	v_lshl_add_u64 v[8:9], v[8:9], 3, s[42:43]
	v_lshl_add_u64 v[8:9], v[8:9], 0, v[12:13]
	s_waitcnt lgkmcnt(0)
	global_store_dwordx2 v[8:9], v[10:11], off
	s_or_b64 exec, exec, s[4:5]
	s_and_saveexec_b64 s[4:5], s[24:25]
	s_cbranch_execnz .LBB138_92
	s_branch .LBB138_93
.LBB138_87:
	s_or_b64 exec, exec, s[4:5]
	s_and_saveexec_b64 s[4:5], s[16:17]
	s_cbranch_execz .LBB138_83
.LBB138_88:
	v_lshlrev_b32_e32 v5, 3, v22
	ds_read_b64 v[8:9], v5
	ds_read_b64 v[12:13], v6 offset:10240
	v_lshlrev_b32_e32 v10, 3, v11
	v_mov_b32_e32 v11, 0
	s_waitcnt lgkmcnt(1)
	v_lshl_add_u64 v[8:9], v[8:9], 3, s[42:43]
	v_lshl_add_u64 v[8:9], v[8:9], 0, v[10:11]
	s_waitcnt lgkmcnt(0)
	global_store_dwordx2 v[8:9], v[12:13], off
	s_or_b64 exec, exec, s[4:5]
	s_and_saveexec_b64 s[4:5], s[18:19]
	s_cbranch_execnz .LBB138_84
.LBB138_89:
	s_or_b64 exec, exec, s[4:5]
	s_and_saveexec_b64 s[4:5], s[20:21]
	s_cbranch_execz .LBB138_85
.LBB138_90:
	v_lshlrev_b32_e32 v5, 3, v23
	ds_read_b64 v[8:9], v5
	ds_read_b64 v[10:11], v6 offset:26624
	v_lshlrev_b32_e32 v12, 3, v29
	v_mov_b32_e32 v13, 0
	s_waitcnt lgkmcnt(1)
	v_lshl_add_u64 v[8:9], v[8:9], 3, s[42:43]
	v_lshl_add_u64 v[8:9], v[8:9], 0, v[12:13]
	s_waitcnt lgkmcnt(0)
	global_store_dwordx2 v[8:9], v[10:11], off
	s_or_b64 exec, exec, s[4:5]
	s_and_saveexec_b64 s[4:5], s[22:23]
	s_cbranch_execnz .LBB138_86
.LBB138_91:
	s_or_b64 exec, exec, s[4:5]
	s_and_saveexec_b64 s[4:5], s[24:25]
	s_cbranch_execz .LBB138_93
.LBB138_92:
	v_lshlrev_b32_e32 v5, 3, v32
	ds_read_b64 v[8:9], v5
	ds_read_b64 v[10:11], v6 offset:43008
	v_lshlrev_b32_e32 v12, 3, v31
	v_mov_b32_e32 v13, 0
	s_waitcnt lgkmcnt(1)
	v_lshl_add_u64 v[8:9], v[8:9], 3, s[42:43]
	v_lshl_add_u64 v[8:9], v[8:9], 0, v[12:13]
	s_waitcnt lgkmcnt(0)
	global_store_dwordx2 v[8:9], v[10:11], off
.LBB138_93:
	s_or_b64 exec, exec, s[4:5]
	s_add_i32 s3, s3, -1
	s_cmp_eq_u32 s2, s3
	s_cselect_b64 s[4:5], -1, 0
	s_xor_b64 s[6:7], s[12:13], -1
	s_and_b64 s[6:7], s[6:7], s[4:5]
	s_and_saveexec_b64 s[4:5], s[6:7]
	s_cbranch_execz .LBB138_95
; %bb.94:
	ds_read_b64 v[8:9], v6
	v_mov_b32_e32 v5, 0
	v_lshl_add_u64 v[2:3], v[2:3], 0, v[4:5]
	s_waitcnt lgkmcnt(0)
	v_lshl_add_u64 v[2:3], v[2:3], 0, v[8:9]
	global_store_dwordx2 v6, v[2:3], s[46:47]
.LBB138_95:
	s_or_b64 exec, exec, s[4:5]
	s_mov_b64 s[4:5], 0
.LBB138_96:
	s_and_b64 vcc, exec, s[4:5]
	s_cbranch_vccz .LBB138_131
; %bb.97:
	s_mov_b32 s31, 0
	s_lshl_b64 s[4:5], s[30:31], 2
	s_add_u32 s4, s36, s4
	v_mbcnt_hi_u32_b32 v9, -1, v1
	s_addc_u32 s5, s37, s5
	v_and_b32_e32 v1, 0x3c0, v0
	v_mov_b32_e32 v5, 0
	v_lshlrev_b32_e32 v4, 2, v9
	v_mul_u32_u24_e32 v3, 6, v1
	v_lshl_add_u64 v[6:7], s[4:5], 0, v[4:5]
	s_load_dword s3, s[0:1], 0x50
	s_load_dword s4, s[0:1], 0x5c
	v_lshlrev_b32_e32 v4, 2, v3
	v_lshl_add_u64 v[18:19], v[6:7], 0, v[4:5]
	global_load_dword v1, v[18:19], off
	s_add_u32 s0, s0, 0x50
	s_addc_u32 s1, s1, 0
	s_waitcnt lgkmcnt(0)
	s_lshr_b32 s4, s4, 16
	s_cmp_lt_u32 s2, s3
	s_cselect_b32 s5, 12, 18
	s_add_u32 s0, s0, s5
	s_addc_u32 s1, s1, 0
	global_load_ushort v4, v5, s[0:1]
	v_and_b32_e32 v2, 0x3ff, v0
	v_mul_u32_u24_e32 v10, 20, v2
	ds_write2_b32 v10, v5, v5 offset0:16 offset1:17
	ds_write2_b32 v10, v5, v5 offset0:18 offset1:19
	ds_write_b32 v10, v5 offset:80
	global_load_dword v13, v[18:19], off offset:256
	global_load_dword v17, v[18:19], off offset:512
	;; [unrolled: 1-line block ×5, first 2 shown]
	v_bfrev_b32_e32 v14, 1
	v_bfe_u32 v7, v0, 10, 10
	v_bfe_u32 v8, v0, 20, 10
	v_mad_u32_u24 v7, v8, s4, v7
	s_brev_b32 s10, -2
	s_lshl_b32 s4, -1, s49
	v_mov_b32_e32 v0, v5
	v_mov_b32_e32 v24, v5
	;; [unrolled: 1-line block ×3, first 2 shown]
	s_not_b32 s12, s4
	v_mov_b32_e32 v28, v5
	s_movk_i32 s11, 0x44
	s_waitcnt lgkmcnt(0)
	s_barrier
	s_waitcnt vmcnt(6)
	; wave barrier
	v_cmp_lt_i32_e32 vcc, -1, v1
	s_nop 1
	v_cndmask_b32_e32 v8, -1, v14, vcc
	v_xor_b32_e32 v8, v8, v1
	v_cmp_ne_u32_e32 vcc, s10, v8
	s_waitcnt vmcnt(5)
	v_mad_u64_u32 v[18:19], s[0:1], v7, v4, v[2:3]
	v_cndmask_b32_e32 v1, v14, v8, vcc
	v_lshrrev_b32_e32 v1, s48, v1
	v_bitop3_b32 v12, v1, s4, v1 bitop3:0x30
	v_and_b32_e32 v4, 1, v12
	v_lshlrev_b32_e32 v1, 30, v12
	v_lshrrev_b32_e32 v7, 6, v18
	v_lshlrev_b32_e32 v25, 29, v12
	v_lshl_add_u64 v[18:19], v[4:5], 0, -1
	v_cmp_ne_u32_e32 vcc, 0, v4
	v_cmp_gt_i64_e64 s[0:1], 0, v[0:1]
	v_not_b32_e32 v0, v1
	v_lshlrev_b32_e32 v27, 28, v12
	v_not_b32_e32 v1, v25
	v_xor_b32_e32 v16, vcc_hi, v19
	v_xor_b32_e32 v18, vcc_lo, v18
	v_ashrrev_i32_e32 v0, 31, v0
	v_lshlrev_b32_e32 v29, 27, v12
	v_cmp_gt_i64_e64 s[4:5], 0, v[24:25]
	v_not_b32_e32 v4, v27
	v_ashrrev_i32_e32 v1, 31, v1
	v_and_b32_e32 v16, exec_hi, v16
	v_and_b32_e32 v18, exec_lo, v18
	v_xor_b32_e32 v19, s1, v0
	v_xor_b32_e32 v0, s0, v0
	v_cmp_gt_i64_e64 s[6:7], 0, v[26:27]
	v_not_b32_e32 v15, v29
	v_ashrrev_i32_e32 v4, 31, v4
	v_xor_b32_e32 v20, s5, v1
	v_xor_b32_e32 v1, s4, v1
	v_and_b32_e32 v16, v16, v19
	v_and_b32_e32 v0, v18, v0
	v_cmp_gt_i64_e64 s[8:9], 0, v[28:29]
	v_ashrrev_i32_e32 v15, 31, v15
	v_xor_b32_e32 v22, s7, v4
	v_xor_b32_e32 v4, s6, v4
	v_and_b32_e32 v16, v16, v20
	v_and_b32_e32 v0, v0, v1
	v_xor_b32_e32 v24, s9, v15
	v_xor_b32_e32 v15, s8, v15
	v_and_b32_e32 v1, v16, v22
	v_and_b32_e32 v0, v0, v4
	;; [unrolled: 1-line block ×4, first 2 shown]
	v_lshlrev_b32_e32 v1, 26, v12
	v_mov_b32_e32 v0, v5
	v_cmp_gt_i64_e32 vcc, 0, v[0:1]
	v_not_b32_e32 v0, v1
	v_ashrrev_i32_e32 v0, 31, v0
	v_xor_b32_e32 v1, vcc_hi, v0
	v_xor_b32_e32 v0, vcc_lo, v0
	v_and_b32_e32 v4, v4, v1
	v_and_b32_e32 v15, v15, v0
	v_lshlrev_b32_e32 v1, 25, v12
	v_mov_b32_e32 v0, v5
	v_cmp_gt_i64_e32 vcc, 0, v[0:1]
	v_not_b32_e32 v0, v1
	v_ashrrev_i32_e32 v0, 31, v0
	v_xor_b32_e32 v1, vcc_hi, v0
	v_xor_b32_e32 v0, vcc_lo, v0
	v_and_b32_e32 v4, v4, v1
	v_and_b32_e32 v15, v15, v0
	;; [unrolled: 9-line block ×3, first 2 shown]
	v_mbcnt_lo_u32_b32 v4, v0, 0
	v_mul_lo_u32 v11, v12, s11
	v_mbcnt_hi_u32_b32 v12, v1, v4
	v_cmp_eq_u32_e32 vcc, 0, v12
	v_cmp_ne_u64_e64 s[0:1], 0, v[0:1]
	v_lshl_add_u32 v11, v7, 2, v11
	s_and_b64 s[4:5], s[0:1], vcc
	s_and_saveexec_b64 s[0:1], s[4:5]
; %bb.98:
	v_bcnt_u32_b32 v0, v0, 0
	v_bcnt_u32_b32 v0, v1, v0
	ds_write_b32 v11, v0 offset:64
; %bb.99:
	s_or_b64 exec, exec, s[0:1]
	s_waitcnt vmcnt(4)
	v_cmp_lt_i32_e32 vcc, -1, v13
	; wave barrier
	s_nop 1
	v_cndmask_b32_e32 v0, -1, v14, vcc
	v_xor_b32_e32 v13, v0, v13
	v_cmp_ne_u32_e32 vcc, s10, v13
	s_nop 1
	v_cndmask_b32_e32 v0, v14, v13, vcc
	v_lshrrev_b32_e32 v0, s48, v0
	v_and_b32_e32 v16, s12, v0
	v_mul_lo_u32 v0, v16, s11
	v_and_b32_e32 v4, 1, v16
	v_lshl_add_u32 v15, v7, 2, v0
	v_lshl_add_u64 v[0:1], v[4:5], 0, -1
	v_cmp_ne_u32_e32 vcc, 0, v4
	ds_read_b32 v14, v15 offset:64
	s_nop 0
	v_xor_b32_e32 v1, vcc_hi, v1
	v_xor_b32_e32 v0, vcc_lo, v0
	v_and_b32_e32 v4, exec_hi, v1
	v_and_b32_e32 v18, exec_lo, v0
	v_lshlrev_b32_e32 v1, 30, v16
	v_mov_b32_e32 v0, v5
	v_cmp_gt_i64_e32 vcc, 0, v[0:1]
	v_not_b32_e32 v0, v1
	v_ashrrev_i32_e32 v0, 31, v0
	v_xor_b32_e32 v1, vcc_hi, v0
	v_xor_b32_e32 v0, vcc_lo, v0
	v_and_b32_e32 v4, v4, v1
	v_and_b32_e32 v18, v18, v0
	v_lshlrev_b32_e32 v1, 29, v16
	v_mov_b32_e32 v0, v5
	v_cmp_gt_i64_e32 vcc, 0, v[0:1]
	v_not_b32_e32 v0, v1
	v_ashrrev_i32_e32 v0, 31, v0
	v_xor_b32_e32 v1, vcc_hi, v0
	v_xor_b32_e32 v0, vcc_lo, v0
	v_and_b32_e32 v4, v4, v1
	v_and_b32_e32 v18, v18, v0
	;; [unrolled: 9-line block ×7, first 2 shown]
	v_mbcnt_lo_u32_b32 v4, v0, 0
	v_mbcnt_hi_u32_b32 v16, v1, v4
	v_cmp_eq_u32_e32 vcc, 0, v16
	v_cmp_ne_u64_e64 s[0:1], 0, v[0:1]
	s_and_b64 s[4:5], s[0:1], vcc
	; wave barrier
	s_and_saveexec_b64 s[0:1], s[4:5]
	s_cbranch_execz .LBB138_101
; %bb.100:
	v_bcnt_u32_b32 v0, v0, 0
	v_bcnt_u32_b32 v0, v1, v0
	s_waitcnt lgkmcnt(0)
	v_add_u32_e32 v0, v14, v0
	ds_write_b32 v15, v0 offset:64
.LBB138_101:
	s_or_b64 exec, exec, s[0:1]
	v_bfrev_b32_e32 v22, 1
	s_waitcnt vmcnt(3)
	v_cmp_lt_i32_e32 vcc, -1, v17
	s_brev_b32 s4, -2
	s_movk_i32 s5, 0x44
	v_cndmask_b32_e32 v0, -1, v22, vcc
	v_xor_b32_e32 v17, v0, v17
	v_cmp_ne_u32_e32 vcc, s4, v17
	v_mov_b32_e32 v1, 0
	s_nop 0
	v_cndmask_b32_e32 v0, v22, v17, vcc
	v_lshrrev_b32_e32 v0, s48, v0
	v_and_b32_e32 v20, s12, v0
	v_mul_lo_u32 v0, v20, s5
	v_lshl_add_u32 v19, v7, 2, v0
	v_and_b32_e32 v0, 1, v20
	v_lshl_add_u64 v[4:5], v[0:1], 0, -1
	v_cmp_ne_u32_e32 vcc, 0, v0
	; wave barrier
	ds_read_b32 v18, v19 offset:64
	s_nop 0
	v_xor_b32_e32 v4, vcc_lo, v4
	v_xor_b32_e32 v0, vcc_hi, v5
	v_and_b32_e32 v24, exec_lo, v4
	v_lshlrev_b32_e32 v5, 30, v20
	v_mov_b32_e32 v4, v1
	v_cmp_gt_i64_e32 vcc, 0, v[4:5]
	v_not_b32_e32 v4, v5
	v_ashrrev_i32_e32 v4, 31, v4
	v_and_b32_e32 v0, exec_hi, v0
	v_xor_b32_e32 v5, vcc_hi, v4
	v_xor_b32_e32 v4, vcc_lo, v4
	v_and_b32_e32 v0, v0, v5
	v_and_b32_e32 v24, v24, v4
	v_lshlrev_b32_e32 v5, 29, v20
	v_mov_b32_e32 v4, v1
	v_cmp_gt_i64_e32 vcc, 0, v[4:5]
	v_not_b32_e32 v4, v5
	v_ashrrev_i32_e32 v4, 31, v4
	v_xor_b32_e32 v5, vcc_hi, v4
	v_xor_b32_e32 v4, vcc_lo, v4
	v_and_b32_e32 v0, v0, v5
	v_and_b32_e32 v24, v24, v4
	v_lshlrev_b32_e32 v5, 28, v20
	v_mov_b32_e32 v4, v1
	v_cmp_gt_i64_e32 vcc, 0, v[4:5]
	v_not_b32_e32 v4, v5
	v_ashrrev_i32_e32 v4, 31, v4
	;; [unrolled: 9-line block ×6, first 2 shown]
	v_xor_b32_e32 v5, vcc_hi, v4
	v_xor_b32_e32 v4, vcc_lo, v4
	v_and_b32_e32 v4, v24, v4
	v_and_b32_e32 v5, v0, v5
	v_mbcnt_lo_u32_b32 v0, v4, 0
	v_mbcnt_hi_u32_b32 v20, v5, v0
	v_cmp_eq_u32_e32 vcc, 0, v20
	v_cmp_ne_u64_e64 s[0:1], 0, v[4:5]
	s_and_b64 s[6:7], s[0:1], vcc
	; wave barrier
	s_and_saveexec_b64 s[0:1], s[6:7]
	s_cbranch_execz .LBB138_103
; %bb.102:
	v_bcnt_u32_b32 v0, v4, 0
	v_bcnt_u32_b32 v0, v5, v0
	s_waitcnt lgkmcnt(0)
	v_add_u32_e32 v0, v18, v0
	ds_write_b32 v19, v0 offset:64
.LBB138_103:
	s_or_b64 exec, exec, s[0:1]
	s_waitcnt vmcnt(2)
	v_cmp_lt_i32_e32 vcc, -1, v21
	; wave barrier
	s_nop 1
	v_cndmask_b32_e32 v0, -1, v22, vcc
	v_xor_b32_e32 v21, v0, v21
	v_cmp_ne_u32_e32 vcc, s4, v21
	s_nop 1
	v_cndmask_b32_e32 v0, v22, v21, vcc
	v_lshrrev_b32_e32 v0, s48, v0
	v_and_b32_e32 v25, s12, v0
	v_mul_lo_u32 v0, v25, s5
	v_lshl_add_u32 v24, v7, 2, v0
	v_and_b32_e32 v0, 1, v25
	v_lshl_add_u64 v[4:5], v[0:1], 0, -1
	v_cmp_ne_u32_e32 vcc, 0, v0
	ds_read_b32 v22, v24 offset:64
	s_nop 0
	v_xor_b32_e32 v4, vcc_lo, v4
	v_xor_b32_e32 v0, vcc_hi, v5
	v_and_b32_e32 v26, exec_lo, v4
	v_lshlrev_b32_e32 v5, 30, v25
	v_mov_b32_e32 v4, v1
	v_cmp_gt_i64_e32 vcc, 0, v[4:5]
	v_not_b32_e32 v4, v5
	v_ashrrev_i32_e32 v4, 31, v4
	v_and_b32_e32 v0, exec_hi, v0
	v_xor_b32_e32 v5, vcc_hi, v4
	v_xor_b32_e32 v4, vcc_lo, v4
	v_and_b32_e32 v0, v0, v5
	v_and_b32_e32 v26, v26, v4
	v_lshlrev_b32_e32 v5, 29, v25
	v_mov_b32_e32 v4, v1
	v_cmp_gt_i64_e32 vcc, 0, v[4:5]
	v_not_b32_e32 v4, v5
	v_ashrrev_i32_e32 v4, 31, v4
	v_xor_b32_e32 v5, vcc_hi, v4
	v_xor_b32_e32 v4, vcc_lo, v4
	v_and_b32_e32 v0, v0, v5
	v_and_b32_e32 v26, v26, v4
	v_lshlrev_b32_e32 v5, 28, v25
	v_mov_b32_e32 v4, v1
	v_cmp_gt_i64_e32 vcc, 0, v[4:5]
	v_not_b32_e32 v4, v5
	v_ashrrev_i32_e32 v4, 31, v4
	;; [unrolled: 9-line block ×5, first 2 shown]
	v_xor_b32_e32 v5, vcc_hi, v4
	v_xor_b32_e32 v4, vcc_lo, v4
	v_and_b32_e32 v0, v0, v5
	v_lshlrev_b32_e32 v5, 24, v25
	v_and_b32_e32 v26, v26, v4
	v_mov_b32_e32 v4, v1
	v_not_b32_e32 v1, v5
	v_cmp_gt_i64_e32 vcc, 0, v[4:5]
	v_ashrrev_i32_e32 v1, 31, v1
	; wave barrier
	s_nop 0
	v_xor_b32_e32 v4, vcc_hi, v1
	v_xor_b32_e32 v5, vcc_lo, v1
	v_and_b32_e32 v1, v0, v4
	v_and_b32_e32 v0, v26, v5
	v_mbcnt_lo_u32_b32 v4, v0, 0
	v_mbcnt_hi_u32_b32 v25, v1, v4
	v_cmp_eq_u32_e32 vcc, 0, v25
	v_cmp_ne_u64_e64 s[0:1], 0, v[0:1]
	s_and_b64 s[4:5], s[0:1], vcc
	s_and_saveexec_b64 s[0:1], s[4:5]
	s_cbranch_execz .LBB138_105
; %bb.104:
	v_bcnt_u32_b32 v0, v0, 0
	v_bcnt_u32_b32 v0, v1, v0
	s_waitcnt lgkmcnt(0)
	v_add_u32_e32 v0, v22, v0
	ds_write_b32 v24, v0 offset:64
.LBB138_105:
	s_or_b64 exec, exec, s[0:1]
	v_bfrev_b32_e32 v30, 1
	s_waitcnt vmcnt(1)
	v_cmp_lt_i32_e32 vcc, -1, v23
	s_brev_b32 s4, -2
	s_movk_i32 s5, 0x44
	v_cndmask_b32_e32 v0, -1, v30, vcc
	v_xor_b32_e32 v23, v0, v23
	v_cmp_ne_u32_e32 vcc, s4, v23
	v_mov_b32_e32 v1, 0
	s_nop 0
	v_cndmask_b32_e32 v0, v30, v23, vcc
	v_lshrrev_b32_e32 v0, s48, v0
	v_and_b32_e32 v28, s12, v0
	v_mul_lo_u32 v0, v28, s5
	v_lshl_add_u32 v27, v7, 2, v0
	v_and_b32_e32 v0, 1, v28
	v_lshl_add_u64 v[4:5], v[0:1], 0, -1
	v_cmp_ne_u32_e32 vcc, 0, v0
	; wave barrier
	ds_read_b32 v26, v27 offset:64
	s_nop 0
	v_xor_b32_e32 v4, vcc_lo, v4
	v_xor_b32_e32 v0, vcc_hi, v5
	v_and_b32_e32 v29, exec_lo, v4
	v_lshlrev_b32_e32 v5, 30, v28
	v_mov_b32_e32 v4, v1
	v_cmp_gt_i64_e32 vcc, 0, v[4:5]
	v_not_b32_e32 v4, v5
	v_ashrrev_i32_e32 v4, 31, v4
	v_and_b32_e32 v0, exec_hi, v0
	v_xor_b32_e32 v5, vcc_hi, v4
	v_xor_b32_e32 v4, vcc_lo, v4
	v_and_b32_e32 v0, v0, v5
	v_and_b32_e32 v29, v29, v4
	v_lshlrev_b32_e32 v5, 29, v28
	v_mov_b32_e32 v4, v1
	v_cmp_gt_i64_e32 vcc, 0, v[4:5]
	v_not_b32_e32 v4, v5
	v_ashrrev_i32_e32 v4, 31, v4
	v_xor_b32_e32 v5, vcc_hi, v4
	v_xor_b32_e32 v4, vcc_lo, v4
	v_and_b32_e32 v0, v0, v5
	v_and_b32_e32 v29, v29, v4
	v_lshlrev_b32_e32 v5, 28, v28
	v_mov_b32_e32 v4, v1
	v_cmp_gt_i64_e32 vcc, 0, v[4:5]
	v_not_b32_e32 v4, v5
	v_ashrrev_i32_e32 v4, 31, v4
	;; [unrolled: 9-line block ×6, first 2 shown]
	v_xor_b32_e32 v5, vcc_hi, v4
	v_xor_b32_e32 v4, vcc_lo, v4
	v_and_b32_e32 v4, v29, v4
	v_and_b32_e32 v5, v0, v5
	v_mbcnt_lo_u32_b32 v0, v4, 0
	v_mbcnt_hi_u32_b32 v28, v5, v0
	v_cmp_eq_u32_e32 vcc, 0, v28
	v_cmp_ne_u64_e64 s[0:1], 0, v[4:5]
	s_and_b64 s[6:7], s[0:1], vcc
	; wave barrier
	s_and_saveexec_b64 s[0:1], s[6:7]
	s_cbranch_execz .LBB138_107
; %bb.106:
	v_bcnt_u32_b32 v0, v4, 0
	v_bcnt_u32_b32 v0, v5, v0
	s_waitcnt lgkmcnt(0)
	v_add_u32_e32 v0, v26, v0
	ds_write_b32 v27, v0 offset:64
.LBB138_107:
	s_or_b64 exec, exec, s[0:1]
	s_waitcnt vmcnt(0)
	v_cmp_lt_i32_e32 vcc, -1, v6
	; wave barrier
	s_nop 1
	v_cndmask_b32_e32 v0, -1, v30, vcc
	v_xor_b32_e32 v29, v0, v6
	v_cmp_ne_u32_e32 vcc, s4, v29
	s_nop 1
	v_cndmask_b32_e32 v0, v30, v29, vcc
	v_lshrrev_b32_e32 v0, s48, v0
	v_and_b32_e32 v6, s12, v0
	v_mul_lo_u32 v0, v6, s5
	v_lshl_add_u32 v31, v7, 2, v0
	v_and_b32_e32 v0, 1, v6
	v_lshl_add_u64 v[4:5], v[0:1], 0, -1
	v_cmp_ne_u32_e32 vcc, 0, v0
	ds_read_b32 v30, v31 offset:64
	s_nop 0
	v_xor_b32_e32 v4, vcc_lo, v4
	v_xor_b32_e32 v0, vcc_hi, v5
	v_and_b32_e32 v7, exec_lo, v4
	v_lshlrev_b32_e32 v5, 30, v6
	v_mov_b32_e32 v4, v1
	v_cmp_gt_i64_e32 vcc, 0, v[4:5]
	v_not_b32_e32 v4, v5
	v_ashrrev_i32_e32 v4, 31, v4
	v_and_b32_e32 v0, exec_hi, v0
	v_xor_b32_e32 v5, vcc_hi, v4
	v_xor_b32_e32 v4, vcc_lo, v4
	v_and_b32_e32 v0, v0, v5
	v_and_b32_e32 v7, v7, v4
	v_lshlrev_b32_e32 v5, 29, v6
	v_mov_b32_e32 v4, v1
	v_cmp_gt_i64_e32 vcc, 0, v[4:5]
	v_not_b32_e32 v4, v5
	v_ashrrev_i32_e32 v4, 31, v4
	v_xor_b32_e32 v5, vcc_hi, v4
	v_xor_b32_e32 v4, vcc_lo, v4
	v_and_b32_e32 v0, v0, v5
	v_and_b32_e32 v7, v7, v4
	v_lshlrev_b32_e32 v5, 28, v6
	v_mov_b32_e32 v4, v1
	v_cmp_gt_i64_e32 vcc, 0, v[4:5]
	v_not_b32_e32 v4, v5
	v_ashrrev_i32_e32 v4, 31, v4
	;; [unrolled: 9-line block ×5, first 2 shown]
	v_xor_b32_e32 v5, vcc_hi, v4
	v_xor_b32_e32 v4, vcc_lo, v4
	v_and_b32_e32 v0, v0, v5
	v_lshlrev_b32_e32 v5, 24, v6
	v_and_b32_e32 v7, v7, v4
	v_mov_b32_e32 v4, v1
	v_not_b32_e32 v1, v5
	v_cmp_gt_i64_e32 vcc, 0, v[4:5]
	v_ashrrev_i32_e32 v1, 31, v1
	; wave barrier
	s_nop 0
	v_xor_b32_e32 v4, vcc_hi, v1
	v_xor_b32_e32 v5, vcc_lo, v1
	v_and_b32_e32 v1, v0, v4
	v_and_b32_e32 v0, v7, v5
	v_mbcnt_lo_u32_b32 v4, v0, 0
	v_mbcnt_hi_u32_b32 v32, v1, v4
	v_cmp_eq_u32_e32 vcc, 0, v32
	v_cmp_ne_u64_e64 s[0:1], 0, v[0:1]
	s_and_b64 s[4:5], s[0:1], vcc
	s_and_saveexec_b64 s[0:1], s[4:5]
	s_cbranch_execz .LBB138_109
; %bb.108:
	v_bcnt_u32_b32 v0, v0, 0
	v_bcnt_u32_b32 v0, v1, v0
	s_waitcnt lgkmcnt(0)
	v_add_u32_e32 v0, v30, v0
	ds_write_b32 v31, v0 offset:64
.LBB138_109:
	s_or_b64 exec, exec, s[0:1]
	; wave barrier
	s_waitcnt lgkmcnt(0)
	s_barrier
	ds_read2_b32 v[6:7], v10 offset0:16 offset1:17
	ds_read2_b32 v[4:5], v10 offset0:18 offset1:19
	ds_read_b32 v0, v10 offset:80
	v_cmp_lt_u32_e64 s[8:9], 31, v9
	s_waitcnt lgkmcnt(1)
	v_add3_u32 v1, v7, v6, v4
	s_waitcnt lgkmcnt(0)
	v_add3_u32 v0, v1, v5, v0
	v_and_b32_e32 v1, 15, v9
	v_cmp_eq_u32_e32 vcc, 0, v1
	v_mov_b32_dpp v33, v0 row_shr:1 row_mask:0xf bank_mask:0xf
	v_cmp_lt_u32_e64 s[0:1], 1, v1
	v_cndmask_b32_e64 v33, v33, 0, vcc
	v_add_u32_e32 v0, v33, v0
	v_cmp_lt_u32_e64 s[6:7], 3, v1
	v_cmp_lt_u32_e64 s[4:5], 7, v1
	v_mov_b32_dpp v33, v0 row_shr:2 row_mask:0xf bank_mask:0xf
	v_cndmask_b32_e64 v33, 0, v33, s[0:1]
	v_add_u32_e32 v0, v0, v33
	s_nop 1
	v_mov_b32_dpp v33, v0 row_shr:4 row_mask:0xf bank_mask:0xf
	v_cndmask_b32_e64 v33, 0, v33, s[6:7]
	v_add_u32_e32 v0, v0, v33
	s_nop 1
	v_mov_b32_dpp v33, v0 row_shr:8 row_mask:0xf bank_mask:0xf
	v_cndmask_b32_e64 v1, 0, v33, s[4:5]
	v_add_u32_e32 v0, v0, v1
	v_bfe_i32 v33, v9, 4, 1
	s_nop 0
	v_mov_b32_dpp v1, v0 row_bcast:15 row_mask:0xf bank_mask:0xf
	v_and_b32_e32 v1, v33, v1
	v_add_u32_e32 v0, v0, v1
	v_lshrrev_b32_e32 v33, 6, v2
	s_nop 0
	v_mov_b32_dpp v1, v0 row_bcast:31 row_mask:0xf bank_mask:0xf
	v_cndmask_b32_e64 v1, 0, v1, s[8:9]
	v_add_u32_e32 v1, v0, v1
	v_and_b32_e32 v0, 63, v2
	v_cmp_eq_u32_e64 s[8:9], 63, v0
	s_and_saveexec_b64 s[10:11], s[8:9]
; %bb.110:
	v_lshlrev_b32_e32 v0, 2, v33
	ds_write_b32 v0, v1
; %bb.111:
	s_or_b64 exec, exec, s[10:11]
	v_cmp_gt_u32_e64 s[8:9], 16, v2
	v_lshlrev_b32_e32 v0, 2, v2
	s_waitcnt lgkmcnt(0)
	s_barrier
	s_and_saveexec_b64 s[10:11], s[8:9]
	s_cbranch_execz .LBB138_113
; %bb.112:
	ds_read_b32 v34, v0
	s_waitcnt lgkmcnt(0)
	s_nop 0
	v_mov_b32_dpp v35, v34 row_shr:1 row_mask:0xf bank_mask:0xf
	v_cndmask_b32_e64 v35, v35, 0, vcc
	v_add_u32_e32 v34, v35, v34
	s_nop 1
	v_mov_b32_dpp v35, v34 row_shr:2 row_mask:0xf bank_mask:0xf
	v_cndmask_b32_e64 v35, 0, v35, s[0:1]
	v_add_u32_e32 v34, v34, v35
	s_nop 1
	v_mov_b32_dpp v35, v34 row_shr:4 row_mask:0xf bank_mask:0xf
	v_cndmask_b32_e64 v35, 0, v35, s[6:7]
	;; [unrolled: 4-line block ×3, first 2 shown]
	v_add_u32_e32 v34, v34, v35
	ds_write_b32 v0, v34
.LBB138_113:
	s_or_b64 exec, exec, s[10:11]
	v_cmp_lt_u32_e32 vcc, 63, v2
	v_mov_b32_e32 v34, 0
	s_waitcnt lgkmcnt(0)
	s_barrier
	s_and_saveexec_b64 s[0:1], vcc
; %bb.114:
	v_lshl_add_u32 v33, v33, 2, -4
	ds_read_b32 v34, v33
; %bb.115:
	s_or_b64 exec, exec, s[0:1]
	v_add_u32_e32 v33, -1, v9
	v_and_b32_e32 v35, 64, v9
	v_cmp_lt_i32_e32 vcc, v33, v35
	s_waitcnt lgkmcnt(0)
	v_add_u32_e32 v1, v34, v1
	s_movk_i32 s0, 0xff
	v_cndmask_b32_e32 v33, v33, v9, vcc
	v_lshlrev_b32_e32 v33, 2, v33
	ds_bpermute_b32 v1, v33, v1
	v_cmp_eq_u32_e32 vcc, 0, v9
	s_movk_i32 s4, 0x100
	s_waitcnt lgkmcnt(0)
	v_cndmask_b32_e32 v1, v1, v34, vcc
	v_cmp_ne_u32_e32 vcc, 0, v2
	s_nop 1
	v_cndmask_b32_e32 v1, 0, v1, vcc
	v_add_u32_e32 v6, v1, v6
	v_add_u32_e32 v7, v6, v7
	;; [unrolled: 1-line block ×4, first 2 shown]
	ds_write2_b32 v10, v1, v6 offset0:16 offset1:17
	ds_write2_b32 v10, v7, v4 offset0:18 offset1:19
	ds_write_b32 v10, v5 offset:80
	s_waitcnt lgkmcnt(0)
	s_barrier
	ds_read_b32 v1, v11 offset:64
	ds_read_b32 v7, v15 offset:64
	;; [unrolled: 1-line block ×6, first 2 shown]
	v_cmp_lt_u32_e32 vcc, s0, v2
	v_cmp_gt_u32_e64 s[0:1], s4, v2
	v_mov_b64_e32 v[4:5], 0
                                        ; implicit-def: $vgpr6
	s_and_saveexec_b64 s[6:7], s[0:1]
	s_cbranch_execz .LBB138_119
; %bb.116:
	v_mul_u32_u24_e32 v4, 0x44, v2
	ds_read_b32 v4, v4 offset:64
	v_add_u32_e32 v6, 1, v2
	v_cmp_ne_u32_e64 s[4:5], s4, v6
	v_mov_b32_e32 v5, 0x1800
	s_and_saveexec_b64 s[8:9], s[4:5]
; %bb.117:
	v_mul_u32_u24_e32 v5, 0x44, v6
	ds_read_b32 v5, v5 offset:64
; %bb.118:
	s_or_b64 exec, exec, s[8:9]
	s_waitcnt lgkmcnt(0)
	v_sub_u32_e32 v6, v5, v4
	v_mov_b32_e32 v5, 0
.LBB138_119:
	s_or_b64 exec, exec, s[6:7]
	s_waitcnt lgkmcnt(5)
	v_add_u32_e32 v27, v1, v12
	s_waitcnt lgkmcnt(4)
	v_add3_u32 v24, v16, v14, v7
	v_lshlrev_b32_e32 v1, 2, v27
	s_waitcnt lgkmcnt(3)
	v_add3_u32 v19, v20, v18, v10
	s_waitcnt lgkmcnt(0)
	s_barrier
	ds_write_b32 v1, v8 offset:2048
	v_lshlrev_b32_e32 v1, 2, v24
	v_add3_u32 v18, v25, v22, v11
	ds_write_b32 v1, v13 offset:2048
	v_lshlrev_b32_e32 v1, 2, v19
	v_add3_u32 v16, v28, v26, v15
	;; [unrolled: 3-line block ×3, first 2 shown]
	ds_write_b32 v1, v21 offset:2048
	v_lshlrev_b32_e32 v1, 2, v16
	ds_write_b32 v1, v23 offset:2048
	v_lshlrev_b32_e32 v1, 2, v7
	v_mov_b32_e32 v11, 0
	v_lshlrev_b32_e32 v8, 3, v2
	ds_write_b32 v1, v29 offset:2048
	s_waitcnt lgkmcnt(0)
	s_barrier
	s_and_saveexec_b64 s[4:5], s[0:1]
	s_cbranch_execz .LBB138_129
; %bb.120:
	v_lshl_add_u32 v10, s2, 8, v2
	v_lshl_add_u64 v[12:13], v[10:11], 2, s[34:35]
	v_or_b32_e32 v1, 2.0, v6
	global_store_dword v[12:13], v1, off sc1
	s_mov_b64 s[6:7], 0
	s_brev_b32 s13, -4
	s_mov_b32 s14, s2
	v_mov_b32_e32 v1, 0
                                        ; implicit-def: $sgpr0_sgpr1
	s_branch .LBB138_123
.LBB138_121:                            ;   in Loop: Header=BB138_123 Depth=1
	s_or_b64 exec, exec, s[10:11]
.LBB138_122:                            ;   in Loop: Header=BB138_123 Depth=1
	s_or_b64 exec, exec, s[8:9]
	v_and_b32_e32 v14, 0x3fffffff, v10
	v_add_u32_e32 v1, v14, v1
	v_cmp_gt_i32_e64 s[0:1], -2.0, v10
	s_and_b64 s[8:9], exec, s[0:1]
	s_or_b64 s[6:7], s[8:9], s[6:7]
	s_andn2_b64 exec, exec, s[6:7]
	s_cbranch_execz .LBB138_128
.LBB138_123:                            ; =>This Loop Header: Depth=1
                                        ;     Child Loop BB138_126 Depth 2
	s_or_b64 s[0:1], s[0:1], exec
	s_cmp_eq_u32 s14, 0
	s_cbranch_scc1 .LBB138_127
; %bb.124:                              ;   in Loop: Header=BB138_123 Depth=1
	s_add_i32 s14, s14, -1
	v_lshl_or_b32 v10, s14, 8, v2
	v_lshl_add_u64 v[14:15], v[10:11], 2, s[34:35]
	global_load_dword v10, v[14:15], off sc1
	s_waitcnt vmcnt(0)
	v_cmp_gt_u32_e64 s[0:1], 2.0, v10
	s_and_saveexec_b64 s[8:9], s[0:1]
	s_cbranch_execz .LBB138_122
; %bb.125:                              ;   in Loop: Header=BB138_123 Depth=1
	s_mov_b64 s[10:11], 0
.LBB138_126:                            ;   Parent Loop BB138_123 Depth=1
                                        ; =>  This Inner Loop Header: Depth=2
	global_load_dword v10, v[14:15], off sc1
	s_waitcnt vmcnt(0)
	v_cmp_lt_u32_e64 s[0:1], s13, v10
	s_or_b64 s[10:11], s[0:1], s[10:11]
	s_andn2_b64 exec, exec, s[10:11]
	s_cbranch_execnz .LBB138_126
	s_branch .LBB138_121
.LBB138_127:                            ;   in Loop: Header=BB138_123 Depth=1
                                        ; implicit-def: $sgpr14
	s_and_b64 s[8:9], exec, s[0:1]
	s_or_b64 s[6:7], s[8:9], s[6:7]
	s_andn2_b64 exec, exec, s[6:7]
	s_cbranch_execnz .LBB138_123
.LBB138_128:
	s_or_b64 exec, exec, s[6:7]
	v_add_u32_e32 v10, v1, v6
	v_or_b32_e32 v10, 0x80000000, v10
	global_store_dword v[12:13], v10, off sc1
	global_load_dwordx2 v[10:11], v8, s[44:45]
	v_sub_co_u32_e64 v12, s[0:1], v1, v4
	s_nop 1
	v_subb_co_u32_e64 v13, s[0:1], 0, v5, s[0:1]
	s_waitcnt vmcnt(0)
	v_lshl_add_u64 v[10:11], v[12:13], 0, v[10:11]
	ds_write_b64 v8, v[10:11]
.LBB138_129:
	s_or_b64 exec, exec, s[4:5]
	v_sub_u32_e32 v17, v8, v0
	s_waitcnt lgkmcnt(0)
	s_barrier
	ds_read2st64_b32 v[10:11], v17 offset0:8 offset1:24
	s_brev_b32 s4, -2
	v_bfrev_b32_e32 v25, 1
	v_or_b32_e32 v51, 0x400, v2
	v_or_b32_e32 v52, 0x800, v2
	s_waitcnt lgkmcnt(0)
	v_cmp_ne_u32_e64 s[0:1], s4, v10
	v_or_b32_e32 v53, 0xc00, v2
	v_or_b32_e32 v54, 0x1000, v2
	v_cndmask_b32_e64 v1, v25, v10, s[0:1]
	v_lshrrev_b32_e32 v1, s48, v1
	v_and_b32_e32 v1, s12, v1
	v_lshlrev_b32_e32 v26, 3, v1
	ds_read_b64 v[12:13], v26
	ds_read2st64_b32 v[14:15], v17 offset0:40 offset1:56
	v_cmp_ne_u32_e64 s[0:1], s4, v11
	v_or_b32_e32 v57, 0x1400, v2
	s_waitcnt lgkmcnt(1)
	v_lshl_add_u64 v[12:13], v[12:13], 2, s[38:39]
	v_cndmask_b32_e64 v1, v25, v11, s[0:1]
	v_lshrrev_b32_e32 v1, s48, v1
	v_and_b32_e32 v1, s12, v1
	s_waitcnt lgkmcnt(0)
	v_cmp_ne_u32_e64 s[0:1], s4, v14
	v_lshlrev_b32_e32 v48, 3, v1
	s_nop 0
	v_cndmask_b32_e64 v1, v25, v14, s[0:1]
	v_lshrrev_b32_e32 v1, s48, v1
	v_and_b32_e32 v1, s12, v1
	v_cmp_ne_u32_e64 s[0:1], s4, v15
	v_lshlrev_b32_e32 v49, 3, v1
	s_nop 0
	v_cndmask_b32_e64 v1, v25, v15, s[0:1]
	v_lshrrev_b32_e32 v1, s48, v1
	v_and_b32_e32 v1, s12, v1
	v_lshlrev_b32_e32 v50, 3, v1
	ds_read_b64 v[20:21], v48
	ds_read_b64 v[22:23], v49
	ds_read_b64 v[28:29], v50
	ds_read2st64_b32 v[30:31], v17 offset0:72 offset1:88
	v_mov_b32_e32 v1, 0
	v_lshl_add_u64 v[12:13], v[12:13], 0, v[0:1]
	s_waitcnt lgkmcnt(3)
	v_lshl_add_u64 v[20:21], v[20:21], 2, s[38:39]
	v_lshlrev_b32_e32 v0, 2, v51
	v_lshl_add_u64 v[20:21], v[20:21], 0, v[0:1]
	s_waitcnt lgkmcnt(2)
	v_lshl_add_u64 v[22:23], v[22:23], 2, s[38:39]
	v_lshlrev_b32_e32 v0, 2, v52
	;; [unrolled: 4-line block ×3, first 2 shown]
	s_waitcnt lgkmcnt(0)
	v_cmp_ne_u32_e64 s[0:1], s4, v30
	v_lshl_add_u64 v[28:29], v[28:29], 0, v[0:1]
	s_nop 0
	v_cndmask_b32_e64 v0, v25, v30, s[0:1]
	v_lshrrev_b32_e32 v0, s48, v0
	v_and_b32_e32 v0, s12, v0
	v_cmp_ne_u32_e64 s[0:1], s4, v31
	v_lshlrev_b32_e32 v55, 3, v0
	ds_read_b64 v[32:33], v55
	v_cndmask_b32_e64 v0, v25, v31, s[0:1]
	v_lshrrev_b32_e32 v0, s48, v0
	v_and_b32_e32 v0, s12, v0
	v_lshlrev_b32_e32 v56, 3, v0
	ds_read_b64 v[34:35], v56
	s_waitcnt lgkmcnt(1)
	v_lshl_add_u64 v[32:33], v[32:33], 2, s[38:39]
	v_lshlrev_b32_e32 v0, 2, v54
	s_lshl_b64 s[0:1], s[30:31], 3
	v_lshl_add_u64 v[32:33], v[32:33], 0, v[0:1]
	s_waitcnt lgkmcnt(0)
	v_lshl_add_u64 v[34:35], v[34:35], 2, s[38:39]
	v_lshlrev_b32_e32 v0, 2, v57
	s_add_u32 s0, s40, s0
	v_lshl_add_u64 v[34:35], v[34:35], 0, v[0:1]
	s_addc_u32 s1, s41, s1
	v_lshlrev_b32_e32 v0, 3, v9
	v_lshl_add_u64 v[36:37], s[0:1], 0, v[0:1]
	v_lshlrev_b32_e32 v0, 3, v3
	v_lshl_add_u64 v[2:3], v[36:37], 0, v[0:1]
	global_load_dwordx2 v[36:37], v[2:3], off
	global_load_dwordx2 v[38:39], v[2:3], off offset:512
	global_load_dwordx2 v[40:41], v[2:3], off offset:1024
	;; [unrolled: 1-line block ×5, first 2 shown]
	v_cmp_lt_i32_e64 s[0:1], -1, v10
	v_mov_b32_e32 v9, v1
	s_add_i32 s3, s3, -1
	v_cndmask_b32_e64 v0, v25, -1, s[0:1]
	v_xor_b32_e32 v0, v0, v10
	v_cmp_lt_i32_e64 s[0:1], -1, v11
	global_store_dword v[12:13], v0, off
	s_cmp_eq_u32 s2, s3
	v_cndmask_b32_e64 v0, v25, -1, s[0:1]
	v_xor_b32_e32 v0, v0, v11
	v_cmp_lt_i32_e64 s[0:1], -1, v14
	global_store_dword v[20:21], v0, off
	s_nop 0
	v_cndmask_b32_e64 v0, v25, -1, s[0:1]
	v_xor_b32_e32 v0, v0, v14
	v_cmp_lt_i32_e64 s[0:1], -1, v15
	global_store_dword v[22:23], v0, off
	s_nop 0
	;; [unrolled: 5-line block ×4, first 2 shown]
	v_cndmask_b32_e64 v0, v25, -1, s[0:1]
	v_xor_b32_e32 v0, v0, v31
	global_store_dword v[34:35], v0, off
	v_lshlrev_b32_e32 v0, 3, v27
	s_barrier
	s_cselect_b64 s[0:1], -1, 0
	s_xor_b64 s[2:3], vcc, -1
	s_and_b64 s[0:1], s[2:3], s[0:1]
	s_waitcnt vmcnt(11)
	ds_write_b64 v0, v[36:37] offset:2048
	v_lshlrev_b32_e32 v0, 3, v24
	s_waitcnt vmcnt(10)
	ds_write_b64 v0, v[38:39] offset:2048
	v_lshlrev_b32_e32 v0, 3, v19
	;; [unrolled: 3-line block ×5, first 2 shown]
	s_waitcnt vmcnt(6)
	ds_write_b64 v0, v[46:47] offset:2048
	s_waitcnt lgkmcnt(0)
	s_barrier
	ds_read_b64 v[2:3], v26
	ds_read2st64_b64 v[10:13], v8 offset0:4 offset1:20
	ds_read_b64 v[14:15], v48
	ds_read_b64 v[18:19], v49
	;; [unrolled: 1-line block ×3, first 2 shown]
	s_waitcnt lgkmcnt(4)
	v_lshl_add_u64 v[2:3], v[2:3], 3, s[42:43]
	v_lshl_add_u64 v[2:3], v[2:3], 0, v[8:9]
	s_waitcnt lgkmcnt(3)
	global_store_dwordx2 v[2:3], v[10:11], off
	s_waitcnt lgkmcnt(2)
	v_lshl_add_u64 v[2:3], v[14:15], 3, s[42:43]
	ds_read2st64_b64 v[14:17], v8 offset0:36 offset1:52
	v_lshlrev_b32_e32 v0, 3, v51
	v_lshl_add_u64 v[2:3], v[2:3], 0, v[0:1]
	global_store_dwordx2 v[2:3], v[12:13], off
	s_waitcnt lgkmcnt(2)
	v_lshl_add_u64 v[2:3], v[18:19], 3, s[42:43]
	v_lshlrev_b32_e32 v0, 3, v52
	v_lshl_add_u64 v[2:3], v[2:3], 0, v[0:1]
	s_waitcnt lgkmcnt(0)
	global_store_dwordx2 v[2:3], v[14:15], off
	v_lshl_add_u64 v[2:3], v[20:21], 3, s[42:43]
	v_lshlrev_b32_e32 v0, 3, v53
	v_lshl_add_u64 v[2:3], v[2:3], 0, v[0:1]
	ds_read_b64 v[14:15], v55
	global_store_dwordx2 v[2:3], v[16:17], off
	ds_read2st64_b64 v[10:13], v8 offset0:68 offset1:84
	ds_read_b64 v[2:3], v56
	v_lshlrev_b32_e32 v0, 3, v54
	s_waitcnt lgkmcnt(2)
	v_lshl_add_u64 v[14:15], v[14:15], 3, s[42:43]
	v_lshl_add_u64 v[14:15], v[14:15], 0, v[0:1]
	s_waitcnt lgkmcnt(0)
	v_lshl_add_u64 v[2:3], v[2:3], 3, s[42:43]
	v_lshlrev_b32_e32 v0, 3, v57
	v_lshl_add_u64 v[2:3], v[2:3], 0, v[0:1]
	global_store_dwordx2 v[14:15], v[10:11], off
	global_store_dwordx2 v[2:3], v[12:13], off
	s_and_saveexec_b64 s[2:3], s[0:1]
	s_cbranch_execz .LBB138_131
; %bb.130:
	ds_read_b64 v[2:3], v8
	v_mov_b32_e32 v7, v1
	v_lshl_add_u64 v[0:1], v[4:5], 0, v[6:7]
	s_waitcnt lgkmcnt(0)
	v_lshl_add_u64 v[0:1], v[0:1], 0, v[2:3]
	global_store_dwordx2 v8, v[0:1], s[46:47]
.LBB138_131:
	s_endpgm
	.section	.rodata,"a",@progbits
	.p2align	6, 0x0
	.amdhsa_kernel _ZN7rocprim17ROCPRIM_304000_NS6detail25onesweep_iteration_kernelINS1_34wrapped_radix_sort_onesweep_configINS0_14default_configEfN2at4cuda3cub6detail10OpaqueTypeILi8EEEEELb0EPKfPfPKSA_PSA_mNS0_19identity_decomposerEEEvT1_T2_T3_T4_jPT5_SO_PNS1_23onesweep_lookback_stateET6_jjj
		.amdhsa_group_segment_fixed_size 51200
		.amdhsa_private_segment_fixed_size 0
		.amdhsa_kernarg_size 336
		.amdhsa_user_sgpr_count 2
		.amdhsa_user_sgpr_dispatch_ptr 0
		.amdhsa_user_sgpr_queue_ptr 0
		.amdhsa_user_sgpr_kernarg_segment_ptr 1
		.amdhsa_user_sgpr_dispatch_id 0
		.amdhsa_user_sgpr_kernarg_preload_length 0
		.amdhsa_user_sgpr_kernarg_preload_offset 0
		.amdhsa_user_sgpr_private_segment_size 0
		.amdhsa_uses_dynamic_stack 0
		.amdhsa_enable_private_segment 0
		.amdhsa_system_sgpr_workgroup_id_x 1
		.amdhsa_system_sgpr_workgroup_id_y 0
		.amdhsa_system_sgpr_workgroup_id_z 0
		.amdhsa_system_sgpr_workgroup_info 0
		.amdhsa_system_vgpr_workitem_id 2
		.amdhsa_next_free_vgpr 58
		.amdhsa_next_free_sgpr 53
		.amdhsa_accum_offset 60
		.amdhsa_reserve_vcc 1
		.amdhsa_float_round_mode_32 0
		.amdhsa_float_round_mode_16_64 0
		.amdhsa_float_denorm_mode_32 3
		.amdhsa_float_denorm_mode_16_64 3
		.amdhsa_dx10_clamp 1
		.amdhsa_ieee_mode 1
		.amdhsa_fp16_overflow 0
		.amdhsa_tg_split 0
		.amdhsa_exception_fp_ieee_invalid_op 0
		.amdhsa_exception_fp_denorm_src 0
		.amdhsa_exception_fp_ieee_div_zero 0
		.amdhsa_exception_fp_ieee_overflow 0
		.amdhsa_exception_fp_ieee_underflow 0
		.amdhsa_exception_fp_ieee_inexact 0
		.amdhsa_exception_int_div_zero 0
	.end_amdhsa_kernel
	.section	.text._ZN7rocprim17ROCPRIM_304000_NS6detail25onesweep_iteration_kernelINS1_34wrapped_radix_sort_onesweep_configINS0_14default_configEfN2at4cuda3cub6detail10OpaqueTypeILi8EEEEELb0EPKfPfPKSA_PSA_mNS0_19identity_decomposerEEEvT1_T2_T3_T4_jPT5_SO_PNS1_23onesweep_lookback_stateET6_jjj,"axG",@progbits,_ZN7rocprim17ROCPRIM_304000_NS6detail25onesweep_iteration_kernelINS1_34wrapped_radix_sort_onesweep_configINS0_14default_configEfN2at4cuda3cub6detail10OpaqueTypeILi8EEEEELb0EPKfPfPKSA_PSA_mNS0_19identity_decomposerEEEvT1_T2_T3_T4_jPT5_SO_PNS1_23onesweep_lookback_stateET6_jjj,comdat
.Lfunc_end138:
	.size	_ZN7rocprim17ROCPRIM_304000_NS6detail25onesweep_iteration_kernelINS1_34wrapped_radix_sort_onesweep_configINS0_14default_configEfN2at4cuda3cub6detail10OpaqueTypeILi8EEEEELb0EPKfPfPKSA_PSA_mNS0_19identity_decomposerEEEvT1_T2_T3_T4_jPT5_SO_PNS1_23onesweep_lookback_stateET6_jjj, .Lfunc_end138-_ZN7rocprim17ROCPRIM_304000_NS6detail25onesweep_iteration_kernelINS1_34wrapped_radix_sort_onesweep_configINS0_14default_configEfN2at4cuda3cub6detail10OpaqueTypeILi8EEEEELb0EPKfPfPKSA_PSA_mNS0_19identity_decomposerEEEvT1_T2_T3_T4_jPT5_SO_PNS1_23onesweep_lookback_stateET6_jjj
                                        ; -- End function
	.set _ZN7rocprim17ROCPRIM_304000_NS6detail25onesweep_iteration_kernelINS1_34wrapped_radix_sort_onesweep_configINS0_14default_configEfN2at4cuda3cub6detail10OpaqueTypeILi8EEEEELb0EPKfPfPKSA_PSA_mNS0_19identity_decomposerEEEvT1_T2_T3_T4_jPT5_SO_PNS1_23onesweep_lookback_stateET6_jjj.num_vgpr, 58
	.set _ZN7rocprim17ROCPRIM_304000_NS6detail25onesweep_iteration_kernelINS1_34wrapped_radix_sort_onesweep_configINS0_14default_configEfN2at4cuda3cub6detail10OpaqueTypeILi8EEEEELb0EPKfPfPKSA_PSA_mNS0_19identity_decomposerEEEvT1_T2_T3_T4_jPT5_SO_PNS1_23onesweep_lookback_stateET6_jjj.num_agpr, 0
	.set _ZN7rocprim17ROCPRIM_304000_NS6detail25onesweep_iteration_kernelINS1_34wrapped_radix_sort_onesweep_configINS0_14default_configEfN2at4cuda3cub6detail10OpaqueTypeILi8EEEEELb0EPKfPfPKSA_PSA_mNS0_19identity_decomposerEEEvT1_T2_T3_T4_jPT5_SO_PNS1_23onesweep_lookback_stateET6_jjj.numbered_sgpr, 53
	.set _ZN7rocprim17ROCPRIM_304000_NS6detail25onesweep_iteration_kernelINS1_34wrapped_radix_sort_onesweep_configINS0_14default_configEfN2at4cuda3cub6detail10OpaqueTypeILi8EEEEELb0EPKfPfPKSA_PSA_mNS0_19identity_decomposerEEEvT1_T2_T3_T4_jPT5_SO_PNS1_23onesweep_lookback_stateET6_jjj.num_named_barrier, 0
	.set _ZN7rocprim17ROCPRIM_304000_NS6detail25onesweep_iteration_kernelINS1_34wrapped_radix_sort_onesweep_configINS0_14default_configEfN2at4cuda3cub6detail10OpaqueTypeILi8EEEEELb0EPKfPfPKSA_PSA_mNS0_19identity_decomposerEEEvT1_T2_T3_T4_jPT5_SO_PNS1_23onesweep_lookback_stateET6_jjj.private_seg_size, 0
	.set _ZN7rocprim17ROCPRIM_304000_NS6detail25onesweep_iteration_kernelINS1_34wrapped_radix_sort_onesweep_configINS0_14default_configEfN2at4cuda3cub6detail10OpaqueTypeILi8EEEEELb0EPKfPfPKSA_PSA_mNS0_19identity_decomposerEEEvT1_T2_T3_T4_jPT5_SO_PNS1_23onesweep_lookback_stateET6_jjj.uses_vcc, 1
	.set _ZN7rocprim17ROCPRIM_304000_NS6detail25onesweep_iteration_kernelINS1_34wrapped_radix_sort_onesweep_configINS0_14default_configEfN2at4cuda3cub6detail10OpaqueTypeILi8EEEEELb0EPKfPfPKSA_PSA_mNS0_19identity_decomposerEEEvT1_T2_T3_T4_jPT5_SO_PNS1_23onesweep_lookback_stateET6_jjj.uses_flat_scratch, 0
	.set _ZN7rocprim17ROCPRIM_304000_NS6detail25onesweep_iteration_kernelINS1_34wrapped_radix_sort_onesweep_configINS0_14default_configEfN2at4cuda3cub6detail10OpaqueTypeILi8EEEEELb0EPKfPfPKSA_PSA_mNS0_19identity_decomposerEEEvT1_T2_T3_T4_jPT5_SO_PNS1_23onesweep_lookback_stateET6_jjj.has_dyn_sized_stack, 0
	.set _ZN7rocprim17ROCPRIM_304000_NS6detail25onesweep_iteration_kernelINS1_34wrapped_radix_sort_onesweep_configINS0_14default_configEfN2at4cuda3cub6detail10OpaqueTypeILi8EEEEELb0EPKfPfPKSA_PSA_mNS0_19identity_decomposerEEEvT1_T2_T3_T4_jPT5_SO_PNS1_23onesweep_lookback_stateET6_jjj.has_recursion, 0
	.set _ZN7rocprim17ROCPRIM_304000_NS6detail25onesweep_iteration_kernelINS1_34wrapped_radix_sort_onesweep_configINS0_14default_configEfN2at4cuda3cub6detail10OpaqueTypeILi8EEEEELb0EPKfPfPKSA_PSA_mNS0_19identity_decomposerEEEvT1_T2_T3_T4_jPT5_SO_PNS1_23onesweep_lookback_stateET6_jjj.has_indirect_call, 0
	.section	.AMDGPU.csdata,"",@progbits
; Kernel info:
; codeLenInByte = 11988
; TotalNumSgprs: 59
; NumVgprs: 58
; NumAgprs: 0
; TotalNumVgprs: 58
; ScratchSize: 0
; MemoryBound: 0
; FloatMode: 240
; IeeeMode: 1
; LDSByteSize: 51200 bytes/workgroup (compile time only)
; SGPRBlocks: 7
; VGPRBlocks: 7
; NumSGPRsForWavesPerEU: 59
; NumVGPRsForWavesPerEU: 58
; AccumOffset: 60
; Occupancy: 8
; WaveLimiterHint : 1
; COMPUTE_PGM_RSRC2:SCRATCH_EN: 0
; COMPUTE_PGM_RSRC2:USER_SGPR: 2
; COMPUTE_PGM_RSRC2:TRAP_HANDLER: 0
; COMPUTE_PGM_RSRC2:TGID_X_EN: 1
; COMPUTE_PGM_RSRC2:TGID_Y_EN: 0
; COMPUTE_PGM_RSRC2:TGID_Z_EN: 0
; COMPUTE_PGM_RSRC2:TIDIG_COMP_CNT: 2
; COMPUTE_PGM_RSRC3_GFX90A:ACCUM_OFFSET: 14
; COMPUTE_PGM_RSRC3_GFX90A:TG_SPLIT: 0
	.section	.text._ZN7rocprim17ROCPRIM_304000_NS6detail25onesweep_iteration_kernelINS1_34wrapped_radix_sort_onesweep_configINS0_14default_configEfN2at4cuda3cub6detail10OpaqueTypeILi8EEEEELb0EPfSC_PSA_SD_mNS0_19identity_decomposerEEEvT1_T2_T3_T4_jPT5_SK_PNS1_23onesweep_lookback_stateET6_jjj,"axG",@progbits,_ZN7rocprim17ROCPRIM_304000_NS6detail25onesweep_iteration_kernelINS1_34wrapped_radix_sort_onesweep_configINS0_14default_configEfN2at4cuda3cub6detail10OpaqueTypeILi8EEEEELb0EPfSC_PSA_SD_mNS0_19identity_decomposerEEEvT1_T2_T3_T4_jPT5_SK_PNS1_23onesweep_lookback_stateET6_jjj,comdat
	.protected	_ZN7rocprim17ROCPRIM_304000_NS6detail25onesweep_iteration_kernelINS1_34wrapped_radix_sort_onesweep_configINS0_14default_configEfN2at4cuda3cub6detail10OpaqueTypeILi8EEEEELb0EPfSC_PSA_SD_mNS0_19identity_decomposerEEEvT1_T2_T3_T4_jPT5_SK_PNS1_23onesweep_lookback_stateET6_jjj ; -- Begin function _ZN7rocprim17ROCPRIM_304000_NS6detail25onesweep_iteration_kernelINS1_34wrapped_radix_sort_onesweep_configINS0_14default_configEfN2at4cuda3cub6detail10OpaqueTypeILi8EEEEELb0EPfSC_PSA_SD_mNS0_19identity_decomposerEEEvT1_T2_T3_T4_jPT5_SK_PNS1_23onesweep_lookback_stateET6_jjj
	.globl	_ZN7rocprim17ROCPRIM_304000_NS6detail25onesweep_iteration_kernelINS1_34wrapped_radix_sort_onesweep_configINS0_14default_configEfN2at4cuda3cub6detail10OpaqueTypeILi8EEEEELb0EPfSC_PSA_SD_mNS0_19identity_decomposerEEEvT1_T2_T3_T4_jPT5_SK_PNS1_23onesweep_lookback_stateET6_jjj
	.p2align	8
	.type	_ZN7rocprim17ROCPRIM_304000_NS6detail25onesweep_iteration_kernelINS1_34wrapped_radix_sort_onesweep_configINS0_14default_configEfN2at4cuda3cub6detail10OpaqueTypeILi8EEEEELb0EPfSC_PSA_SD_mNS0_19identity_decomposerEEEvT1_T2_T3_T4_jPT5_SK_PNS1_23onesweep_lookback_stateET6_jjj,@function
_ZN7rocprim17ROCPRIM_304000_NS6detail25onesweep_iteration_kernelINS1_34wrapped_radix_sort_onesweep_configINS0_14default_configEfN2at4cuda3cub6detail10OpaqueTypeILi8EEEEELb0EPfSC_PSA_SD_mNS0_19identity_decomposerEEEvT1_T2_T3_T4_jPT5_SK_PNS1_23onesweep_lookback_stateET6_jjj: ; @_ZN7rocprim17ROCPRIM_304000_NS6detail25onesweep_iteration_kernelINS1_34wrapped_radix_sort_onesweep_configINS0_14default_configEfN2at4cuda3cub6detail10OpaqueTypeILi8EEEEELb0EPfSC_PSA_SD_mNS0_19identity_decomposerEEEvT1_T2_T3_T4_jPT5_SK_PNS1_23onesweep_lookback_stateET6_jjj
; %bb.0:
	s_load_dwordx4 s[48:51], s[0:1], 0x44
	s_load_dwordx8 s[36:43], s[0:1], 0x0
	s_load_dwordx4 s[44:47], s[0:1], 0x28
	s_load_dwordx2 s[34:35], s[0:1], 0x38
	s_mov_b64 s[4:5], -1
	s_waitcnt lgkmcnt(0)
	s_cmp_ge_u32 s2, s50
	s_mul_i32 s30, s2, 0x1800
	v_mbcnt_lo_u32_b32 v1, -1, 0
	s_cbranch_scc0 .LBB139_96
; %bb.1:
	s_load_dword s3, s[0:1], 0x20
	s_mul_i32 s33, s50, 0xffffe800
	s_mov_b32 s31, 0
	s_lshl_b64 s[4:5], s[30:31], 2
	v_mbcnt_hi_u32_b32 v9, -1, v1
	s_waitcnt lgkmcnt(0)
	s_add_i32 s33, s33, s3
	s_add_u32 s4, s36, s4
	v_and_b32_e32 v2, 0x3c0, v0
	s_addc_u32 s5, s37, s5
	v_mul_u32_u24_e32 v18, 6, v2
	v_mov_b32_e32 v3, 0
	v_lshlrev_b32_e32 v2, 2, v9
	v_lshl_add_u64 v[4:5], s[4:5], 0, v[2:3]
	v_lshlrev_b32_e32 v2, 2, v18
	v_lshl_add_u64 v[10:11], v[4:5], 0, v[2:3]
	v_or_b32_e32 v12, v9, v18
	v_bfrev_b32_e32 v2, -2
	v_cmp_gt_u32_e32 vcc, s33, v12
	v_mov_b32_e32 v3, v2
	v_mov_b32_e32 v4, v2
	;; [unrolled: 1-line block ×5, first 2 shown]
	s_and_saveexec_b64 s[4:5], vcc
	s_cbranch_execz .LBB139_3
; %bb.2:
	global_load_dword v20, v[10:11], off
	v_mov_b32_e32 v21, v2
	v_mov_b32_e32 v22, v2
	;; [unrolled: 1-line block ×5, first 2 shown]
	s_waitcnt vmcnt(0)
	v_mov_b64_e32 v[2:3], v[20:21]
	v_mov_b64_e32 v[4:5], v[22:23]
	;; [unrolled: 1-line block ×3, first 2 shown]
.LBB139_3:
	s_or_b64 exec, exec, s[4:5]
	v_add_u32_e32 v8, 64, v12
	v_cmp_gt_u32_e64 s[26:27], s33, v8
	s_and_saveexec_b64 s[4:5], s[26:27]
	s_cbranch_execz .LBB139_5
; %bb.4:
	global_load_dword v3, v[10:11], off offset:256
.LBB139_5:
	s_or_b64 exec, exec, s[4:5]
	v_add_u32_e32 v8, 0x80, v12
	v_cmp_gt_u32_e64 s[4:5], s33, v8
	s_and_saveexec_b64 s[6:7], s[4:5]
	s_cbranch_execz .LBB139_7
; %bb.6:
	global_load_dword v4, v[10:11], off offset:512
.LBB139_7:
	;; [unrolled: 8-line block ×4, first 2 shown]
	s_or_b64 exec, exec, s[10:11]
	v_add_u32_e32 v12, 0x140, v12
	v_and_b32_e32 v8, 0x3ff, v0
	v_cmp_gt_u32_e64 s[10:11], s33, v12
	s_and_saveexec_b64 s[12:13], s[10:11]
	s_cbranch_execz .LBB139_13
; %bb.12:
	global_load_dword v7, v[10:11], off offset:1280
.LBB139_13:
	s_or_b64 exec, exec, s[12:13]
	s_load_dword s12, s[0:1], 0x5c
	s_load_dword s3, s[0:1], 0x50
	s_add_u32 s13, s0, 0x50
	s_addc_u32 s14, s1, 0
	v_mov_b32_e32 v11, 0
	s_waitcnt lgkmcnt(0)
	s_lshr_b32 s15, s12, 16
	s_cmp_lt_u32 s2, s3
	s_cselect_b32 s12, 12, 18
	s_add_u32 s12, s13, s12
	s_addc_u32 s13, s14, 0
	global_load_ushort v30, v11, s[12:13]
	v_bfrev_b32_e32 v19, 1
	v_cmp_lt_i32_e64 s[12:13], -1, v2
	s_brev_b32 s28, -2
	v_bfe_u32 v10, v0, 10, 10
	v_cndmask_b32_e64 v15, -1, v19, s[12:13]
	v_xor_b32_e32 v15, v15, v2
	v_cmp_ne_u32_e64 s[12:13], s28, v15
	v_bfe_u32 v13, v0, 20, 10
	v_mad_u32_u24 v31, v13, s15, v10
	v_cndmask_b32_e64 v2, v19, v15, s[12:13]
	v_lshrrev_b32_e32 v2, s48, v2
	s_lshl_b32 s12, -1, s49
	v_bitop3_b32 v2, v2, s12, v2 bitop3:0x30
	v_and_b32_e32 v10, 1, v2
	v_lshlrev_b32_e32 v13, 30, v2
	v_mov_b32_e32 v12, v11
	v_mov_b32_e32 v20, v11
	s_not_b32 s52, s12
	v_lshlrev_b32_e32 v17, 29, v2
	v_lshlrev_b32_e32 v21, 28, v2
	v_lshl_add_u64 v[28:29], v[10:11], 0, -1
	v_cmp_ne_u32_e64 s[12:13], 0, v10
	v_not_b32_e32 v10, v13
	v_mov_b32_e32 v16, v11
	v_mov_b32_e32 v22, v11
	v_lshlrev_b32_e32 v23, 27, v2
	v_cmp_gt_i64_e64 s[14:15], 0, v[12:13]
	v_not_b32_e32 v12, v17
	v_cmp_gt_i64_e64 s[18:19], 0, v[20:21]
	v_xor_b32_e32 v20, s13, v29
	v_ashrrev_i32_e32 v10, 31, v10
	v_cmp_gt_i64_e64 s[16:17], 0, v[16:17]
	v_not_b32_e32 v13, v21
	v_cmp_gt_i64_e64 s[20:21], 0, v[22:23]
	v_xor_b32_e32 v21, s12, v28
	v_ashrrev_i32_e32 v12, 31, v12
	v_and_b32_e32 v20, exec_hi, v20
	v_xor_b32_e32 v22, s15, v10
	v_mov_b32_e32 v24, v11
	v_lshlrev_b32_e32 v25, 26, v2
	v_not_b32_e32 v16, v23
	v_ashrrev_i32_e32 v13, 31, v13
	v_and_b32_e32 v21, exec_lo, v21
	v_xor_b32_e32 v10, s14, v10
	v_xor_b32_e32 v23, s17, v12
	v_and_b32_e32 v20, v20, v22
	v_cmp_gt_i64_e64 s[22:23], 0, v[24:25]
	v_not_b32_e32 v17, v25
	v_ashrrev_i32_e32 v16, 31, v16
	v_xor_b32_e32 v12, s16, v12
	v_xor_b32_e32 v24, s19, v13
	v_and_b32_e32 v10, v21, v10
	v_and_b32_e32 v20, v20, v23
	v_mov_b32_e32 v26, v11
	v_lshlrev_b32_e32 v27, 25, v2
	v_ashrrev_i32_e32 v17, 31, v17
	v_xor_b32_e32 v13, s18, v13
	v_xor_b32_e32 v25, s21, v16
	v_and_b32_e32 v10, v10, v12
	v_and_b32_e32 v12, v20, v24
	v_cmp_gt_i64_e64 s[24:25], 0, v[26:27]
	v_xor_b32_e32 v16, s20, v16
	v_xor_b32_e32 v26, s23, v17
	v_and_b32_e32 v10, v10, v13
	v_and_b32_e32 v12, v12, v25
	;; [unrolled: 1-line block ×4, first 2 shown]
	v_xor_b32_e32 v17, s22, v17
	s_movk_i32 s29, 0x44
	v_and_b32_e32 v10, v10, v17
	v_mul_lo_u32 v32, v2, s29
	v_mul_u32_u24_e32 v14, 20, v8
	ds_write2_b32 v14, v11, v11 offset0:16 offset1:17
	ds_write2_b32 v14, v11, v11 offset0:18 offset1:19
	ds_write_b32 v14, v11 offset:80
	s_waitcnt lgkmcnt(0)
	s_barrier
	s_waitcnt vmcnt(0)
	; wave barrier
	v_mad_u64_u32 v[12:13], s[12:13], v31, v30, v[8:9]
	v_lshrrev_b32_e32 v12, 4, v12
	v_and_b32_e32 v25, 0xffffffc, v12
	v_not_b32_e32 v12, v27
	v_ashrrev_i32_e32 v12, 31, v12
	v_xor_b32_e32 v13, s25, v12
	v_xor_b32_e32 v12, s24, v12
	v_and_b32_e32 v16, v16, v13
	v_lshlrev_b32_e32 v13, 24, v2
	v_and_b32_e32 v10, v10, v12
	v_mov_b32_e32 v12, v11
	v_not_b32_e32 v2, v13
	v_cmp_gt_i64_e64 s[12:13], 0, v[12:13]
	v_ashrrev_i32_e32 v2, 31, v2
	v_add_u32_e32 v17, v25, v32
	v_xor_b32_e32 v12, s13, v2
	v_xor_b32_e32 v2, s12, v2
	v_and_b32_e32 v13, v16, v12
	v_and_b32_e32 v12, v10, v2
	v_mbcnt_lo_u32_b32 v2, v12, 0
	v_mbcnt_hi_u32_b32 v16, v13, v2
	v_cmp_eq_u32_e64 s[12:13], 0, v16
	v_cmp_ne_u64_e64 s[14:15], 0, v[12:13]
	s_and_b64 s[14:15], s[14:15], s[12:13]
	s_and_saveexec_b64 s[12:13], s[14:15]
; %bb.14:
	v_bcnt_u32_b32 v2, v12, 0
	v_bcnt_u32_b32 v2, v13, v2
	ds_write_b32 v17, v2 offset:64
; %bb.15:
	s_or_b64 exec, exec, s[12:13]
	v_cmp_lt_i32_e64 s[12:13], -1, v3
	; wave barrier
	s_nop 1
	v_cndmask_b32_e64 v2, -1, v19, s[12:13]
	v_xor_b32_e32 v12, v2, v3
	v_cmp_ne_u32_e64 s[12:13], s28, v12
	s_nop 1
	v_cndmask_b32_e64 v2, v19, v12, s[12:13]
	v_lshrrev_b32_e32 v2, s48, v2
	v_and_b32_e32 v20, s52, v2
	v_mul_lo_u32 v2, v20, s29
	v_and_b32_e32 v10, 1, v20
	v_add_u32_e32 v19, v25, v2
	v_lshl_add_u64 v[2:3], v[10:11], 0, -1
	v_cmp_ne_u32_e64 s[12:13], 0, v10
	ds_read_b32 v13, v19 offset:64
	s_nop 0
	v_xor_b32_e32 v3, s13, v3
	v_xor_b32_e32 v2, s12, v2
	v_and_b32_e32 v10, exec_hi, v3
	v_and_b32_e32 v21, exec_lo, v2
	v_lshlrev_b32_e32 v3, 30, v20
	v_mov_b32_e32 v2, v11
	v_cmp_gt_i64_e64 s[12:13], 0, v[2:3]
	v_not_b32_e32 v2, v3
	v_ashrrev_i32_e32 v2, 31, v2
	v_xor_b32_e32 v3, s13, v2
	v_xor_b32_e32 v2, s12, v2
	v_and_b32_e32 v10, v10, v3
	v_and_b32_e32 v21, v21, v2
	v_lshlrev_b32_e32 v3, 29, v20
	v_mov_b32_e32 v2, v11
	v_cmp_gt_i64_e64 s[12:13], 0, v[2:3]
	v_not_b32_e32 v2, v3
	v_ashrrev_i32_e32 v2, 31, v2
	v_xor_b32_e32 v3, s13, v2
	v_xor_b32_e32 v2, s12, v2
	v_and_b32_e32 v10, v10, v3
	v_and_b32_e32 v21, v21, v2
	;; [unrolled: 9-line block ×7, first 2 shown]
	v_mbcnt_lo_u32_b32 v10, v2, 0
	v_mbcnt_hi_u32_b32 v20, v3, v10
	v_cmp_eq_u32_e64 s[12:13], 0, v20
	v_cmp_ne_u64_e64 s[14:15], 0, v[2:3]
	s_and_b64 s[14:15], s[14:15], s[12:13]
	; wave barrier
	s_and_saveexec_b64 s[12:13], s[14:15]
	s_cbranch_execz .LBB139_17
; %bb.16:
	v_bcnt_u32_b32 v2, v2, 0
	v_bcnt_u32_b32 v2, v3, v2
	s_waitcnt lgkmcnt(0)
	v_add_u32_e32 v2, v13, v2
	ds_write_b32 v19, v2 offset:64
.LBB139_17:
	s_or_b64 exec, exec, s[12:13]
	v_bfrev_b32_e32 v26, 1
	v_cmp_lt_i32_e64 s[12:13], -1, v4
	s_brev_b32 s16, -2
	s_movk_i32 s17, 0x44
	v_cndmask_b32_e64 v2, -1, v26, s[12:13]
	v_xor_b32_e32 v21, v2, v4
	v_cmp_ne_u32_e64 s[12:13], s16, v21
	v_mov_b32_e32 v3, 0
	s_nop 0
	v_cndmask_b32_e64 v2, v26, v21, s[12:13]
	v_lshrrev_b32_e32 v2, s48, v2
	v_and_b32_e32 v4, s52, v2
	v_mul_lo_u32 v2, v4, s17
	v_add_u32_e32 v23, v25, v2
	v_and_b32_e32 v2, 1, v4
	v_lshl_add_u64 v[10:11], v[2:3], 0, -1
	v_cmp_ne_u32_e64 s[12:13], 0, v2
	; wave barrier
	ds_read_b32 v22, v23 offset:64
	s_nop 0
	v_xor_b32_e32 v10, s12, v10
	v_xor_b32_e32 v2, s13, v11
	v_and_b32_e32 v24, exec_lo, v10
	v_lshlrev_b32_e32 v11, 30, v4
	v_mov_b32_e32 v10, v3
	v_cmp_gt_i64_e64 s[12:13], 0, v[10:11]
	v_not_b32_e32 v10, v11
	v_ashrrev_i32_e32 v10, 31, v10
	v_and_b32_e32 v2, exec_hi, v2
	v_xor_b32_e32 v11, s13, v10
	v_xor_b32_e32 v10, s12, v10
	v_and_b32_e32 v2, v2, v11
	v_and_b32_e32 v24, v24, v10
	v_lshlrev_b32_e32 v11, 29, v4
	v_mov_b32_e32 v10, v3
	v_cmp_gt_i64_e64 s[12:13], 0, v[10:11]
	v_not_b32_e32 v10, v11
	v_ashrrev_i32_e32 v10, 31, v10
	v_xor_b32_e32 v11, s13, v10
	v_xor_b32_e32 v10, s12, v10
	v_and_b32_e32 v2, v2, v11
	v_and_b32_e32 v24, v24, v10
	v_lshlrev_b32_e32 v11, 28, v4
	v_mov_b32_e32 v10, v3
	v_cmp_gt_i64_e64 s[12:13], 0, v[10:11]
	v_not_b32_e32 v10, v11
	v_ashrrev_i32_e32 v10, 31, v10
	;; [unrolled: 9-line block ×5, first 2 shown]
	v_xor_b32_e32 v11, s13, v10
	v_xor_b32_e32 v10, s12, v10
	v_and_b32_e32 v2, v2, v11
	v_lshlrev_b32_e32 v11, 24, v4
	v_and_b32_e32 v24, v24, v10
	v_mov_b32_e32 v10, v3
	v_not_b32_e32 v4, v11
	v_cmp_gt_i64_e64 s[12:13], 0, v[10:11]
	v_ashrrev_i32_e32 v4, 31, v4
	s_nop 0
	v_xor_b32_e32 v10, s13, v4
	v_xor_b32_e32 v4, s12, v4
	v_and_b32_e32 v11, v2, v10
	v_and_b32_e32 v10, v24, v4
	v_mbcnt_lo_u32_b32 v2, v10, 0
	v_mbcnt_hi_u32_b32 v24, v11, v2
	v_cmp_eq_u32_e64 s[12:13], 0, v24
	v_cmp_ne_u64_e64 s[14:15], 0, v[10:11]
	s_and_b64 s[14:15], s[14:15], s[12:13]
	; wave barrier
	s_and_saveexec_b64 s[12:13], s[14:15]
	s_cbranch_execz .LBB139_19
; %bb.18:
	v_bcnt_u32_b32 v2, v10, 0
	v_bcnt_u32_b32 v2, v11, v2
	s_waitcnt lgkmcnt(0)
	v_add_u32_e32 v2, v22, v2
	ds_write_b32 v23, v2 offset:64
.LBB139_19:
	s_or_b64 exec, exec, s[12:13]
	v_cmp_lt_i32_e64 s[12:13], -1, v5
	; wave barrier
	s_nop 1
	v_cndmask_b32_e64 v2, -1, v26, s[12:13]
	v_xor_b32_e32 v11, v2, v5
	v_cmp_ne_u32_e64 s[12:13], s16, v11
	s_nop 1
	v_cndmask_b32_e64 v2, v26, v11, s[12:13]
	v_lshrrev_b32_e32 v2, s48, v2
	v_and_b32_e32 v10, s52, v2
	v_mul_lo_u32 v2, v10, s17
	v_add_u32_e32 v26, v25, v2
	v_and_b32_e32 v2, 1, v10
	v_lshl_add_u64 v[4:5], v[2:3], 0, -1
	v_cmp_ne_u32_e64 s[12:13], 0, v2
	ds_read_b32 v28, v26 offset:64
	s_nop 0
	v_xor_b32_e32 v4, s12, v4
	v_xor_b32_e32 v2, s13, v5
	v_and_b32_e32 v27, exec_lo, v4
	v_lshlrev_b32_e32 v5, 30, v10
	v_mov_b32_e32 v4, v3
	v_cmp_gt_i64_e64 s[12:13], 0, v[4:5]
	v_not_b32_e32 v4, v5
	v_ashrrev_i32_e32 v4, 31, v4
	v_and_b32_e32 v2, exec_hi, v2
	v_xor_b32_e32 v5, s13, v4
	v_xor_b32_e32 v4, s12, v4
	v_and_b32_e32 v2, v2, v5
	v_and_b32_e32 v27, v27, v4
	v_lshlrev_b32_e32 v5, 29, v10
	v_mov_b32_e32 v4, v3
	v_cmp_gt_i64_e64 s[12:13], 0, v[4:5]
	v_not_b32_e32 v4, v5
	v_ashrrev_i32_e32 v4, 31, v4
	v_xor_b32_e32 v5, s13, v4
	v_xor_b32_e32 v4, s12, v4
	v_and_b32_e32 v2, v2, v5
	v_and_b32_e32 v27, v27, v4
	v_lshlrev_b32_e32 v5, 28, v10
	v_mov_b32_e32 v4, v3
	v_cmp_gt_i64_e64 s[12:13], 0, v[4:5]
	v_not_b32_e32 v4, v5
	v_ashrrev_i32_e32 v4, 31, v4
	;; [unrolled: 9-line block ×5, first 2 shown]
	v_xor_b32_e32 v5, s13, v4
	v_xor_b32_e32 v4, s12, v4
	v_and_b32_e32 v2, v2, v5
	v_lshlrev_b32_e32 v5, 24, v10
	v_and_b32_e32 v27, v27, v4
	v_mov_b32_e32 v4, v3
	v_not_b32_e32 v3, v5
	v_cmp_gt_i64_e64 s[12:13], 0, v[4:5]
	v_ashrrev_i32_e32 v3, 31, v3
	; wave barrier
	s_nop 0
	v_xor_b32_e32 v4, s13, v3
	v_xor_b32_e32 v5, s12, v3
	v_and_b32_e32 v3, v2, v4
	v_and_b32_e32 v2, v27, v5
	v_mbcnt_lo_u32_b32 v4, v2, 0
	v_mbcnt_hi_u32_b32 v29, v3, v4
	v_cmp_eq_u32_e64 s[12:13], 0, v29
	v_cmp_ne_u64_e64 s[14:15], 0, v[2:3]
	s_and_b64 s[14:15], s[14:15], s[12:13]
	s_and_saveexec_b64 s[12:13], s[14:15]
	s_cbranch_execz .LBB139_21
; %bb.20:
	v_bcnt_u32_b32 v2, v2, 0
	v_bcnt_u32_b32 v2, v3, v2
	s_waitcnt lgkmcnt(0)
	v_add_u32_e32 v2, v28, v2
	ds_write_b32 v26, v2 offset:64
.LBB139_21:
	s_or_b64 exec, exec, s[12:13]
	v_bfrev_b32_e32 v10, 1
	v_cmp_lt_i32_e64 s[12:13], -1, v6
	v_mov_b32_e32 v3, 0
	s_nop 0
	v_cndmask_b32_e64 v2, -1, v10, s[12:13]
	v_xor_b32_e32 v6, v2, v6
	v_cmp_ne_u32_e64 s[12:13], s16, v6
	; wave barrier
	s_nop 1
	v_cndmask_b32_e64 v2, v10, v6, s[12:13]
	v_lshrrev_b32_e32 v2, s48, v2
	v_and_b32_e32 v31, s52, v2
	v_mul_lo_u32 v2, v31, s17
	v_add_u32_e32 v27, v25, v2
	v_and_b32_e32 v2, 1, v31
	v_lshl_add_u64 v[4:5], v[2:3], 0, -1
	v_cmp_ne_u32_e64 s[12:13], 0, v2
	ds_read_b32 v30, v27 offset:64
	s_nop 0
	v_xor_b32_e32 v4, s12, v4
	v_xor_b32_e32 v2, s13, v5
	v_and_b32_e32 v32, exec_lo, v4
	v_lshlrev_b32_e32 v5, 30, v31
	v_mov_b32_e32 v4, v3
	v_cmp_gt_i64_e64 s[12:13], 0, v[4:5]
	v_not_b32_e32 v4, v5
	v_ashrrev_i32_e32 v4, 31, v4
	v_and_b32_e32 v2, exec_hi, v2
	v_xor_b32_e32 v5, s13, v4
	v_xor_b32_e32 v4, s12, v4
	v_and_b32_e32 v2, v2, v5
	v_and_b32_e32 v32, v32, v4
	v_lshlrev_b32_e32 v5, 29, v31
	v_mov_b32_e32 v4, v3
	v_cmp_gt_i64_e64 s[12:13], 0, v[4:5]
	v_not_b32_e32 v4, v5
	v_ashrrev_i32_e32 v4, 31, v4
	v_xor_b32_e32 v5, s13, v4
	v_xor_b32_e32 v4, s12, v4
	v_and_b32_e32 v2, v2, v5
	v_and_b32_e32 v32, v32, v4
	v_lshlrev_b32_e32 v5, 28, v31
	v_mov_b32_e32 v4, v3
	v_cmp_gt_i64_e64 s[12:13], 0, v[4:5]
	v_not_b32_e32 v4, v5
	v_ashrrev_i32_e32 v4, 31, v4
	;; [unrolled: 9-line block ×6, first 2 shown]
	v_xor_b32_e32 v5, s13, v4
	v_xor_b32_e32 v4, s12, v4
	v_and_b32_e32 v4, v32, v4
	v_and_b32_e32 v5, v2, v5
	v_mbcnt_lo_u32_b32 v2, v4, 0
	v_mbcnt_hi_u32_b32 v31, v5, v2
	v_cmp_eq_u32_e64 s[12:13], 0, v31
	v_cmp_ne_u64_e64 s[14:15], 0, v[4:5]
	s_and_b64 s[14:15], s[14:15], s[12:13]
	; wave barrier
	s_and_saveexec_b64 s[12:13], s[14:15]
	s_cbranch_execz .LBB139_23
; %bb.22:
	v_bcnt_u32_b32 v2, v4, 0
	v_bcnt_u32_b32 v2, v5, v2
	s_waitcnt lgkmcnt(0)
	v_add_u32_e32 v2, v30, v2
	ds_write_b32 v27, v2 offset:64
.LBB139_23:
	s_or_b64 exec, exec, s[12:13]
	v_cmp_lt_i32_e64 s[12:13], -1, v7
	; wave barrier
	s_nop 1
	v_cndmask_b32_e64 v2, -1, v10, s[12:13]
	v_xor_b32_e32 v32, v2, v7
	v_cmp_ne_u32_e64 s[12:13], s16, v32
	s_nop 1
	v_cndmask_b32_e64 v2, v10, v32, s[12:13]
	v_lshrrev_b32_e32 v2, s48, v2
	v_and_b32_e32 v10, s52, v2
	v_mul_lo_u32 v2, v10, s17
	v_add_u32_e32 v7, v25, v2
	v_and_b32_e32 v2, 1, v10
	v_lshl_add_u64 v[4:5], v[2:3], 0, -1
	v_cmp_ne_u32_e64 s[12:13], 0, v2
	ds_read_b32 v33, v7 offset:64
	s_nop 0
	v_xor_b32_e32 v4, s12, v4
	v_xor_b32_e32 v2, s13, v5
	v_and_b32_e32 v25, exec_lo, v4
	v_lshlrev_b32_e32 v5, 30, v10
	v_mov_b32_e32 v4, v3
	v_cmp_gt_i64_e64 s[12:13], 0, v[4:5]
	v_not_b32_e32 v4, v5
	v_ashrrev_i32_e32 v4, 31, v4
	v_and_b32_e32 v2, exec_hi, v2
	v_xor_b32_e32 v5, s13, v4
	v_xor_b32_e32 v4, s12, v4
	v_and_b32_e32 v2, v2, v5
	v_and_b32_e32 v25, v25, v4
	v_lshlrev_b32_e32 v5, 29, v10
	v_mov_b32_e32 v4, v3
	v_cmp_gt_i64_e64 s[12:13], 0, v[4:5]
	v_not_b32_e32 v4, v5
	v_ashrrev_i32_e32 v4, 31, v4
	v_xor_b32_e32 v5, s13, v4
	v_xor_b32_e32 v4, s12, v4
	v_and_b32_e32 v2, v2, v5
	v_and_b32_e32 v25, v25, v4
	v_lshlrev_b32_e32 v5, 28, v10
	v_mov_b32_e32 v4, v3
	v_cmp_gt_i64_e64 s[12:13], 0, v[4:5]
	v_not_b32_e32 v4, v5
	v_ashrrev_i32_e32 v4, 31, v4
	;; [unrolled: 9-line block ×5, first 2 shown]
	v_xor_b32_e32 v5, s13, v4
	v_xor_b32_e32 v4, s12, v4
	v_and_b32_e32 v2, v2, v5
	v_lshlrev_b32_e32 v5, 24, v10
	v_and_b32_e32 v25, v25, v4
	v_mov_b32_e32 v4, v3
	v_not_b32_e32 v3, v5
	v_cmp_gt_i64_e64 s[12:13], 0, v[4:5]
	v_ashrrev_i32_e32 v3, 31, v3
	; wave barrier
	s_nop 0
	v_xor_b32_e32 v4, s13, v3
	v_xor_b32_e32 v5, s12, v3
	v_and_b32_e32 v3, v2, v4
	v_and_b32_e32 v2, v25, v5
	v_mbcnt_lo_u32_b32 v4, v2, 0
	v_mbcnt_hi_u32_b32 v34, v3, v4
	v_cmp_eq_u32_e64 s[12:13], 0, v34
	v_cmp_ne_u64_e64 s[14:15], 0, v[2:3]
	s_and_b64 s[14:15], s[14:15], s[12:13]
	s_and_saveexec_b64 s[12:13], s[14:15]
	s_cbranch_execz .LBB139_25
; %bb.24:
	v_bcnt_u32_b32 v2, v2, 0
	v_bcnt_u32_b32 v2, v3, v2
	s_waitcnt lgkmcnt(0)
	v_add_u32_e32 v2, v33, v2
	ds_write_b32 v7, v2 offset:64
.LBB139_25:
	s_or_b64 exec, exec, s[12:13]
	; wave barrier
	s_waitcnt lgkmcnt(0)
	s_barrier
	ds_read2_b32 v[4:5], v14 offset0:16 offset1:17
	ds_read2_b32 v[2:3], v14 offset0:18 offset1:19
	ds_read_b32 v10, v14 offset:80
	v_cmp_lt_u32_e64 s[20:21], 31, v9
	s_waitcnt lgkmcnt(1)
	v_add3_u32 v25, v5, v4, v2
	s_waitcnt lgkmcnt(0)
	v_add3_u32 v10, v25, v3, v10
	v_and_b32_e32 v25, 15, v9
	v_cmp_eq_u32_e64 s[12:13], 0, v25
	v_mov_b32_dpp v35, v10 row_shr:1 row_mask:0xf bank_mask:0xf
	v_cmp_lt_u32_e64 s[14:15], 1, v25
	v_cndmask_b32_e64 v35, v35, 0, s[12:13]
	v_add_u32_e32 v10, v35, v10
	v_cmp_lt_u32_e64 s[16:17], 3, v25
	v_cmp_lt_u32_e64 s[18:19], 7, v25
	v_mov_b32_dpp v35, v10 row_shr:2 row_mask:0xf bank_mask:0xf
	v_cndmask_b32_e64 v35, 0, v35, s[14:15]
	v_add_u32_e32 v10, v10, v35
	s_nop 1
	v_mov_b32_dpp v35, v10 row_shr:4 row_mask:0xf bank_mask:0xf
	v_cndmask_b32_e64 v35, 0, v35, s[16:17]
	v_add_u32_e32 v10, v10, v35
	s_nop 1
	v_mov_b32_dpp v35, v10 row_shr:8 row_mask:0xf bank_mask:0xf
	v_cndmask_b32_e64 v25, 0, v35, s[18:19]
	v_add_u32_e32 v10, v10, v25
	v_bfe_i32 v35, v9, 4, 1
	s_nop 0
	v_mov_b32_dpp v25, v10 row_bcast:15 row_mask:0xf bank_mask:0xf
	v_and_b32_e32 v25, v35, v25
	v_add_u32_e32 v10, v10, v25
	v_lshrrev_b32_e32 v35, 6, v8
	s_nop 0
	v_mov_b32_dpp v25, v10 row_bcast:31 row_mask:0xf bank_mask:0xf
	v_cndmask_b32_e64 v25, 0, v25, s[20:21]
	v_add_u32_e32 v25, v10, v25
	v_and_b32_e32 v10, 63, v8
	v_cmp_eq_u32_e64 s[20:21], 63, v10
	s_and_saveexec_b64 s[22:23], s[20:21]
; %bb.26:
	v_lshlrev_b32_e32 v10, 2, v35
	ds_write_b32 v10, v25
; %bb.27:
	s_or_b64 exec, exec, s[22:23]
	v_cmp_gt_u32_e64 s[20:21], 16, v8
	v_lshlrev_b32_e32 v10, 2, v8
	s_waitcnt lgkmcnt(0)
	s_barrier
	s_and_saveexec_b64 s[22:23], s[20:21]
	s_cbranch_execz .LBB139_29
; %bb.28:
	ds_read_b32 v36, v10
	s_waitcnt lgkmcnt(0)
	s_nop 0
	v_mov_b32_dpp v37, v36 row_shr:1 row_mask:0xf bank_mask:0xf
	v_cndmask_b32_e64 v37, v37, 0, s[12:13]
	v_add_u32_e32 v36, v37, v36
	s_nop 1
	v_mov_b32_dpp v37, v36 row_shr:2 row_mask:0xf bank_mask:0xf
	v_cndmask_b32_e64 v37, 0, v37, s[14:15]
	v_add_u32_e32 v36, v36, v37
	;; [unrolled: 4-line block ×4, first 2 shown]
	ds_write_b32 v10, v36
.LBB139_29:
	s_or_b64 exec, exec, s[22:23]
	v_cmp_lt_u32_e64 s[12:13], 63, v8
	v_mov_b32_e32 v36, 0
	s_waitcnt lgkmcnt(0)
	s_barrier
	s_and_saveexec_b64 s[14:15], s[12:13]
; %bb.30:
	v_lshl_add_u32 v35, v35, 2, -4
	ds_read_b32 v36, v35
; %bb.31:
	s_or_b64 exec, exec, s[14:15]
	v_add_u32_e32 v35, -1, v9
	v_and_b32_e32 v37, 64, v9
	v_cmp_lt_i32_e64 s[12:13], v35, v37
	s_waitcnt lgkmcnt(0)
	v_add_u32_e32 v25, v36, v25
	s_movk_i32 s16, 0x100
	v_cndmask_b32_e64 v35, v35, v9, s[12:13]
	v_lshlrev_b32_e32 v35, 2, v35
	ds_bpermute_b32 v25, v35, v25
	v_cmp_eq_u32_e64 s[12:13], 0, v9
	v_cmp_gt_u32_e64 s[14:15], s16, v8
	s_waitcnt lgkmcnt(0)
	v_cndmask_b32_e64 v25, v25, v36, s[12:13]
	v_cmp_ne_u32_e64 s[12:13], 0, v8
	s_nop 1
	v_cndmask_b32_e64 v25, 0, v25, s[12:13]
	v_add_u32_e32 v4, v25, v4
	v_add_u32_e32 v5, v4, v5
	;; [unrolled: 1-line block ×4, first 2 shown]
	ds_write2_b32 v14, v25, v4 offset0:16 offset1:17
	ds_write2_b32 v14, v5, v2 offset0:18 offset1:19
	ds_write_b32 v14, v3 offset:80
	s_waitcnt lgkmcnt(0)
	s_barrier
	ds_read_b32 v5, v17 offset:64
	ds_read_b32 v14, v19 offset:64
	;; [unrolled: 1-line block ×6, first 2 shown]
	s_movk_i32 s12, 0xff
	v_cmp_lt_u32_e64 s[12:13], s12, v8
	v_mov_b64_e32 v[2:3], 0
                                        ; implicit-def: $vgpr4
	s_and_saveexec_b64 s[18:19], s[14:15]
	s_cbranch_execz .LBB139_35
; %bb.32:
	v_mul_u32_u24_e32 v2, 0x44, v8
	ds_read_b32 v2, v2 offset:64
	v_add_u32_e32 v4, 1, v8
	v_cmp_ne_u32_e64 s[16:17], s16, v4
	v_mov_b32_e32 v3, 0x1800
	s_and_saveexec_b64 s[20:21], s[16:17]
; %bb.33:
	v_mul_u32_u24_e32 v3, 0x44, v4
	ds_read_b32 v3, v3 offset:64
; %bb.34:
	s_or_b64 exec, exec, s[20:21]
	s_waitcnt lgkmcnt(0)
	v_sub_u32_e32 v4, v3, v2
	v_mov_b32_e32 v3, 0
.LBB139_35:
	s_or_b64 exec, exec, s[18:19]
	s_waitcnt lgkmcnt(5)
	v_add_u32_e32 v27, v5, v16
	s_waitcnt lgkmcnt(4)
	v_add3_u32 v26, v20, v13, v14
	v_lshlrev_b32_e32 v13, 2, v27
	s_waitcnt lgkmcnt(3)
	v_add3_u32 v25, v24, v22, v17
	s_waitcnt lgkmcnt(0)
	s_barrier
	ds_write_b32 v13, v15 offset:2048
	v_lshlrev_b32_e32 v13, 2, v26
	v_add3_u32 v24, v29, v28, v19
	ds_write_b32 v13, v12 offset:2048
	v_lshlrev_b32_e32 v12, 2, v25
	v_add3_u32 v7, v31, v30, v23
	;; [unrolled: 3-line block ×3, first 2 shown]
	ds_write_b32 v12, v11 offset:2048
	v_lshlrev_b32_e32 v11, 2, v7
	ds_write_b32 v11, v6 offset:2048
	v_lshlrev_b32_e32 v6, 2, v5
	ds_write_b32 v6, v32 offset:2048
	v_mov_b32_e32 v13, 0
	v_lshlrev_b32_e32 v6, 3, v8
	s_waitcnt lgkmcnt(0)
	s_barrier
	s_and_saveexec_b64 s[16:17], s[14:15]
	s_cbranch_execz .LBB139_45
; %bb.36:
	v_lshl_add_u32 v12, s2, 8, v8
	v_lshl_add_u64 v[14:15], v[12:13], 2, s[34:35]
	v_or_b32_e32 v11, 2.0, v4
	global_store_dword v[14:15], v11, off sc1
	s_mov_b64 s[18:19], 0
	s_brev_b32 s24, -4
	s_mov_b32 s25, s2
	v_mov_b32_e32 v11, 0
                                        ; implicit-def: $sgpr14_sgpr15
	s_branch .LBB139_39
.LBB139_37:                             ;   in Loop: Header=BB139_39 Depth=1
	s_or_b64 exec, exec, s[22:23]
.LBB139_38:                             ;   in Loop: Header=BB139_39 Depth=1
	s_or_b64 exec, exec, s[20:21]
	v_and_b32_e32 v16, 0x3fffffff, v12
	v_add_u32_e32 v11, v16, v11
	v_cmp_gt_i32_e64 s[14:15], -2.0, v12
	s_and_b64 s[20:21], exec, s[14:15]
	s_or_b64 s[18:19], s[20:21], s[18:19]
	s_andn2_b64 exec, exec, s[18:19]
	s_cbranch_execz .LBB139_44
.LBB139_39:                             ; =>This Loop Header: Depth=1
                                        ;     Child Loop BB139_42 Depth 2
	s_or_b64 s[14:15], s[14:15], exec
	s_cmp_eq_u32 s25, 0
	s_cbranch_scc1 .LBB139_43
; %bb.40:                               ;   in Loop: Header=BB139_39 Depth=1
	s_add_i32 s25, s25, -1
	v_lshl_or_b32 v12, s25, 8, v8
	v_lshl_add_u64 v[16:17], v[12:13], 2, s[34:35]
	global_load_dword v12, v[16:17], off sc1
	s_waitcnt vmcnt(0)
	v_cmp_gt_u32_e64 s[14:15], 2.0, v12
	s_and_saveexec_b64 s[20:21], s[14:15]
	s_cbranch_execz .LBB139_38
; %bb.41:                               ;   in Loop: Header=BB139_39 Depth=1
	s_mov_b64 s[22:23], 0
.LBB139_42:                             ;   Parent Loop BB139_39 Depth=1
                                        ; =>  This Inner Loop Header: Depth=2
	global_load_dword v12, v[16:17], off sc1
	s_waitcnt vmcnt(0)
	v_cmp_lt_u32_e64 s[14:15], s24, v12
	s_or_b64 s[22:23], s[14:15], s[22:23]
	s_andn2_b64 exec, exec, s[22:23]
	s_cbranch_execnz .LBB139_42
	s_branch .LBB139_37
.LBB139_43:                             ;   in Loop: Header=BB139_39 Depth=1
                                        ; implicit-def: $sgpr25
	s_and_b64 s[20:21], exec, s[14:15]
	s_or_b64 s[18:19], s[20:21], s[18:19]
	s_andn2_b64 exec, exec, s[18:19]
	s_cbranch_execnz .LBB139_39
.LBB139_44:
	s_or_b64 exec, exec, s[18:19]
	v_add_u32_e32 v12, v11, v4
	v_or_b32_e32 v12, 0x80000000, v12
	global_store_dword v[14:15], v12, off sc1
	global_load_dwordx2 v[12:13], v6, s[44:45]
	v_sub_co_u32_e64 v14, s[14:15], v11, v2
	s_nop 1
	v_subb_co_u32_e64 v15, s[14:15], 0, v3, s[14:15]
	s_waitcnt vmcnt(0)
	v_lshl_add_u64 v[12:13], v[14:15], 0, v[12:13]
	ds_write_b64 v6, v[12:13]
.LBB139_45:
	s_or_b64 exec, exec, s[16:17]
	v_cmp_gt_u32_e64 s[14:15], s33, v8
	s_waitcnt lgkmcnt(0)
	s_barrier
	s_and_saveexec_b64 s[18:19], s[14:15]
	s_cbranch_execz .LBB139_47
; %bb.46:
	v_sub_u32_e32 v11, v6, v10
	ds_read_b32 v11, v11 offset:2048
	s_brev_b32 s16, -2
	v_bfrev_b32_e32 v14, 1
	s_waitcnt lgkmcnt(0)
	v_cmp_ne_u32_e64 s[16:17], s16, v11
	s_nop 1
	v_cndmask_b32_e64 v12, v14, v11, s[16:17]
	v_lshrrev_b32_e32 v12, s48, v12
	v_and_b32_e32 v12, s52, v12
	v_lshlrev_b32_e32 v12, 3, v12
	ds_read_b64 v[12:13], v12
	v_cmp_lt_i32_e64 s[16:17], -1, v11
	s_waitcnt lgkmcnt(0)
	v_lshl_add_u64 v[12:13], v[12:13], 2, s[38:39]
	v_cndmask_b32_e64 v14, v14, -1, s[16:17]
	v_xor_b32_e32 v14, v14, v11
	v_mov_b32_e32 v11, 0
	v_lshl_add_u64 v[12:13], v[12:13], 0, v[10:11]
	global_store_dword v[12:13], v14, off
.LBB139_47:
	s_or_b64 exec, exec, s[18:19]
	v_or_b32_e32 v11, 0x400, v8
	v_cmp_gt_u32_e64 s[16:17], s33, v11
	s_and_saveexec_b64 s[20:21], s[16:17]
	s_cbranch_execz .LBB139_49
; %bb.48:
	v_sub_u32_e32 v12, v6, v10
	ds_read_b32 v15, v12 offset:6144
	s_brev_b32 s18, -2
	v_bfrev_b32_e32 v16, 1
	v_lshlrev_b32_e32 v14, 2, v11
	s_waitcnt lgkmcnt(0)
	v_cmp_ne_u32_e64 s[18:19], s18, v15
	s_nop 1
	v_cndmask_b32_e64 v12, v16, v15, s[18:19]
	v_lshrrev_b32_e32 v12, s48, v12
	v_and_b32_e32 v12, s52, v12
	v_lshlrev_b32_e32 v12, 3, v12
	ds_read_b64 v[12:13], v12
	v_cmp_lt_i32_e64 s[18:19], -1, v15
	s_waitcnt lgkmcnt(0)
	v_lshl_add_u64 v[12:13], v[12:13], 2, s[38:39]
	v_cndmask_b32_e64 v16, v16, -1, s[18:19]
	v_xor_b32_e32 v16, v16, v15
	v_mov_b32_e32 v15, 0
	v_lshl_add_u64 v[12:13], v[12:13], 0, v[14:15]
	global_store_dword v[12:13], v16, off
.LBB139_49:
	s_or_b64 exec, exec, s[20:21]
	v_or_b32_e32 v28, 0x800, v8
	v_cmp_gt_u32_e64 s[18:19], s33, v28
	s_and_saveexec_b64 s[22:23], s[18:19]
	s_cbranch_execz .LBB139_51
; %bb.50:
	v_sub_u32_e32 v12, v6, v10
	ds_read_b32 v15, v12 offset:10240
	s_brev_b32 s20, -2
	v_bfrev_b32_e32 v16, 1
	v_lshlrev_b32_e32 v14, 2, v28
	s_waitcnt lgkmcnt(0)
	v_cmp_ne_u32_e64 s[20:21], s20, v15
	s_nop 1
	v_cndmask_b32_e64 v12, v16, v15, s[20:21]
	v_lshrrev_b32_e32 v12, s48, v12
	v_and_b32_e32 v12, s52, v12
	v_lshlrev_b32_e32 v12, 3, v12
	ds_read_b64 v[12:13], v12
	v_cmp_lt_i32_e64 s[20:21], -1, v15
	s_waitcnt lgkmcnt(0)
	v_lshl_add_u64 v[12:13], v[12:13], 2, s[38:39]
	v_cndmask_b32_e64 v16, v16, -1, s[20:21]
	v_xor_b32_e32 v16, v16, v15
	v_mov_b32_e32 v15, 0
	v_lshl_add_u64 v[12:13], v[12:13], 0, v[14:15]
	global_store_dword v[12:13], v16, off
.LBB139_51:
	s_or_b64 exec, exec, s[22:23]
	v_or_b32_e32 v29, 0xc00, v8
	v_cmp_gt_u32_e64 s[20:21], s33, v29
	s_and_saveexec_b64 s[24:25], s[20:21]
	s_cbranch_execz .LBB139_53
; %bb.52:
	v_sub_u32_e32 v12, v6, v10
	ds_read_b32 v15, v12 offset:14336
	s_brev_b32 s22, -2
	v_bfrev_b32_e32 v16, 1
	v_lshlrev_b32_e32 v14, 2, v29
	s_waitcnt lgkmcnt(0)
	v_cmp_ne_u32_e64 s[22:23], s22, v15
	s_nop 1
	v_cndmask_b32_e64 v12, v16, v15, s[22:23]
	v_lshrrev_b32_e32 v12, s48, v12
	v_and_b32_e32 v12, s52, v12
	v_lshlrev_b32_e32 v12, 3, v12
	ds_read_b64 v[12:13], v12
	v_cmp_lt_i32_e64 s[22:23], -1, v15
	s_waitcnt lgkmcnt(0)
	v_lshl_add_u64 v[12:13], v[12:13], 2, s[38:39]
	v_cndmask_b32_e64 v16, v16, -1, s[22:23]
	v_xor_b32_e32 v16, v16, v15
	v_mov_b32_e32 v15, 0
	v_lshl_add_u64 v[12:13], v[12:13], 0, v[14:15]
	global_store_dword v[12:13], v16, off
.LBB139_53:
	s_or_b64 exec, exec, s[24:25]
	v_or_b32_e32 v30, 0x1000, v8
	v_cmp_gt_u32_e64 s[22:23], s33, v30
	s_and_saveexec_b64 s[28:29], s[22:23]
	s_cbranch_execz .LBB139_55
; %bb.54:
	v_sub_u32_e32 v12, v6, v10
	ds_read_b32 v15, v12 offset:18432
	s_brev_b32 s24, -2
	v_bfrev_b32_e32 v16, 1
	v_lshlrev_b32_e32 v14, 2, v30
	s_waitcnt lgkmcnt(0)
	v_cmp_ne_u32_e64 s[24:25], s24, v15
	s_nop 1
	v_cndmask_b32_e64 v12, v16, v15, s[24:25]
	v_lshrrev_b32_e32 v12, s48, v12
	v_and_b32_e32 v12, s52, v12
	v_lshlrev_b32_e32 v12, 3, v12
	ds_read_b64 v[12:13], v12
	v_cmp_lt_i32_e64 s[24:25], -1, v15
	s_waitcnt lgkmcnt(0)
	v_lshl_add_u64 v[12:13], v[12:13], 2, s[38:39]
	v_cndmask_b32_e64 v16, v16, -1, s[24:25]
	v_xor_b32_e32 v16, v16, v15
	v_mov_b32_e32 v15, 0
	v_lshl_add_u64 v[12:13], v[12:13], 0, v[14:15]
	global_store_dword v[12:13], v16, off
.LBB139_55:
	s_or_b64 exec, exec, s[28:29]
	v_or_b32_e32 v31, 0x1400, v8
	v_cmp_gt_u32_e64 s[24:25], s33, v31
	s_and_saveexec_b64 s[50:51], s[24:25]
	s_cbranch_execz .LBB139_57
; %bb.56:
	v_sub_u32_e32 v8, v6, v10
	ds_read_b32 v8, v8 offset:22528
	s_brev_b32 s28, -2
	v_bfrev_b32_e32 v15, 1
	v_lshlrev_b32_e32 v14, 2, v31
	s_waitcnt lgkmcnt(0)
	v_cmp_ne_u32_e64 s[28:29], s28, v8
	s_nop 1
	v_cndmask_b32_e64 v12, v15, v8, s[28:29]
	v_lshrrev_b32_e32 v12, s48, v12
	v_and_b32_e32 v12, s52, v12
	v_lshlrev_b32_e32 v12, 3, v12
	ds_read_b64 v[12:13], v12
	v_cmp_lt_i32_e64 s[28:29], -1, v8
	s_waitcnt lgkmcnt(0)
	v_lshl_add_u64 v[12:13], v[12:13], 2, s[38:39]
	v_cndmask_b32_e64 v15, v15, -1, s[28:29]
	v_xor_b32_e32 v8, v15, v8
	v_mov_b32_e32 v15, 0
	v_lshl_add_u64 v[12:13], v[12:13], 0, v[14:15]
	global_store_dword v[12:13], v8, off
.LBB139_57:
	s_or_b64 exec, exec, s[50:51]
	s_lshl_b64 s[28:29], s[30:31], 3
	s_add_u32 s28, s40, s28
	s_addc_u32 s29, s41, s29
	v_lshlrev_b32_e32 v8, 3, v9
	v_mov_b32_e32 v9, 0
	v_lshl_add_u64 v[12:13], s[28:29], 0, v[8:9]
	v_lshlrev_b32_e32 v8, 3, v18
	v_lshl_add_u64 v[22:23], v[12:13], 0, v[8:9]
                                        ; implicit-def: $vgpr8_vgpr9
	s_and_saveexec_b64 s[28:29], vcc
	s_xor_b64 s[28:29], exec, s[28:29]
	s_cbranch_execz .LBB139_63
; %bb.58:
	global_load_dwordx2 v[8:9], v[22:23], off
	s_or_b64 exec, exec, s[28:29]
                                        ; implicit-def: $vgpr12_vgpr13
	s_and_saveexec_b64 s[28:29], s[26:27]
	s_cbranch_execnz .LBB139_64
.LBB139_59:
	s_or_b64 exec, exec, s[28:29]
                                        ; implicit-def: $vgpr14_vgpr15
	s_and_saveexec_b64 s[26:27], s[4:5]
	s_cbranch_execz .LBB139_65
.LBB139_60:
	global_load_dwordx2 v[14:15], v[22:23], off offset:1024
	s_or_b64 exec, exec, s[26:27]
                                        ; implicit-def: $vgpr16_vgpr17
	s_and_saveexec_b64 s[4:5], s[6:7]
	s_cbranch_execnz .LBB139_66
.LBB139_61:
	s_or_b64 exec, exec, s[4:5]
                                        ; implicit-def: $vgpr18_vgpr19
	s_and_saveexec_b64 s[4:5], s[8:9]
	s_cbranch_execz .LBB139_67
.LBB139_62:
	global_load_dwordx2 v[18:19], v[22:23], off offset:2048
	s_or_b64 exec, exec, s[4:5]
                                        ; implicit-def: $vgpr20_vgpr21
	s_and_saveexec_b64 s[4:5], s[10:11]
	s_cbranch_execnz .LBB139_68
	s_branch .LBB139_69
.LBB139_63:
	s_or_b64 exec, exec, s[28:29]
                                        ; implicit-def: $vgpr12_vgpr13
	s_and_saveexec_b64 s[28:29], s[26:27]
	s_cbranch_execz .LBB139_59
.LBB139_64:
	global_load_dwordx2 v[12:13], v[22:23], off offset:512
	s_or_b64 exec, exec, s[28:29]
                                        ; implicit-def: $vgpr14_vgpr15
	s_and_saveexec_b64 s[26:27], s[4:5]
	s_cbranch_execnz .LBB139_60
.LBB139_65:
	s_or_b64 exec, exec, s[26:27]
                                        ; implicit-def: $vgpr16_vgpr17
	s_and_saveexec_b64 s[4:5], s[6:7]
	s_cbranch_execz .LBB139_61
.LBB139_66:
	global_load_dwordx2 v[16:17], v[22:23], off offset:1536
	s_or_b64 exec, exec, s[4:5]
                                        ; implicit-def: $vgpr18_vgpr19
	s_and_saveexec_b64 s[4:5], s[8:9]
	s_cbranch_execnz .LBB139_62
.LBB139_67:
	s_or_b64 exec, exec, s[4:5]
                                        ; implicit-def: $vgpr20_vgpr21
	s_and_saveexec_b64 s[4:5], s[10:11]
	s_cbranch_execz .LBB139_69
.LBB139_68:
	global_load_dwordx2 v[20:21], v[22:23], off offset:2560
.LBB139_69:
	s_or_b64 exec, exec, s[4:5]
	v_mov_b32_e32 v22, 0
	v_mov_b32_e32 v33, 0
	s_and_saveexec_b64 s[4:5], s[14:15]
	s_cbranch_execz .LBB139_71
; %bb.70:
	v_sub_u32_e32 v23, v6, v10
	ds_read_b32 v23, v23 offset:2048
	s_brev_b32 s6, -2
	v_bfrev_b32_e32 v32, 1
	s_waitcnt lgkmcnt(0)
	v_cmp_ne_u32_e32 vcc, s6, v23
	s_nop 1
	v_cndmask_b32_e32 v23, v32, v23, vcc
	v_lshrrev_b32_e32 v23, s48, v23
	v_and_b32_e32 v33, s52, v23
.LBB139_71:
	s_or_b64 exec, exec, s[4:5]
	s_and_saveexec_b64 s[4:5], s[16:17]
	s_cbranch_execz .LBB139_73
; %bb.72:
	v_sub_u32_e32 v22, v6, v10
	ds_read_b32 v22, v22 offset:6144
	s_brev_b32 s6, -2
	v_bfrev_b32_e32 v23, 1
	s_waitcnt lgkmcnt(0)
	v_cmp_ne_u32_e32 vcc, s6, v22
	s_nop 1
	v_cndmask_b32_e32 v22, v23, v22, vcc
	v_lshrrev_b32_e32 v22, s48, v22
	v_and_b32_e32 v22, s52, v22
.LBB139_73:
	s_or_b64 exec, exec, s[4:5]
	v_mov_b32_e32 v23, 0
	v_mov_b32_e32 v34, 0
	s_and_saveexec_b64 s[4:5], s[18:19]
	s_cbranch_execz .LBB139_75
; %bb.74:
	v_sub_u32_e32 v32, v6, v10
	ds_read_b32 v32, v32 offset:10240
	s_brev_b32 s6, -2
	v_bfrev_b32_e32 v34, 1
	s_waitcnt lgkmcnt(0)
	v_cmp_ne_u32_e32 vcc, s6, v32
	s_nop 1
	v_cndmask_b32_e32 v32, v34, v32, vcc
	v_lshrrev_b32_e32 v32, s48, v32
	v_and_b32_e32 v34, s52, v32
.LBB139_75:
	s_or_b64 exec, exec, s[4:5]
	s_and_saveexec_b64 s[4:5], s[20:21]
	s_cbranch_execz .LBB139_77
; %bb.76:
	v_sub_u32_e32 v23, v6, v10
	ds_read_b32 v23, v23 offset:14336
	s_brev_b32 s6, -2
	v_bfrev_b32_e32 v32, 1
	s_waitcnt lgkmcnt(0)
	v_cmp_ne_u32_e32 vcc, s6, v23
	s_nop 1
	v_cndmask_b32_e32 v23, v32, v23, vcc
	v_lshrrev_b32_e32 v23, s48, v23
	v_and_b32_e32 v23, s52, v23
.LBB139_77:
	;; [unrolled: 32-line block ×3, first 2 shown]
	s_or_b64 exec, exec, s[4:5]
	v_lshlrev_b32_e32 v10, 3, v27
	s_barrier
	s_waitcnt vmcnt(0)
	ds_write_b64 v10, v[8:9] offset:2048
	v_lshlrev_b32_e32 v8, 3, v26
	ds_write_b64 v8, v[12:13] offset:2048
	v_lshlrev_b32_e32 v8, 3, v25
	;; [unrolled: 2-line block ×3, first 2 shown]
	v_lshlrev_b32_e32 v7, 3, v7
	v_lshlrev_b32_e32 v5, 3, v5
	ds_write_b64 v8, v[16:17] offset:2048
	ds_write_b64 v7, v[18:19] offset:2048
	;; [unrolled: 1-line block ×3, first 2 shown]
	s_waitcnt lgkmcnt(0)
	s_barrier
	s_and_saveexec_b64 s[4:5], s[14:15]
	s_cbranch_execz .LBB139_87
; %bb.82:
	v_lshlrev_b32_e32 v5, 3, v33
	ds_read_b64 v[8:9], v5
	ds_read_b64 v[12:13], v6 offset:2048
	v_mov_b32_e32 v7, 0
	s_waitcnt lgkmcnt(1)
	v_lshl_add_u64 v[8:9], v[8:9], 3, s[42:43]
	v_lshl_add_u64 v[8:9], v[8:9], 0, v[6:7]
	s_waitcnt lgkmcnt(0)
	global_store_dwordx2 v[8:9], v[12:13], off
	s_or_b64 exec, exec, s[4:5]
	s_and_saveexec_b64 s[4:5], s[16:17]
	s_cbranch_execnz .LBB139_88
.LBB139_83:
	s_or_b64 exec, exec, s[4:5]
	s_and_saveexec_b64 s[4:5], s[18:19]
	s_cbranch_execz .LBB139_89
.LBB139_84:
	v_lshlrev_b32_e32 v5, 3, v34
	ds_read_b64 v[8:9], v5
	ds_read_b64 v[10:11], v6 offset:18432
	v_lshlrev_b32_e32 v12, 3, v28
	v_mov_b32_e32 v13, 0
	s_waitcnt lgkmcnt(1)
	v_lshl_add_u64 v[8:9], v[8:9], 3, s[42:43]
	v_lshl_add_u64 v[8:9], v[8:9], 0, v[12:13]
	s_waitcnt lgkmcnt(0)
	global_store_dwordx2 v[8:9], v[10:11], off
	s_or_b64 exec, exec, s[4:5]
	s_and_saveexec_b64 s[4:5], s[20:21]
	s_cbranch_execnz .LBB139_90
.LBB139_85:
	s_or_b64 exec, exec, s[4:5]
	s_and_saveexec_b64 s[4:5], s[22:23]
	s_cbranch_execz .LBB139_91
.LBB139_86:
	v_lshlrev_b32_e32 v5, 3, v35
	ds_read_b64 v[8:9], v5
	ds_read_b64 v[10:11], v6 offset:34816
	v_lshlrev_b32_e32 v12, 3, v30
	v_mov_b32_e32 v13, 0
	s_waitcnt lgkmcnt(1)
	v_lshl_add_u64 v[8:9], v[8:9], 3, s[42:43]
	v_lshl_add_u64 v[8:9], v[8:9], 0, v[12:13]
	s_waitcnt lgkmcnt(0)
	global_store_dwordx2 v[8:9], v[10:11], off
	s_or_b64 exec, exec, s[4:5]
	s_and_saveexec_b64 s[4:5], s[24:25]
	s_cbranch_execnz .LBB139_92
	s_branch .LBB139_93
.LBB139_87:
	s_or_b64 exec, exec, s[4:5]
	s_and_saveexec_b64 s[4:5], s[16:17]
	s_cbranch_execz .LBB139_83
.LBB139_88:
	v_lshlrev_b32_e32 v5, 3, v22
	ds_read_b64 v[8:9], v5
	ds_read_b64 v[12:13], v6 offset:10240
	v_lshlrev_b32_e32 v10, 3, v11
	v_mov_b32_e32 v11, 0
	s_waitcnt lgkmcnt(1)
	v_lshl_add_u64 v[8:9], v[8:9], 3, s[42:43]
	v_lshl_add_u64 v[8:9], v[8:9], 0, v[10:11]
	s_waitcnt lgkmcnt(0)
	global_store_dwordx2 v[8:9], v[12:13], off
	s_or_b64 exec, exec, s[4:5]
	s_and_saveexec_b64 s[4:5], s[18:19]
	s_cbranch_execnz .LBB139_84
.LBB139_89:
	s_or_b64 exec, exec, s[4:5]
	s_and_saveexec_b64 s[4:5], s[20:21]
	s_cbranch_execz .LBB139_85
.LBB139_90:
	v_lshlrev_b32_e32 v5, 3, v23
	ds_read_b64 v[8:9], v5
	ds_read_b64 v[10:11], v6 offset:26624
	v_lshlrev_b32_e32 v12, 3, v29
	v_mov_b32_e32 v13, 0
	s_waitcnt lgkmcnt(1)
	v_lshl_add_u64 v[8:9], v[8:9], 3, s[42:43]
	v_lshl_add_u64 v[8:9], v[8:9], 0, v[12:13]
	s_waitcnt lgkmcnt(0)
	global_store_dwordx2 v[8:9], v[10:11], off
	s_or_b64 exec, exec, s[4:5]
	s_and_saveexec_b64 s[4:5], s[22:23]
	s_cbranch_execnz .LBB139_86
.LBB139_91:
	s_or_b64 exec, exec, s[4:5]
	s_and_saveexec_b64 s[4:5], s[24:25]
	s_cbranch_execz .LBB139_93
.LBB139_92:
	v_lshlrev_b32_e32 v5, 3, v32
	ds_read_b64 v[8:9], v5
	ds_read_b64 v[10:11], v6 offset:43008
	v_lshlrev_b32_e32 v12, 3, v31
	v_mov_b32_e32 v13, 0
	s_waitcnt lgkmcnt(1)
	v_lshl_add_u64 v[8:9], v[8:9], 3, s[42:43]
	v_lshl_add_u64 v[8:9], v[8:9], 0, v[12:13]
	s_waitcnt lgkmcnt(0)
	global_store_dwordx2 v[8:9], v[10:11], off
.LBB139_93:
	s_or_b64 exec, exec, s[4:5]
	s_add_i32 s3, s3, -1
	s_cmp_eq_u32 s2, s3
	s_cselect_b64 s[4:5], -1, 0
	s_xor_b64 s[6:7], s[12:13], -1
	s_and_b64 s[6:7], s[6:7], s[4:5]
	s_and_saveexec_b64 s[4:5], s[6:7]
	s_cbranch_execz .LBB139_95
; %bb.94:
	ds_read_b64 v[8:9], v6
	v_mov_b32_e32 v5, 0
	v_lshl_add_u64 v[2:3], v[2:3], 0, v[4:5]
	s_waitcnt lgkmcnt(0)
	v_lshl_add_u64 v[2:3], v[2:3], 0, v[8:9]
	global_store_dwordx2 v6, v[2:3], s[46:47]
.LBB139_95:
	s_or_b64 exec, exec, s[4:5]
	s_mov_b64 s[4:5], 0
.LBB139_96:
	s_and_b64 vcc, exec, s[4:5]
	s_cbranch_vccz .LBB139_131
; %bb.97:
	s_mov_b32 s31, 0
	s_lshl_b64 s[4:5], s[30:31], 2
	s_add_u32 s4, s36, s4
	v_mbcnt_hi_u32_b32 v9, -1, v1
	s_addc_u32 s5, s37, s5
	v_and_b32_e32 v1, 0x3c0, v0
	v_mov_b32_e32 v5, 0
	v_lshlrev_b32_e32 v4, 2, v9
	v_mul_u32_u24_e32 v3, 6, v1
	v_lshl_add_u64 v[6:7], s[4:5], 0, v[4:5]
	s_load_dword s3, s[0:1], 0x50
	s_load_dword s4, s[0:1], 0x5c
	v_lshlrev_b32_e32 v4, 2, v3
	v_lshl_add_u64 v[18:19], v[6:7], 0, v[4:5]
	global_load_dword v1, v[18:19], off
	s_add_u32 s0, s0, 0x50
	s_addc_u32 s1, s1, 0
	s_waitcnt lgkmcnt(0)
	s_lshr_b32 s4, s4, 16
	s_cmp_lt_u32 s2, s3
	s_cselect_b32 s5, 12, 18
	s_add_u32 s0, s0, s5
	s_addc_u32 s1, s1, 0
	global_load_ushort v4, v5, s[0:1]
	v_and_b32_e32 v2, 0x3ff, v0
	v_mul_u32_u24_e32 v10, 20, v2
	ds_write2_b32 v10, v5, v5 offset0:16 offset1:17
	ds_write2_b32 v10, v5, v5 offset0:18 offset1:19
	ds_write_b32 v10, v5 offset:80
	global_load_dword v13, v[18:19], off offset:256
	global_load_dword v17, v[18:19], off offset:512
	;; [unrolled: 1-line block ×5, first 2 shown]
	v_bfrev_b32_e32 v14, 1
	v_bfe_u32 v7, v0, 10, 10
	v_bfe_u32 v8, v0, 20, 10
	v_mad_u32_u24 v7, v8, s4, v7
	s_brev_b32 s10, -2
	s_lshl_b32 s4, -1, s49
	v_mov_b32_e32 v0, v5
	v_mov_b32_e32 v24, v5
	;; [unrolled: 1-line block ×3, first 2 shown]
	s_not_b32 s12, s4
	v_mov_b32_e32 v28, v5
	s_movk_i32 s11, 0x44
	s_waitcnt lgkmcnt(0)
	s_barrier
	s_waitcnt vmcnt(6)
	; wave barrier
	v_cmp_lt_i32_e32 vcc, -1, v1
	s_nop 1
	v_cndmask_b32_e32 v8, -1, v14, vcc
	v_xor_b32_e32 v8, v8, v1
	v_cmp_ne_u32_e32 vcc, s10, v8
	s_waitcnt vmcnt(5)
	v_mad_u64_u32 v[18:19], s[0:1], v7, v4, v[2:3]
	v_cndmask_b32_e32 v1, v14, v8, vcc
	v_lshrrev_b32_e32 v1, s48, v1
	v_bitop3_b32 v12, v1, s4, v1 bitop3:0x30
	v_and_b32_e32 v4, 1, v12
	v_lshlrev_b32_e32 v1, 30, v12
	v_lshrrev_b32_e32 v7, 6, v18
	v_lshlrev_b32_e32 v25, 29, v12
	v_lshl_add_u64 v[18:19], v[4:5], 0, -1
	v_cmp_ne_u32_e32 vcc, 0, v4
	v_cmp_gt_i64_e64 s[0:1], 0, v[0:1]
	v_not_b32_e32 v0, v1
	v_lshlrev_b32_e32 v27, 28, v12
	v_not_b32_e32 v1, v25
	v_xor_b32_e32 v16, vcc_hi, v19
	v_xor_b32_e32 v18, vcc_lo, v18
	v_ashrrev_i32_e32 v0, 31, v0
	v_lshlrev_b32_e32 v29, 27, v12
	v_cmp_gt_i64_e64 s[4:5], 0, v[24:25]
	v_not_b32_e32 v4, v27
	v_ashrrev_i32_e32 v1, 31, v1
	v_and_b32_e32 v16, exec_hi, v16
	v_and_b32_e32 v18, exec_lo, v18
	v_xor_b32_e32 v19, s1, v0
	v_xor_b32_e32 v0, s0, v0
	v_cmp_gt_i64_e64 s[6:7], 0, v[26:27]
	v_not_b32_e32 v15, v29
	v_ashrrev_i32_e32 v4, 31, v4
	v_xor_b32_e32 v20, s5, v1
	v_xor_b32_e32 v1, s4, v1
	v_and_b32_e32 v16, v16, v19
	v_and_b32_e32 v0, v18, v0
	v_cmp_gt_i64_e64 s[8:9], 0, v[28:29]
	v_ashrrev_i32_e32 v15, 31, v15
	v_xor_b32_e32 v22, s7, v4
	v_xor_b32_e32 v4, s6, v4
	v_and_b32_e32 v16, v16, v20
	v_and_b32_e32 v0, v0, v1
	v_xor_b32_e32 v24, s9, v15
	v_xor_b32_e32 v15, s8, v15
	v_and_b32_e32 v1, v16, v22
	v_and_b32_e32 v0, v0, v4
	;; [unrolled: 1-line block ×4, first 2 shown]
	v_lshlrev_b32_e32 v1, 26, v12
	v_mov_b32_e32 v0, v5
	v_cmp_gt_i64_e32 vcc, 0, v[0:1]
	v_not_b32_e32 v0, v1
	v_ashrrev_i32_e32 v0, 31, v0
	v_xor_b32_e32 v1, vcc_hi, v0
	v_xor_b32_e32 v0, vcc_lo, v0
	v_and_b32_e32 v4, v4, v1
	v_and_b32_e32 v15, v15, v0
	v_lshlrev_b32_e32 v1, 25, v12
	v_mov_b32_e32 v0, v5
	v_cmp_gt_i64_e32 vcc, 0, v[0:1]
	v_not_b32_e32 v0, v1
	v_ashrrev_i32_e32 v0, 31, v0
	v_xor_b32_e32 v1, vcc_hi, v0
	v_xor_b32_e32 v0, vcc_lo, v0
	v_and_b32_e32 v4, v4, v1
	v_and_b32_e32 v15, v15, v0
	;; [unrolled: 9-line block ×3, first 2 shown]
	v_mbcnt_lo_u32_b32 v4, v0, 0
	v_mul_lo_u32 v11, v12, s11
	v_mbcnt_hi_u32_b32 v12, v1, v4
	v_cmp_eq_u32_e32 vcc, 0, v12
	v_cmp_ne_u64_e64 s[0:1], 0, v[0:1]
	v_lshl_add_u32 v11, v7, 2, v11
	s_and_b64 s[4:5], s[0:1], vcc
	s_and_saveexec_b64 s[0:1], s[4:5]
; %bb.98:
	v_bcnt_u32_b32 v0, v0, 0
	v_bcnt_u32_b32 v0, v1, v0
	ds_write_b32 v11, v0 offset:64
; %bb.99:
	s_or_b64 exec, exec, s[0:1]
	s_waitcnt vmcnt(4)
	v_cmp_lt_i32_e32 vcc, -1, v13
	; wave barrier
	s_nop 1
	v_cndmask_b32_e32 v0, -1, v14, vcc
	v_xor_b32_e32 v13, v0, v13
	v_cmp_ne_u32_e32 vcc, s10, v13
	s_nop 1
	v_cndmask_b32_e32 v0, v14, v13, vcc
	v_lshrrev_b32_e32 v0, s48, v0
	v_and_b32_e32 v16, s12, v0
	v_mul_lo_u32 v0, v16, s11
	v_and_b32_e32 v4, 1, v16
	v_lshl_add_u32 v15, v7, 2, v0
	v_lshl_add_u64 v[0:1], v[4:5], 0, -1
	v_cmp_ne_u32_e32 vcc, 0, v4
	ds_read_b32 v14, v15 offset:64
	s_nop 0
	v_xor_b32_e32 v1, vcc_hi, v1
	v_xor_b32_e32 v0, vcc_lo, v0
	v_and_b32_e32 v4, exec_hi, v1
	v_and_b32_e32 v18, exec_lo, v0
	v_lshlrev_b32_e32 v1, 30, v16
	v_mov_b32_e32 v0, v5
	v_cmp_gt_i64_e32 vcc, 0, v[0:1]
	v_not_b32_e32 v0, v1
	v_ashrrev_i32_e32 v0, 31, v0
	v_xor_b32_e32 v1, vcc_hi, v0
	v_xor_b32_e32 v0, vcc_lo, v0
	v_and_b32_e32 v4, v4, v1
	v_and_b32_e32 v18, v18, v0
	v_lshlrev_b32_e32 v1, 29, v16
	v_mov_b32_e32 v0, v5
	v_cmp_gt_i64_e32 vcc, 0, v[0:1]
	v_not_b32_e32 v0, v1
	v_ashrrev_i32_e32 v0, 31, v0
	v_xor_b32_e32 v1, vcc_hi, v0
	v_xor_b32_e32 v0, vcc_lo, v0
	v_and_b32_e32 v4, v4, v1
	v_and_b32_e32 v18, v18, v0
	;; [unrolled: 9-line block ×7, first 2 shown]
	v_mbcnt_lo_u32_b32 v4, v0, 0
	v_mbcnt_hi_u32_b32 v16, v1, v4
	v_cmp_eq_u32_e32 vcc, 0, v16
	v_cmp_ne_u64_e64 s[0:1], 0, v[0:1]
	s_and_b64 s[4:5], s[0:1], vcc
	; wave barrier
	s_and_saveexec_b64 s[0:1], s[4:5]
	s_cbranch_execz .LBB139_101
; %bb.100:
	v_bcnt_u32_b32 v0, v0, 0
	v_bcnt_u32_b32 v0, v1, v0
	s_waitcnt lgkmcnt(0)
	v_add_u32_e32 v0, v14, v0
	ds_write_b32 v15, v0 offset:64
.LBB139_101:
	s_or_b64 exec, exec, s[0:1]
	v_bfrev_b32_e32 v22, 1
	s_waitcnt vmcnt(3)
	v_cmp_lt_i32_e32 vcc, -1, v17
	s_brev_b32 s4, -2
	s_movk_i32 s5, 0x44
	v_cndmask_b32_e32 v0, -1, v22, vcc
	v_xor_b32_e32 v17, v0, v17
	v_cmp_ne_u32_e32 vcc, s4, v17
	v_mov_b32_e32 v1, 0
	s_nop 0
	v_cndmask_b32_e32 v0, v22, v17, vcc
	v_lshrrev_b32_e32 v0, s48, v0
	v_and_b32_e32 v20, s12, v0
	v_mul_lo_u32 v0, v20, s5
	v_lshl_add_u32 v19, v7, 2, v0
	v_and_b32_e32 v0, 1, v20
	v_lshl_add_u64 v[4:5], v[0:1], 0, -1
	v_cmp_ne_u32_e32 vcc, 0, v0
	; wave barrier
	ds_read_b32 v18, v19 offset:64
	s_nop 0
	v_xor_b32_e32 v4, vcc_lo, v4
	v_xor_b32_e32 v0, vcc_hi, v5
	v_and_b32_e32 v24, exec_lo, v4
	v_lshlrev_b32_e32 v5, 30, v20
	v_mov_b32_e32 v4, v1
	v_cmp_gt_i64_e32 vcc, 0, v[4:5]
	v_not_b32_e32 v4, v5
	v_ashrrev_i32_e32 v4, 31, v4
	v_and_b32_e32 v0, exec_hi, v0
	v_xor_b32_e32 v5, vcc_hi, v4
	v_xor_b32_e32 v4, vcc_lo, v4
	v_and_b32_e32 v0, v0, v5
	v_and_b32_e32 v24, v24, v4
	v_lshlrev_b32_e32 v5, 29, v20
	v_mov_b32_e32 v4, v1
	v_cmp_gt_i64_e32 vcc, 0, v[4:5]
	v_not_b32_e32 v4, v5
	v_ashrrev_i32_e32 v4, 31, v4
	v_xor_b32_e32 v5, vcc_hi, v4
	v_xor_b32_e32 v4, vcc_lo, v4
	v_and_b32_e32 v0, v0, v5
	v_and_b32_e32 v24, v24, v4
	v_lshlrev_b32_e32 v5, 28, v20
	v_mov_b32_e32 v4, v1
	v_cmp_gt_i64_e32 vcc, 0, v[4:5]
	v_not_b32_e32 v4, v5
	v_ashrrev_i32_e32 v4, 31, v4
	;; [unrolled: 9-line block ×6, first 2 shown]
	v_xor_b32_e32 v5, vcc_hi, v4
	v_xor_b32_e32 v4, vcc_lo, v4
	v_and_b32_e32 v4, v24, v4
	v_and_b32_e32 v5, v0, v5
	v_mbcnt_lo_u32_b32 v0, v4, 0
	v_mbcnt_hi_u32_b32 v20, v5, v0
	v_cmp_eq_u32_e32 vcc, 0, v20
	v_cmp_ne_u64_e64 s[0:1], 0, v[4:5]
	s_and_b64 s[6:7], s[0:1], vcc
	; wave barrier
	s_and_saveexec_b64 s[0:1], s[6:7]
	s_cbranch_execz .LBB139_103
; %bb.102:
	v_bcnt_u32_b32 v0, v4, 0
	v_bcnt_u32_b32 v0, v5, v0
	s_waitcnt lgkmcnt(0)
	v_add_u32_e32 v0, v18, v0
	ds_write_b32 v19, v0 offset:64
.LBB139_103:
	s_or_b64 exec, exec, s[0:1]
	s_waitcnt vmcnt(2)
	v_cmp_lt_i32_e32 vcc, -1, v21
	; wave barrier
	s_nop 1
	v_cndmask_b32_e32 v0, -1, v22, vcc
	v_xor_b32_e32 v21, v0, v21
	v_cmp_ne_u32_e32 vcc, s4, v21
	s_nop 1
	v_cndmask_b32_e32 v0, v22, v21, vcc
	v_lshrrev_b32_e32 v0, s48, v0
	v_and_b32_e32 v25, s12, v0
	v_mul_lo_u32 v0, v25, s5
	v_lshl_add_u32 v24, v7, 2, v0
	v_and_b32_e32 v0, 1, v25
	v_lshl_add_u64 v[4:5], v[0:1], 0, -1
	v_cmp_ne_u32_e32 vcc, 0, v0
	ds_read_b32 v22, v24 offset:64
	s_nop 0
	v_xor_b32_e32 v4, vcc_lo, v4
	v_xor_b32_e32 v0, vcc_hi, v5
	v_and_b32_e32 v26, exec_lo, v4
	v_lshlrev_b32_e32 v5, 30, v25
	v_mov_b32_e32 v4, v1
	v_cmp_gt_i64_e32 vcc, 0, v[4:5]
	v_not_b32_e32 v4, v5
	v_ashrrev_i32_e32 v4, 31, v4
	v_and_b32_e32 v0, exec_hi, v0
	v_xor_b32_e32 v5, vcc_hi, v4
	v_xor_b32_e32 v4, vcc_lo, v4
	v_and_b32_e32 v0, v0, v5
	v_and_b32_e32 v26, v26, v4
	v_lshlrev_b32_e32 v5, 29, v25
	v_mov_b32_e32 v4, v1
	v_cmp_gt_i64_e32 vcc, 0, v[4:5]
	v_not_b32_e32 v4, v5
	v_ashrrev_i32_e32 v4, 31, v4
	v_xor_b32_e32 v5, vcc_hi, v4
	v_xor_b32_e32 v4, vcc_lo, v4
	v_and_b32_e32 v0, v0, v5
	v_and_b32_e32 v26, v26, v4
	v_lshlrev_b32_e32 v5, 28, v25
	v_mov_b32_e32 v4, v1
	v_cmp_gt_i64_e32 vcc, 0, v[4:5]
	v_not_b32_e32 v4, v5
	v_ashrrev_i32_e32 v4, 31, v4
	v_xor_b32_e32 v5, vcc_hi, v4
	v_xor_b32_e32 v4, vcc_lo, v4
	v_and_b32_e32 v0, v0, v5
	v_and_b32_e32 v26, v26, v4
	v_lshlrev_b32_e32 v5, 27, v25
	v_mov_b32_e32 v4, v1
	v_cmp_gt_i64_e32 vcc, 0, v[4:5]
	v_not_b32_e32 v4, v5
	v_ashrrev_i32_e32 v4, 31, v4
	v_xor_b32_e32 v5, vcc_hi, v4
	v_xor_b32_e32 v4, vcc_lo, v4
	v_and_b32_e32 v0, v0, v5
	v_and_b32_e32 v26, v26, v4
	v_lshlrev_b32_e32 v5, 26, v25
	v_mov_b32_e32 v4, v1
	v_cmp_gt_i64_e32 vcc, 0, v[4:5]
	v_not_b32_e32 v4, v5
	v_ashrrev_i32_e32 v4, 31, v4
	v_xor_b32_e32 v5, vcc_hi, v4
	v_xor_b32_e32 v4, vcc_lo, v4
	v_and_b32_e32 v0, v0, v5
	v_and_b32_e32 v26, v26, v4
	v_lshlrev_b32_e32 v5, 25, v25
	v_mov_b32_e32 v4, v1
	v_cmp_gt_i64_e32 vcc, 0, v[4:5]
	v_not_b32_e32 v4, v5
	v_ashrrev_i32_e32 v4, 31, v4
	v_xor_b32_e32 v5, vcc_hi, v4
	v_xor_b32_e32 v4, vcc_lo, v4
	v_and_b32_e32 v0, v0, v5
	v_lshlrev_b32_e32 v5, 24, v25
	v_and_b32_e32 v26, v26, v4
	v_mov_b32_e32 v4, v1
	v_not_b32_e32 v1, v5
	v_cmp_gt_i64_e32 vcc, 0, v[4:5]
	v_ashrrev_i32_e32 v1, 31, v1
	; wave barrier
	s_nop 0
	v_xor_b32_e32 v4, vcc_hi, v1
	v_xor_b32_e32 v5, vcc_lo, v1
	v_and_b32_e32 v1, v0, v4
	v_and_b32_e32 v0, v26, v5
	v_mbcnt_lo_u32_b32 v4, v0, 0
	v_mbcnt_hi_u32_b32 v25, v1, v4
	v_cmp_eq_u32_e32 vcc, 0, v25
	v_cmp_ne_u64_e64 s[0:1], 0, v[0:1]
	s_and_b64 s[4:5], s[0:1], vcc
	s_and_saveexec_b64 s[0:1], s[4:5]
	s_cbranch_execz .LBB139_105
; %bb.104:
	v_bcnt_u32_b32 v0, v0, 0
	v_bcnt_u32_b32 v0, v1, v0
	s_waitcnt lgkmcnt(0)
	v_add_u32_e32 v0, v22, v0
	ds_write_b32 v24, v0 offset:64
.LBB139_105:
	s_or_b64 exec, exec, s[0:1]
	v_bfrev_b32_e32 v30, 1
	s_waitcnt vmcnt(1)
	v_cmp_lt_i32_e32 vcc, -1, v23
	s_brev_b32 s4, -2
	s_movk_i32 s5, 0x44
	v_cndmask_b32_e32 v0, -1, v30, vcc
	v_xor_b32_e32 v23, v0, v23
	v_cmp_ne_u32_e32 vcc, s4, v23
	v_mov_b32_e32 v1, 0
	s_nop 0
	v_cndmask_b32_e32 v0, v30, v23, vcc
	v_lshrrev_b32_e32 v0, s48, v0
	v_and_b32_e32 v28, s12, v0
	v_mul_lo_u32 v0, v28, s5
	v_lshl_add_u32 v27, v7, 2, v0
	v_and_b32_e32 v0, 1, v28
	v_lshl_add_u64 v[4:5], v[0:1], 0, -1
	v_cmp_ne_u32_e32 vcc, 0, v0
	; wave barrier
	ds_read_b32 v26, v27 offset:64
	s_nop 0
	v_xor_b32_e32 v4, vcc_lo, v4
	v_xor_b32_e32 v0, vcc_hi, v5
	v_and_b32_e32 v29, exec_lo, v4
	v_lshlrev_b32_e32 v5, 30, v28
	v_mov_b32_e32 v4, v1
	v_cmp_gt_i64_e32 vcc, 0, v[4:5]
	v_not_b32_e32 v4, v5
	v_ashrrev_i32_e32 v4, 31, v4
	v_and_b32_e32 v0, exec_hi, v0
	v_xor_b32_e32 v5, vcc_hi, v4
	v_xor_b32_e32 v4, vcc_lo, v4
	v_and_b32_e32 v0, v0, v5
	v_and_b32_e32 v29, v29, v4
	v_lshlrev_b32_e32 v5, 29, v28
	v_mov_b32_e32 v4, v1
	v_cmp_gt_i64_e32 vcc, 0, v[4:5]
	v_not_b32_e32 v4, v5
	v_ashrrev_i32_e32 v4, 31, v4
	v_xor_b32_e32 v5, vcc_hi, v4
	v_xor_b32_e32 v4, vcc_lo, v4
	v_and_b32_e32 v0, v0, v5
	v_and_b32_e32 v29, v29, v4
	v_lshlrev_b32_e32 v5, 28, v28
	v_mov_b32_e32 v4, v1
	v_cmp_gt_i64_e32 vcc, 0, v[4:5]
	v_not_b32_e32 v4, v5
	v_ashrrev_i32_e32 v4, 31, v4
	v_xor_b32_e32 v5, vcc_hi, v4
	v_xor_b32_e32 v4, vcc_lo, v4
	v_and_b32_e32 v0, v0, v5
	v_and_b32_e32 v29, v29, v4
	v_lshlrev_b32_e32 v5, 27, v28
	v_mov_b32_e32 v4, v1
	v_cmp_gt_i64_e32 vcc, 0, v[4:5]
	v_not_b32_e32 v4, v5
	v_ashrrev_i32_e32 v4, 31, v4
	v_xor_b32_e32 v5, vcc_hi, v4
	v_xor_b32_e32 v4, vcc_lo, v4
	v_and_b32_e32 v0, v0, v5
	v_and_b32_e32 v29, v29, v4
	v_lshlrev_b32_e32 v5, 26, v28
	v_mov_b32_e32 v4, v1
	v_cmp_gt_i64_e32 vcc, 0, v[4:5]
	v_not_b32_e32 v4, v5
	v_ashrrev_i32_e32 v4, 31, v4
	v_xor_b32_e32 v5, vcc_hi, v4
	v_xor_b32_e32 v4, vcc_lo, v4
	v_and_b32_e32 v0, v0, v5
	v_and_b32_e32 v29, v29, v4
	v_lshlrev_b32_e32 v5, 25, v28
	v_mov_b32_e32 v4, v1
	v_cmp_gt_i64_e32 vcc, 0, v[4:5]
	v_not_b32_e32 v4, v5
	v_ashrrev_i32_e32 v4, 31, v4
	v_xor_b32_e32 v5, vcc_hi, v4
	v_xor_b32_e32 v4, vcc_lo, v4
	v_and_b32_e32 v0, v0, v5
	v_and_b32_e32 v29, v29, v4
	v_lshlrev_b32_e32 v5, 24, v28
	v_mov_b32_e32 v4, v1
	v_cmp_gt_i64_e32 vcc, 0, v[4:5]
	v_not_b32_e32 v4, v5
	v_ashrrev_i32_e32 v4, 31, v4
	v_xor_b32_e32 v5, vcc_hi, v4
	v_xor_b32_e32 v4, vcc_lo, v4
	v_and_b32_e32 v4, v29, v4
	v_and_b32_e32 v5, v0, v5
	v_mbcnt_lo_u32_b32 v0, v4, 0
	v_mbcnt_hi_u32_b32 v28, v5, v0
	v_cmp_eq_u32_e32 vcc, 0, v28
	v_cmp_ne_u64_e64 s[0:1], 0, v[4:5]
	s_and_b64 s[6:7], s[0:1], vcc
	; wave barrier
	s_and_saveexec_b64 s[0:1], s[6:7]
	s_cbranch_execz .LBB139_107
; %bb.106:
	v_bcnt_u32_b32 v0, v4, 0
	v_bcnt_u32_b32 v0, v5, v0
	s_waitcnt lgkmcnt(0)
	v_add_u32_e32 v0, v26, v0
	ds_write_b32 v27, v0 offset:64
.LBB139_107:
	s_or_b64 exec, exec, s[0:1]
	s_waitcnt vmcnt(0)
	v_cmp_lt_i32_e32 vcc, -1, v6
	; wave barrier
	s_nop 1
	v_cndmask_b32_e32 v0, -1, v30, vcc
	v_xor_b32_e32 v29, v0, v6
	v_cmp_ne_u32_e32 vcc, s4, v29
	s_nop 1
	v_cndmask_b32_e32 v0, v30, v29, vcc
	v_lshrrev_b32_e32 v0, s48, v0
	v_and_b32_e32 v6, s12, v0
	v_mul_lo_u32 v0, v6, s5
	v_lshl_add_u32 v31, v7, 2, v0
	v_and_b32_e32 v0, 1, v6
	v_lshl_add_u64 v[4:5], v[0:1], 0, -1
	v_cmp_ne_u32_e32 vcc, 0, v0
	ds_read_b32 v30, v31 offset:64
	s_nop 0
	v_xor_b32_e32 v4, vcc_lo, v4
	v_xor_b32_e32 v0, vcc_hi, v5
	v_and_b32_e32 v7, exec_lo, v4
	v_lshlrev_b32_e32 v5, 30, v6
	v_mov_b32_e32 v4, v1
	v_cmp_gt_i64_e32 vcc, 0, v[4:5]
	v_not_b32_e32 v4, v5
	v_ashrrev_i32_e32 v4, 31, v4
	v_and_b32_e32 v0, exec_hi, v0
	v_xor_b32_e32 v5, vcc_hi, v4
	v_xor_b32_e32 v4, vcc_lo, v4
	v_and_b32_e32 v0, v0, v5
	v_and_b32_e32 v7, v7, v4
	v_lshlrev_b32_e32 v5, 29, v6
	v_mov_b32_e32 v4, v1
	v_cmp_gt_i64_e32 vcc, 0, v[4:5]
	v_not_b32_e32 v4, v5
	v_ashrrev_i32_e32 v4, 31, v4
	v_xor_b32_e32 v5, vcc_hi, v4
	v_xor_b32_e32 v4, vcc_lo, v4
	v_and_b32_e32 v0, v0, v5
	v_and_b32_e32 v7, v7, v4
	v_lshlrev_b32_e32 v5, 28, v6
	v_mov_b32_e32 v4, v1
	v_cmp_gt_i64_e32 vcc, 0, v[4:5]
	v_not_b32_e32 v4, v5
	v_ashrrev_i32_e32 v4, 31, v4
	;; [unrolled: 9-line block ×5, first 2 shown]
	v_xor_b32_e32 v5, vcc_hi, v4
	v_xor_b32_e32 v4, vcc_lo, v4
	v_and_b32_e32 v0, v0, v5
	v_lshlrev_b32_e32 v5, 24, v6
	v_and_b32_e32 v7, v7, v4
	v_mov_b32_e32 v4, v1
	v_not_b32_e32 v1, v5
	v_cmp_gt_i64_e32 vcc, 0, v[4:5]
	v_ashrrev_i32_e32 v1, 31, v1
	; wave barrier
	s_nop 0
	v_xor_b32_e32 v4, vcc_hi, v1
	v_xor_b32_e32 v5, vcc_lo, v1
	v_and_b32_e32 v1, v0, v4
	v_and_b32_e32 v0, v7, v5
	v_mbcnt_lo_u32_b32 v4, v0, 0
	v_mbcnt_hi_u32_b32 v32, v1, v4
	v_cmp_eq_u32_e32 vcc, 0, v32
	v_cmp_ne_u64_e64 s[0:1], 0, v[0:1]
	s_and_b64 s[4:5], s[0:1], vcc
	s_and_saveexec_b64 s[0:1], s[4:5]
	s_cbranch_execz .LBB139_109
; %bb.108:
	v_bcnt_u32_b32 v0, v0, 0
	v_bcnt_u32_b32 v0, v1, v0
	s_waitcnt lgkmcnt(0)
	v_add_u32_e32 v0, v30, v0
	ds_write_b32 v31, v0 offset:64
.LBB139_109:
	s_or_b64 exec, exec, s[0:1]
	; wave barrier
	s_waitcnt lgkmcnt(0)
	s_barrier
	ds_read2_b32 v[6:7], v10 offset0:16 offset1:17
	ds_read2_b32 v[4:5], v10 offset0:18 offset1:19
	ds_read_b32 v0, v10 offset:80
	v_cmp_lt_u32_e64 s[8:9], 31, v9
	s_waitcnt lgkmcnt(1)
	v_add3_u32 v1, v7, v6, v4
	s_waitcnt lgkmcnt(0)
	v_add3_u32 v0, v1, v5, v0
	v_and_b32_e32 v1, 15, v9
	v_cmp_eq_u32_e32 vcc, 0, v1
	v_mov_b32_dpp v33, v0 row_shr:1 row_mask:0xf bank_mask:0xf
	v_cmp_lt_u32_e64 s[0:1], 1, v1
	v_cndmask_b32_e64 v33, v33, 0, vcc
	v_add_u32_e32 v0, v33, v0
	v_cmp_lt_u32_e64 s[6:7], 3, v1
	v_cmp_lt_u32_e64 s[4:5], 7, v1
	v_mov_b32_dpp v33, v0 row_shr:2 row_mask:0xf bank_mask:0xf
	v_cndmask_b32_e64 v33, 0, v33, s[0:1]
	v_add_u32_e32 v0, v0, v33
	s_nop 1
	v_mov_b32_dpp v33, v0 row_shr:4 row_mask:0xf bank_mask:0xf
	v_cndmask_b32_e64 v33, 0, v33, s[6:7]
	v_add_u32_e32 v0, v0, v33
	s_nop 1
	v_mov_b32_dpp v33, v0 row_shr:8 row_mask:0xf bank_mask:0xf
	v_cndmask_b32_e64 v1, 0, v33, s[4:5]
	v_add_u32_e32 v0, v0, v1
	v_bfe_i32 v33, v9, 4, 1
	s_nop 0
	v_mov_b32_dpp v1, v0 row_bcast:15 row_mask:0xf bank_mask:0xf
	v_and_b32_e32 v1, v33, v1
	v_add_u32_e32 v0, v0, v1
	v_lshrrev_b32_e32 v33, 6, v2
	s_nop 0
	v_mov_b32_dpp v1, v0 row_bcast:31 row_mask:0xf bank_mask:0xf
	v_cndmask_b32_e64 v1, 0, v1, s[8:9]
	v_add_u32_e32 v1, v0, v1
	v_and_b32_e32 v0, 63, v2
	v_cmp_eq_u32_e64 s[8:9], 63, v0
	s_and_saveexec_b64 s[10:11], s[8:9]
; %bb.110:
	v_lshlrev_b32_e32 v0, 2, v33
	ds_write_b32 v0, v1
; %bb.111:
	s_or_b64 exec, exec, s[10:11]
	v_cmp_gt_u32_e64 s[8:9], 16, v2
	v_lshlrev_b32_e32 v0, 2, v2
	s_waitcnt lgkmcnt(0)
	s_barrier
	s_and_saveexec_b64 s[10:11], s[8:9]
	s_cbranch_execz .LBB139_113
; %bb.112:
	ds_read_b32 v34, v0
	s_waitcnt lgkmcnt(0)
	s_nop 0
	v_mov_b32_dpp v35, v34 row_shr:1 row_mask:0xf bank_mask:0xf
	v_cndmask_b32_e64 v35, v35, 0, vcc
	v_add_u32_e32 v34, v35, v34
	s_nop 1
	v_mov_b32_dpp v35, v34 row_shr:2 row_mask:0xf bank_mask:0xf
	v_cndmask_b32_e64 v35, 0, v35, s[0:1]
	v_add_u32_e32 v34, v34, v35
	s_nop 1
	v_mov_b32_dpp v35, v34 row_shr:4 row_mask:0xf bank_mask:0xf
	v_cndmask_b32_e64 v35, 0, v35, s[6:7]
	;; [unrolled: 4-line block ×3, first 2 shown]
	v_add_u32_e32 v34, v34, v35
	ds_write_b32 v0, v34
.LBB139_113:
	s_or_b64 exec, exec, s[10:11]
	v_cmp_lt_u32_e32 vcc, 63, v2
	v_mov_b32_e32 v34, 0
	s_waitcnt lgkmcnt(0)
	s_barrier
	s_and_saveexec_b64 s[0:1], vcc
; %bb.114:
	v_lshl_add_u32 v33, v33, 2, -4
	ds_read_b32 v34, v33
; %bb.115:
	s_or_b64 exec, exec, s[0:1]
	v_add_u32_e32 v33, -1, v9
	v_and_b32_e32 v35, 64, v9
	v_cmp_lt_i32_e32 vcc, v33, v35
	s_waitcnt lgkmcnt(0)
	v_add_u32_e32 v1, v34, v1
	s_movk_i32 s0, 0xff
	v_cndmask_b32_e32 v33, v33, v9, vcc
	v_lshlrev_b32_e32 v33, 2, v33
	ds_bpermute_b32 v1, v33, v1
	v_cmp_eq_u32_e32 vcc, 0, v9
	s_movk_i32 s4, 0x100
	s_waitcnt lgkmcnt(0)
	v_cndmask_b32_e32 v1, v1, v34, vcc
	v_cmp_ne_u32_e32 vcc, 0, v2
	s_nop 1
	v_cndmask_b32_e32 v1, 0, v1, vcc
	v_add_u32_e32 v6, v1, v6
	v_add_u32_e32 v7, v6, v7
	;; [unrolled: 1-line block ×4, first 2 shown]
	ds_write2_b32 v10, v1, v6 offset0:16 offset1:17
	ds_write2_b32 v10, v7, v4 offset0:18 offset1:19
	ds_write_b32 v10, v5 offset:80
	s_waitcnt lgkmcnt(0)
	s_barrier
	ds_read_b32 v1, v11 offset:64
	ds_read_b32 v7, v15 offset:64
	;; [unrolled: 1-line block ×6, first 2 shown]
	v_cmp_lt_u32_e32 vcc, s0, v2
	v_cmp_gt_u32_e64 s[0:1], s4, v2
	v_mov_b64_e32 v[4:5], 0
                                        ; implicit-def: $vgpr6
	s_and_saveexec_b64 s[6:7], s[0:1]
	s_cbranch_execz .LBB139_119
; %bb.116:
	v_mul_u32_u24_e32 v4, 0x44, v2
	ds_read_b32 v4, v4 offset:64
	v_add_u32_e32 v6, 1, v2
	v_cmp_ne_u32_e64 s[4:5], s4, v6
	v_mov_b32_e32 v5, 0x1800
	s_and_saveexec_b64 s[8:9], s[4:5]
; %bb.117:
	v_mul_u32_u24_e32 v5, 0x44, v6
	ds_read_b32 v5, v5 offset:64
; %bb.118:
	s_or_b64 exec, exec, s[8:9]
	s_waitcnt lgkmcnt(0)
	v_sub_u32_e32 v6, v5, v4
	v_mov_b32_e32 v5, 0
.LBB139_119:
	s_or_b64 exec, exec, s[6:7]
	s_waitcnt lgkmcnt(5)
	v_add_u32_e32 v27, v1, v12
	s_waitcnt lgkmcnt(4)
	v_add3_u32 v24, v16, v14, v7
	v_lshlrev_b32_e32 v1, 2, v27
	s_waitcnt lgkmcnt(3)
	v_add3_u32 v19, v20, v18, v10
	s_waitcnt lgkmcnt(0)
	s_barrier
	ds_write_b32 v1, v8 offset:2048
	v_lshlrev_b32_e32 v1, 2, v24
	v_add3_u32 v18, v25, v22, v11
	ds_write_b32 v1, v13 offset:2048
	v_lshlrev_b32_e32 v1, 2, v19
	v_add3_u32 v16, v28, v26, v15
	ds_write_b32 v1, v17 offset:2048
	v_lshlrev_b32_e32 v1, 2, v18
	v_add3_u32 v7, v32, v30, v31
	ds_write_b32 v1, v21 offset:2048
	v_lshlrev_b32_e32 v1, 2, v16
	ds_write_b32 v1, v23 offset:2048
	v_lshlrev_b32_e32 v1, 2, v7
	v_mov_b32_e32 v11, 0
	v_lshlrev_b32_e32 v8, 3, v2
	ds_write_b32 v1, v29 offset:2048
	s_waitcnt lgkmcnt(0)
	s_barrier
	s_and_saveexec_b64 s[4:5], s[0:1]
	s_cbranch_execz .LBB139_129
; %bb.120:
	v_lshl_add_u32 v10, s2, 8, v2
	v_lshl_add_u64 v[12:13], v[10:11], 2, s[34:35]
	v_or_b32_e32 v1, 2.0, v6
	global_store_dword v[12:13], v1, off sc1
	s_mov_b64 s[6:7], 0
	s_brev_b32 s13, -4
	s_mov_b32 s14, s2
	v_mov_b32_e32 v1, 0
                                        ; implicit-def: $sgpr0_sgpr1
	s_branch .LBB139_123
.LBB139_121:                            ;   in Loop: Header=BB139_123 Depth=1
	s_or_b64 exec, exec, s[10:11]
.LBB139_122:                            ;   in Loop: Header=BB139_123 Depth=1
	s_or_b64 exec, exec, s[8:9]
	v_and_b32_e32 v14, 0x3fffffff, v10
	v_add_u32_e32 v1, v14, v1
	v_cmp_gt_i32_e64 s[0:1], -2.0, v10
	s_and_b64 s[8:9], exec, s[0:1]
	s_or_b64 s[6:7], s[8:9], s[6:7]
	s_andn2_b64 exec, exec, s[6:7]
	s_cbranch_execz .LBB139_128
.LBB139_123:                            ; =>This Loop Header: Depth=1
                                        ;     Child Loop BB139_126 Depth 2
	s_or_b64 s[0:1], s[0:1], exec
	s_cmp_eq_u32 s14, 0
	s_cbranch_scc1 .LBB139_127
; %bb.124:                              ;   in Loop: Header=BB139_123 Depth=1
	s_add_i32 s14, s14, -1
	v_lshl_or_b32 v10, s14, 8, v2
	v_lshl_add_u64 v[14:15], v[10:11], 2, s[34:35]
	global_load_dword v10, v[14:15], off sc1
	s_waitcnt vmcnt(0)
	v_cmp_gt_u32_e64 s[0:1], 2.0, v10
	s_and_saveexec_b64 s[8:9], s[0:1]
	s_cbranch_execz .LBB139_122
; %bb.125:                              ;   in Loop: Header=BB139_123 Depth=1
	s_mov_b64 s[10:11], 0
.LBB139_126:                            ;   Parent Loop BB139_123 Depth=1
                                        ; =>  This Inner Loop Header: Depth=2
	global_load_dword v10, v[14:15], off sc1
	s_waitcnt vmcnt(0)
	v_cmp_lt_u32_e64 s[0:1], s13, v10
	s_or_b64 s[10:11], s[0:1], s[10:11]
	s_andn2_b64 exec, exec, s[10:11]
	s_cbranch_execnz .LBB139_126
	s_branch .LBB139_121
.LBB139_127:                            ;   in Loop: Header=BB139_123 Depth=1
                                        ; implicit-def: $sgpr14
	s_and_b64 s[8:9], exec, s[0:1]
	s_or_b64 s[6:7], s[8:9], s[6:7]
	s_andn2_b64 exec, exec, s[6:7]
	s_cbranch_execnz .LBB139_123
.LBB139_128:
	s_or_b64 exec, exec, s[6:7]
	v_add_u32_e32 v10, v1, v6
	v_or_b32_e32 v10, 0x80000000, v10
	global_store_dword v[12:13], v10, off sc1
	global_load_dwordx2 v[10:11], v8, s[44:45]
	v_sub_co_u32_e64 v12, s[0:1], v1, v4
	s_nop 1
	v_subb_co_u32_e64 v13, s[0:1], 0, v5, s[0:1]
	s_waitcnt vmcnt(0)
	v_lshl_add_u64 v[10:11], v[12:13], 0, v[10:11]
	ds_write_b64 v8, v[10:11]
.LBB139_129:
	s_or_b64 exec, exec, s[4:5]
	v_sub_u32_e32 v17, v8, v0
	s_waitcnt lgkmcnt(0)
	s_barrier
	ds_read2st64_b32 v[10:11], v17 offset0:8 offset1:24
	s_brev_b32 s4, -2
	v_bfrev_b32_e32 v25, 1
	v_or_b32_e32 v51, 0x400, v2
	v_or_b32_e32 v52, 0x800, v2
	s_waitcnt lgkmcnt(0)
	v_cmp_ne_u32_e64 s[0:1], s4, v10
	v_or_b32_e32 v53, 0xc00, v2
	v_or_b32_e32 v54, 0x1000, v2
	v_cndmask_b32_e64 v1, v25, v10, s[0:1]
	v_lshrrev_b32_e32 v1, s48, v1
	v_and_b32_e32 v1, s12, v1
	v_lshlrev_b32_e32 v26, 3, v1
	ds_read_b64 v[12:13], v26
	ds_read2st64_b32 v[14:15], v17 offset0:40 offset1:56
	v_cmp_ne_u32_e64 s[0:1], s4, v11
	v_or_b32_e32 v57, 0x1400, v2
	s_waitcnt lgkmcnt(1)
	v_lshl_add_u64 v[12:13], v[12:13], 2, s[38:39]
	v_cndmask_b32_e64 v1, v25, v11, s[0:1]
	v_lshrrev_b32_e32 v1, s48, v1
	v_and_b32_e32 v1, s12, v1
	s_waitcnt lgkmcnt(0)
	v_cmp_ne_u32_e64 s[0:1], s4, v14
	v_lshlrev_b32_e32 v48, 3, v1
	s_nop 0
	v_cndmask_b32_e64 v1, v25, v14, s[0:1]
	v_lshrrev_b32_e32 v1, s48, v1
	v_and_b32_e32 v1, s12, v1
	v_cmp_ne_u32_e64 s[0:1], s4, v15
	v_lshlrev_b32_e32 v49, 3, v1
	s_nop 0
	v_cndmask_b32_e64 v1, v25, v15, s[0:1]
	v_lshrrev_b32_e32 v1, s48, v1
	v_and_b32_e32 v1, s12, v1
	v_lshlrev_b32_e32 v50, 3, v1
	ds_read_b64 v[20:21], v48
	ds_read_b64 v[22:23], v49
	;; [unrolled: 1-line block ×3, first 2 shown]
	ds_read2st64_b32 v[30:31], v17 offset0:72 offset1:88
	v_mov_b32_e32 v1, 0
	v_lshl_add_u64 v[12:13], v[12:13], 0, v[0:1]
	s_waitcnt lgkmcnt(3)
	v_lshl_add_u64 v[20:21], v[20:21], 2, s[38:39]
	v_lshlrev_b32_e32 v0, 2, v51
	v_lshl_add_u64 v[20:21], v[20:21], 0, v[0:1]
	s_waitcnt lgkmcnt(2)
	v_lshl_add_u64 v[22:23], v[22:23], 2, s[38:39]
	v_lshlrev_b32_e32 v0, 2, v52
	;; [unrolled: 4-line block ×3, first 2 shown]
	s_waitcnt lgkmcnt(0)
	v_cmp_ne_u32_e64 s[0:1], s4, v30
	v_lshl_add_u64 v[28:29], v[28:29], 0, v[0:1]
	s_nop 0
	v_cndmask_b32_e64 v0, v25, v30, s[0:1]
	v_lshrrev_b32_e32 v0, s48, v0
	v_and_b32_e32 v0, s12, v0
	v_cmp_ne_u32_e64 s[0:1], s4, v31
	v_lshlrev_b32_e32 v55, 3, v0
	ds_read_b64 v[32:33], v55
	v_cndmask_b32_e64 v0, v25, v31, s[0:1]
	v_lshrrev_b32_e32 v0, s48, v0
	v_and_b32_e32 v0, s12, v0
	v_lshlrev_b32_e32 v56, 3, v0
	ds_read_b64 v[34:35], v56
	s_waitcnt lgkmcnt(1)
	v_lshl_add_u64 v[32:33], v[32:33], 2, s[38:39]
	v_lshlrev_b32_e32 v0, 2, v54
	s_lshl_b64 s[0:1], s[30:31], 3
	v_lshl_add_u64 v[32:33], v[32:33], 0, v[0:1]
	s_waitcnt lgkmcnt(0)
	v_lshl_add_u64 v[34:35], v[34:35], 2, s[38:39]
	v_lshlrev_b32_e32 v0, 2, v57
	s_add_u32 s0, s40, s0
	v_lshl_add_u64 v[34:35], v[34:35], 0, v[0:1]
	s_addc_u32 s1, s41, s1
	v_lshlrev_b32_e32 v0, 3, v9
	v_lshl_add_u64 v[36:37], s[0:1], 0, v[0:1]
	v_lshlrev_b32_e32 v0, 3, v3
	v_lshl_add_u64 v[2:3], v[36:37], 0, v[0:1]
	global_load_dwordx2 v[36:37], v[2:3], off
	global_load_dwordx2 v[38:39], v[2:3], off offset:512
	global_load_dwordx2 v[40:41], v[2:3], off offset:1024
	;; [unrolled: 1-line block ×5, first 2 shown]
	v_cmp_lt_i32_e64 s[0:1], -1, v10
	v_mov_b32_e32 v9, v1
	s_add_i32 s3, s3, -1
	v_cndmask_b32_e64 v0, v25, -1, s[0:1]
	v_xor_b32_e32 v0, v0, v10
	v_cmp_lt_i32_e64 s[0:1], -1, v11
	global_store_dword v[12:13], v0, off
	s_cmp_eq_u32 s2, s3
	v_cndmask_b32_e64 v0, v25, -1, s[0:1]
	v_xor_b32_e32 v0, v0, v11
	v_cmp_lt_i32_e64 s[0:1], -1, v14
	global_store_dword v[20:21], v0, off
	s_nop 0
	v_cndmask_b32_e64 v0, v25, -1, s[0:1]
	v_xor_b32_e32 v0, v0, v14
	v_cmp_lt_i32_e64 s[0:1], -1, v15
	global_store_dword v[22:23], v0, off
	s_nop 0
	;; [unrolled: 5-line block ×4, first 2 shown]
	v_cndmask_b32_e64 v0, v25, -1, s[0:1]
	v_xor_b32_e32 v0, v0, v31
	global_store_dword v[34:35], v0, off
	v_lshlrev_b32_e32 v0, 3, v27
	s_barrier
	s_cselect_b64 s[0:1], -1, 0
	s_xor_b64 s[2:3], vcc, -1
	s_and_b64 s[0:1], s[2:3], s[0:1]
	s_waitcnt vmcnt(11)
	ds_write_b64 v0, v[36:37] offset:2048
	v_lshlrev_b32_e32 v0, 3, v24
	s_waitcnt vmcnt(10)
	ds_write_b64 v0, v[38:39] offset:2048
	v_lshlrev_b32_e32 v0, 3, v19
	;; [unrolled: 3-line block ×5, first 2 shown]
	s_waitcnt vmcnt(6)
	ds_write_b64 v0, v[46:47] offset:2048
	s_waitcnt lgkmcnt(0)
	s_barrier
	ds_read_b64 v[2:3], v26
	ds_read2st64_b64 v[10:13], v8 offset0:4 offset1:20
	ds_read_b64 v[14:15], v48
	ds_read_b64 v[18:19], v49
	;; [unrolled: 1-line block ×3, first 2 shown]
	s_waitcnt lgkmcnt(4)
	v_lshl_add_u64 v[2:3], v[2:3], 3, s[42:43]
	v_lshl_add_u64 v[2:3], v[2:3], 0, v[8:9]
	s_waitcnt lgkmcnt(3)
	global_store_dwordx2 v[2:3], v[10:11], off
	s_waitcnt lgkmcnt(2)
	v_lshl_add_u64 v[2:3], v[14:15], 3, s[42:43]
	ds_read2st64_b64 v[14:17], v8 offset0:36 offset1:52
	v_lshlrev_b32_e32 v0, 3, v51
	v_lshl_add_u64 v[2:3], v[2:3], 0, v[0:1]
	global_store_dwordx2 v[2:3], v[12:13], off
	s_waitcnt lgkmcnt(2)
	v_lshl_add_u64 v[2:3], v[18:19], 3, s[42:43]
	v_lshlrev_b32_e32 v0, 3, v52
	v_lshl_add_u64 v[2:3], v[2:3], 0, v[0:1]
	s_waitcnt lgkmcnt(0)
	global_store_dwordx2 v[2:3], v[14:15], off
	v_lshl_add_u64 v[2:3], v[20:21], 3, s[42:43]
	v_lshlrev_b32_e32 v0, 3, v53
	v_lshl_add_u64 v[2:3], v[2:3], 0, v[0:1]
	ds_read_b64 v[14:15], v55
	global_store_dwordx2 v[2:3], v[16:17], off
	ds_read2st64_b64 v[10:13], v8 offset0:68 offset1:84
	ds_read_b64 v[2:3], v56
	v_lshlrev_b32_e32 v0, 3, v54
	s_waitcnt lgkmcnt(2)
	v_lshl_add_u64 v[14:15], v[14:15], 3, s[42:43]
	v_lshl_add_u64 v[14:15], v[14:15], 0, v[0:1]
	s_waitcnt lgkmcnt(0)
	v_lshl_add_u64 v[2:3], v[2:3], 3, s[42:43]
	v_lshlrev_b32_e32 v0, 3, v57
	v_lshl_add_u64 v[2:3], v[2:3], 0, v[0:1]
	global_store_dwordx2 v[14:15], v[10:11], off
	global_store_dwordx2 v[2:3], v[12:13], off
	s_and_saveexec_b64 s[2:3], s[0:1]
	s_cbranch_execz .LBB139_131
; %bb.130:
	ds_read_b64 v[2:3], v8
	v_mov_b32_e32 v7, v1
	v_lshl_add_u64 v[0:1], v[4:5], 0, v[6:7]
	s_waitcnt lgkmcnt(0)
	v_lshl_add_u64 v[0:1], v[0:1], 0, v[2:3]
	global_store_dwordx2 v8, v[0:1], s[46:47]
.LBB139_131:
	s_endpgm
	.section	.rodata,"a",@progbits
	.p2align	6, 0x0
	.amdhsa_kernel _ZN7rocprim17ROCPRIM_304000_NS6detail25onesweep_iteration_kernelINS1_34wrapped_radix_sort_onesweep_configINS0_14default_configEfN2at4cuda3cub6detail10OpaqueTypeILi8EEEEELb0EPfSC_PSA_SD_mNS0_19identity_decomposerEEEvT1_T2_T3_T4_jPT5_SK_PNS1_23onesweep_lookback_stateET6_jjj
		.amdhsa_group_segment_fixed_size 51200
		.amdhsa_private_segment_fixed_size 0
		.amdhsa_kernarg_size 336
		.amdhsa_user_sgpr_count 2
		.amdhsa_user_sgpr_dispatch_ptr 0
		.amdhsa_user_sgpr_queue_ptr 0
		.amdhsa_user_sgpr_kernarg_segment_ptr 1
		.amdhsa_user_sgpr_dispatch_id 0
		.amdhsa_user_sgpr_kernarg_preload_length 0
		.amdhsa_user_sgpr_kernarg_preload_offset 0
		.amdhsa_user_sgpr_private_segment_size 0
		.amdhsa_uses_dynamic_stack 0
		.amdhsa_enable_private_segment 0
		.amdhsa_system_sgpr_workgroup_id_x 1
		.amdhsa_system_sgpr_workgroup_id_y 0
		.amdhsa_system_sgpr_workgroup_id_z 0
		.amdhsa_system_sgpr_workgroup_info 0
		.amdhsa_system_vgpr_workitem_id 2
		.amdhsa_next_free_vgpr 58
		.amdhsa_next_free_sgpr 53
		.amdhsa_accum_offset 60
		.amdhsa_reserve_vcc 1
		.amdhsa_float_round_mode_32 0
		.amdhsa_float_round_mode_16_64 0
		.amdhsa_float_denorm_mode_32 3
		.amdhsa_float_denorm_mode_16_64 3
		.amdhsa_dx10_clamp 1
		.amdhsa_ieee_mode 1
		.amdhsa_fp16_overflow 0
		.amdhsa_tg_split 0
		.amdhsa_exception_fp_ieee_invalid_op 0
		.amdhsa_exception_fp_denorm_src 0
		.amdhsa_exception_fp_ieee_div_zero 0
		.amdhsa_exception_fp_ieee_overflow 0
		.amdhsa_exception_fp_ieee_underflow 0
		.amdhsa_exception_fp_ieee_inexact 0
		.amdhsa_exception_int_div_zero 0
	.end_amdhsa_kernel
	.section	.text._ZN7rocprim17ROCPRIM_304000_NS6detail25onesweep_iteration_kernelINS1_34wrapped_radix_sort_onesweep_configINS0_14default_configEfN2at4cuda3cub6detail10OpaqueTypeILi8EEEEELb0EPfSC_PSA_SD_mNS0_19identity_decomposerEEEvT1_T2_T3_T4_jPT5_SK_PNS1_23onesweep_lookback_stateET6_jjj,"axG",@progbits,_ZN7rocprim17ROCPRIM_304000_NS6detail25onesweep_iteration_kernelINS1_34wrapped_radix_sort_onesweep_configINS0_14default_configEfN2at4cuda3cub6detail10OpaqueTypeILi8EEEEELb0EPfSC_PSA_SD_mNS0_19identity_decomposerEEEvT1_T2_T3_T4_jPT5_SK_PNS1_23onesweep_lookback_stateET6_jjj,comdat
.Lfunc_end139:
	.size	_ZN7rocprim17ROCPRIM_304000_NS6detail25onesweep_iteration_kernelINS1_34wrapped_radix_sort_onesweep_configINS0_14default_configEfN2at4cuda3cub6detail10OpaqueTypeILi8EEEEELb0EPfSC_PSA_SD_mNS0_19identity_decomposerEEEvT1_T2_T3_T4_jPT5_SK_PNS1_23onesweep_lookback_stateET6_jjj, .Lfunc_end139-_ZN7rocprim17ROCPRIM_304000_NS6detail25onesweep_iteration_kernelINS1_34wrapped_radix_sort_onesweep_configINS0_14default_configEfN2at4cuda3cub6detail10OpaqueTypeILi8EEEEELb0EPfSC_PSA_SD_mNS0_19identity_decomposerEEEvT1_T2_T3_T4_jPT5_SK_PNS1_23onesweep_lookback_stateET6_jjj
                                        ; -- End function
	.set _ZN7rocprim17ROCPRIM_304000_NS6detail25onesweep_iteration_kernelINS1_34wrapped_radix_sort_onesweep_configINS0_14default_configEfN2at4cuda3cub6detail10OpaqueTypeILi8EEEEELb0EPfSC_PSA_SD_mNS0_19identity_decomposerEEEvT1_T2_T3_T4_jPT5_SK_PNS1_23onesweep_lookback_stateET6_jjj.num_vgpr, 58
	.set _ZN7rocprim17ROCPRIM_304000_NS6detail25onesweep_iteration_kernelINS1_34wrapped_radix_sort_onesweep_configINS0_14default_configEfN2at4cuda3cub6detail10OpaqueTypeILi8EEEEELb0EPfSC_PSA_SD_mNS0_19identity_decomposerEEEvT1_T2_T3_T4_jPT5_SK_PNS1_23onesweep_lookback_stateET6_jjj.num_agpr, 0
	.set _ZN7rocprim17ROCPRIM_304000_NS6detail25onesweep_iteration_kernelINS1_34wrapped_radix_sort_onesweep_configINS0_14default_configEfN2at4cuda3cub6detail10OpaqueTypeILi8EEEEELb0EPfSC_PSA_SD_mNS0_19identity_decomposerEEEvT1_T2_T3_T4_jPT5_SK_PNS1_23onesweep_lookback_stateET6_jjj.numbered_sgpr, 53
	.set _ZN7rocprim17ROCPRIM_304000_NS6detail25onesweep_iteration_kernelINS1_34wrapped_radix_sort_onesweep_configINS0_14default_configEfN2at4cuda3cub6detail10OpaqueTypeILi8EEEEELb0EPfSC_PSA_SD_mNS0_19identity_decomposerEEEvT1_T2_T3_T4_jPT5_SK_PNS1_23onesweep_lookback_stateET6_jjj.num_named_barrier, 0
	.set _ZN7rocprim17ROCPRIM_304000_NS6detail25onesweep_iteration_kernelINS1_34wrapped_radix_sort_onesweep_configINS0_14default_configEfN2at4cuda3cub6detail10OpaqueTypeILi8EEEEELb0EPfSC_PSA_SD_mNS0_19identity_decomposerEEEvT1_T2_T3_T4_jPT5_SK_PNS1_23onesweep_lookback_stateET6_jjj.private_seg_size, 0
	.set _ZN7rocprim17ROCPRIM_304000_NS6detail25onesweep_iteration_kernelINS1_34wrapped_radix_sort_onesweep_configINS0_14default_configEfN2at4cuda3cub6detail10OpaqueTypeILi8EEEEELb0EPfSC_PSA_SD_mNS0_19identity_decomposerEEEvT1_T2_T3_T4_jPT5_SK_PNS1_23onesweep_lookback_stateET6_jjj.uses_vcc, 1
	.set _ZN7rocprim17ROCPRIM_304000_NS6detail25onesweep_iteration_kernelINS1_34wrapped_radix_sort_onesweep_configINS0_14default_configEfN2at4cuda3cub6detail10OpaqueTypeILi8EEEEELb0EPfSC_PSA_SD_mNS0_19identity_decomposerEEEvT1_T2_T3_T4_jPT5_SK_PNS1_23onesweep_lookback_stateET6_jjj.uses_flat_scratch, 0
	.set _ZN7rocprim17ROCPRIM_304000_NS6detail25onesweep_iteration_kernelINS1_34wrapped_radix_sort_onesweep_configINS0_14default_configEfN2at4cuda3cub6detail10OpaqueTypeILi8EEEEELb0EPfSC_PSA_SD_mNS0_19identity_decomposerEEEvT1_T2_T3_T4_jPT5_SK_PNS1_23onesweep_lookback_stateET6_jjj.has_dyn_sized_stack, 0
	.set _ZN7rocprim17ROCPRIM_304000_NS6detail25onesweep_iteration_kernelINS1_34wrapped_radix_sort_onesweep_configINS0_14default_configEfN2at4cuda3cub6detail10OpaqueTypeILi8EEEEELb0EPfSC_PSA_SD_mNS0_19identity_decomposerEEEvT1_T2_T3_T4_jPT5_SK_PNS1_23onesweep_lookback_stateET6_jjj.has_recursion, 0
	.set _ZN7rocprim17ROCPRIM_304000_NS6detail25onesweep_iteration_kernelINS1_34wrapped_radix_sort_onesweep_configINS0_14default_configEfN2at4cuda3cub6detail10OpaqueTypeILi8EEEEELb0EPfSC_PSA_SD_mNS0_19identity_decomposerEEEvT1_T2_T3_T4_jPT5_SK_PNS1_23onesweep_lookback_stateET6_jjj.has_indirect_call, 0
	.section	.AMDGPU.csdata,"",@progbits
; Kernel info:
; codeLenInByte = 11988
; TotalNumSgprs: 59
; NumVgprs: 58
; NumAgprs: 0
; TotalNumVgprs: 58
; ScratchSize: 0
; MemoryBound: 0
; FloatMode: 240
; IeeeMode: 1
; LDSByteSize: 51200 bytes/workgroup (compile time only)
; SGPRBlocks: 7
; VGPRBlocks: 7
; NumSGPRsForWavesPerEU: 59
; NumVGPRsForWavesPerEU: 58
; AccumOffset: 60
; Occupancy: 8
; WaveLimiterHint : 1
; COMPUTE_PGM_RSRC2:SCRATCH_EN: 0
; COMPUTE_PGM_RSRC2:USER_SGPR: 2
; COMPUTE_PGM_RSRC2:TRAP_HANDLER: 0
; COMPUTE_PGM_RSRC2:TGID_X_EN: 1
; COMPUTE_PGM_RSRC2:TGID_Y_EN: 0
; COMPUTE_PGM_RSRC2:TGID_Z_EN: 0
; COMPUTE_PGM_RSRC2:TIDIG_COMP_CNT: 2
; COMPUTE_PGM_RSRC3_GFX90A:ACCUM_OFFSET: 14
; COMPUTE_PGM_RSRC3_GFX90A:TG_SPLIT: 0
	.section	.text._ZN7rocprim17ROCPRIM_304000_NS6detail28radix_sort_block_sort_kernelINS1_36wrapped_radix_sort_block_sort_configINS0_13kernel_configILj256ELj4ELj4294967295EEEdN2at4cuda3cub6detail10OpaqueTypeILi8EEEEELb1EPKdPdPKSB_PSB_NS0_19identity_decomposerEEEvT1_T2_T3_T4_jT5_jj,"axG",@progbits,_ZN7rocprim17ROCPRIM_304000_NS6detail28radix_sort_block_sort_kernelINS1_36wrapped_radix_sort_block_sort_configINS0_13kernel_configILj256ELj4ELj4294967295EEEdN2at4cuda3cub6detail10OpaqueTypeILi8EEEEELb1EPKdPdPKSB_PSB_NS0_19identity_decomposerEEEvT1_T2_T3_T4_jT5_jj,comdat
	.protected	_ZN7rocprim17ROCPRIM_304000_NS6detail28radix_sort_block_sort_kernelINS1_36wrapped_radix_sort_block_sort_configINS0_13kernel_configILj256ELj4ELj4294967295EEEdN2at4cuda3cub6detail10OpaqueTypeILi8EEEEELb1EPKdPdPKSB_PSB_NS0_19identity_decomposerEEEvT1_T2_T3_T4_jT5_jj ; -- Begin function _ZN7rocprim17ROCPRIM_304000_NS6detail28radix_sort_block_sort_kernelINS1_36wrapped_radix_sort_block_sort_configINS0_13kernel_configILj256ELj4ELj4294967295EEEdN2at4cuda3cub6detail10OpaqueTypeILi8EEEEELb1EPKdPdPKSB_PSB_NS0_19identity_decomposerEEEvT1_T2_T3_T4_jT5_jj
	.globl	_ZN7rocprim17ROCPRIM_304000_NS6detail28radix_sort_block_sort_kernelINS1_36wrapped_radix_sort_block_sort_configINS0_13kernel_configILj256ELj4ELj4294967295EEEdN2at4cuda3cub6detail10OpaqueTypeILi8EEEEELb1EPKdPdPKSB_PSB_NS0_19identity_decomposerEEEvT1_T2_T3_T4_jT5_jj
	.p2align	8
	.type	_ZN7rocprim17ROCPRIM_304000_NS6detail28radix_sort_block_sort_kernelINS1_36wrapped_radix_sort_block_sort_configINS0_13kernel_configILj256ELj4ELj4294967295EEEdN2at4cuda3cub6detail10OpaqueTypeILi8EEEEELb1EPKdPdPKSB_PSB_NS0_19identity_decomposerEEEvT1_T2_T3_T4_jT5_jj,@function
_ZN7rocprim17ROCPRIM_304000_NS6detail28radix_sort_block_sort_kernelINS1_36wrapped_radix_sort_block_sort_configINS0_13kernel_configILj256ELj4ELj4294967295EEEdN2at4cuda3cub6detail10OpaqueTypeILi8EEEEELb1EPKdPdPKSB_PSB_NS0_19identity_decomposerEEEvT1_T2_T3_T4_jT5_jj: ; @_ZN7rocprim17ROCPRIM_304000_NS6detail28radix_sort_block_sort_kernelINS1_36wrapped_radix_sort_block_sort_configINS0_13kernel_configILj256ELj4ELj4294967295EEEdN2at4cuda3cub6detail10OpaqueTypeILi8EEEEELb1EPKdPdPKSB_PSB_NS0_19identity_decomposerEEEvT1_T2_T3_T4_jT5_jj
; %bb.0:
	s_load_dword s8, s[0:1], 0x20
	s_load_dwordx8 s[36:43], s[0:1], 0x0
	s_lshl_b32 s4, s2, 10
	s_mov_b32 s5, 0
	v_and_b32_e32 v10, 0x3ff, v0
	s_waitcnt lgkmcnt(0)
	s_lshr_b32 s3, s8, 10
	s_cmp_lg_u32 s2, s3
	s_cselect_b64 s[30:31], -1, 0
	s_lshl_b64 s[28:29], s[4:5], 3
	v_mbcnt_lo_u32_b32 v1, -1, 0
	s_add_u32 s6, s36, s28
	v_mbcnt_hi_u32_b32 v1, -1, v1
	v_lshlrev_b32_e32 v18, 2, v10
	s_addc_u32 s7, s37, s29
	v_and_b32_e32 v11, 0x300, v18
	v_mov_b32_e32 v15, 0
	v_lshlrev_b32_e32 v14, 3, v1
	v_lshl_add_u64 v[2:3], s[6:7], 0, v[14:15]
	v_lshlrev_b32_e32 v12, 3, v11
	v_mov_b32_e32 v13, v15
	s_cmp_eq_u32 s2, s3
	v_lshl_add_u64 v[16:17], v[2:3], 0, v[12:13]
	s_cbranch_scc1 .LBB140_2
; %bb.1:
	s_add_u32 s2, s40, s28
	s_addc_u32 s3, s41, s29
	v_lshl_add_u64 v[20:21], s[2:3], 0, v[14:15]
	global_load_dwordx2 v[2:3], v[16:17], off
	global_load_dwordx2 v[4:5], v[16:17], off offset:512
	global_load_dwordx2 v[6:7], v[16:17], off offset:1024
	;; [unrolled: 1-line block ×3, first 2 shown]
	v_lshl_add_u64 v[20:21], v[20:21], 0, v[12:13]
	global_load_dwordx2 v[42:43], v[20:21], off
	global_load_dwordx2 v[44:45], v[20:21], off offset:512
	global_load_dwordx2 v[46:47], v[20:21], off offset:1024
	s_mov_b64 s[6:7], -1
	s_sub_i32 s33, s8, s4
	s_cbranch_execz .LBB140_3
	s_branch .LBB140_16
.LBB140_2:
	s_mov_b64 s[6:7], 0
                                        ; implicit-def: $vgpr2_vgpr3_vgpr4_vgpr5_vgpr6_vgpr7_vgpr8_vgpr9
                                        ; implicit-def: $vgpr42_vgpr43
                                        ; implicit-def: $vgpr46_vgpr47
	s_sub_i32 s33, s8, s4
.LBB140_3:
	v_add_u32_e32 v11, v1, v11
	s_waitcnt vmcnt(6)
	v_mov_b32_e32 v2, -1
	v_cmp_gt_u32_e32 vcc, s33, v11
	v_mov_b32_e32 v3, v2
	s_waitcnt vmcnt(5)
	v_mov_b32_e32 v4, v2
	v_mov_b32_e32 v5, v2
	s_waitcnt vmcnt(4)
	v_mov_b32_e32 v6, v2
	;; [unrolled: 3-line block ×3, first 2 shown]
	v_mov_b32_e32 v9, v2
	s_and_saveexec_b64 s[2:3], vcc
	s_cbranch_execz .LBB140_5
; %bb.4:
	global_load_dwordx2 v[20:21], v[16:17], off
	v_mov_b32_e32 v22, v2
	v_mov_b32_e32 v23, v2
	;; [unrolled: 1-line block ×6, first 2 shown]
	s_waitcnt vmcnt(0)
	v_mov_b64_e32 v[2:3], v[20:21]
	v_mov_b64_e32 v[4:5], v[22:23]
	;; [unrolled: 1-line block ×4, first 2 shown]
.LBB140_5:
	s_or_b64 exec, exec, s[2:3]
	v_add_u32_e32 v13, 64, v11
	v_cmp_gt_u32_e64 s[2:3], s33, v13
	s_and_saveexec_b64 s[4:5], s[2:3]
	s_cbranch_execz .LBB140_7
; %bb.6:
	global_load_dwordx2 v[4:5], v[16:17], off offset:512
.LBB140_7:
	s_or_b64 exec, exec, s[4:5]
	v_add_u32_e32 v13, 0x80, v11
	v_cmp_gt_u32_e64 s[4:5], s33, v13
	s_and_saveexec_b64 s[6:7], s[4:5]
	s_cbranch_execz .LBB140_9
; %bb.8:
	global_load_dwordx2 v[6:7], v[16:17], off offset:1024
.LBB140_9:
	;; [unrolled: 8-line block ×3, first 2 shown]
	s_or_b64 exec, exec, s[8:9]
	s_add_u32 s8, s40, s28
	s_addc_u32 s9, s41, s29
	v_mov_b32_e32 v15, 0
	v_lshl_add_u64 v[16:17], s[8:9], 0, v[14:15]
	v_mov_b32_e32 v13, v15
	v_lshl_add_u64 v[16:17], v[16:17], 0, v[12:13]
                                        ; implicit-def: $vgpr42_vgpr43
	s_and_saveexec_b64 s[8:9], vcc
	s_cbranch_execnz .LBB140_55
; %bb.12:
	s_or_b64 exec, exec, s[8:9]
	s_and_saveexec_b64 s[8:9], s[2:3]
	s_cbranch_execnz .LBB140_56
.LBB140_13:
	s_or_b64 exec, exec, s[8:9]
                                        ; implicit-def: $vgpr46_vgpr47
	s_and_saveexec_b64 s[2:3], s[4:5]
	s_cbranch_execz .LBB140_15
.LBB140_14:
	global_load_dwordx2 v[46:47], v[16:17], off offset:1024
.LBB140_15:
	s_or_b64 exec, exec, s[2:3]
.LBB140_16:
	s_and_saveexec_b64 s[2:3], s[6:7]
	s_cbranch_execz .LBB140_18
; %bb.17:
	s_add_u32 s4, s40, s28
	s_addc_u32 s5, s41, s29
	v_mov_b32_e32 v15, 0
	v_lshl_add_u64 v[16:17], s[4:5], 0, v[14:15]
	v_mov_b32_e32 v13, v15
	v_lshl_add_u64 v[14:15], v[16:17], 0, v[12:13]
	global_load_dwordx2 v[48:49], v[14:15], off offset:1536
.LBB140_18:
	s_or_b64 exec, exec, s[2:3]
	s_waitcnt vmcnt(6)
	v_ashrrev_i32_e32 v14, 31, v3
	s_load_dwordx2 s[34:35], s[0:1], 0x28
	v_bfrev_b32_e32 v11, -2
	s_load_dword s0, s[0:1], 0x3c
	v_cmp_gt_i64_e32 vcc, 0, v[2:3]
	v_not_b32_e32 v14, v14
	v_xor_b32_e32 v2, v14, v2
	v_cndmask_b32_e64 v13, v11, 0, vcc
	s_waitcnt vmcnt(0)
	v_cmp_gt_i64_e32 vcc, 0, v[4:5]
	v_ashrrev_i32_e32 v14, 31, v5
	v_xor_b32_e32 v3, v13, v3
	v_cndmask_b32_e64 v13, v11, 0, vcc
	v_not_b32_e32 v14, v14
	v_cmp_gt_i64_e32 vcc, 0, v[6:7]
	v_xor_b32_e32 v5, v13, v5
	v_xor_b32_e32 v4, v14, v4
	v_cndmask_b32_e64 v13, v11, 0, vcc
	v_ashrrev_i32_e32 v14, 31, v7
	v_cmp_gt_i64_e32 vcc, 0, v[8:9]
	v_not_b32_e32 v14, v14
	v_xor_b32_e32 v7, v13, v7
	v_cndmask_b32_e64 v13, v11, 0, vcc
	v_xor_b32_e32 v6, v14, v6
	v_ashrrev_i32_e32 v14, 31, v9
	v_xor_b32_e32 v9, v13, v9
	s_waitcnt lgkmcnt(0)
	s_lshr_b32 s1, s0, 16
	v_bfe_u32 v13, v0, 10, 10
	v_bfe_u32 v0, v0, 20, 10
	v_not_b32_e32 v14, v14
	s_and_b32 s0, s0, 0xffff
	v_mad_u32_u24 v0, v0, s1, v13
	v_xor_b32_e32 v8, v14, v8
	v_mad_u64_u32 v[14:15], s[0:1], v0, s0, v[10:11]
	v_lshrrev_b32_e32 v0, 4, v14
	v_and_b32_e32 v35, 0xffffffc, v0
	v_and_b32_e32 v0, 15, v1
	v_cmp_eq_u32_e64 s[0:1], 0, v0
	v_cmp_lt_u32_e64 s[2:3], 1, v0
	v_cmp_lt_u32_e64 s[4:5], 3, v0
	;; [unrolled: 1-line block ×3, first 2 shown]
	v_and_b32_e32 v0, 16, v1
	v_cmp_eq_u32_e64 s[8:9], 0, v0
	v_and_b32_e32 v0, 0x3c0, v10
	v_min_u32_e32 v0, 0xc0, v0
	v_or_b32_e32 v0, 63, v0
	v_cmp_eq_u32_e64 s[12:13], v10, v0
	v_subrev_co_u32_e64 v0, s[18:19], 1, v1
	v_and_b32_e32 v13, 64, v1
	v_cmp_lt_i32_e32 vcc, v0, v13
	s_mov_b32 s36, 0
	v_lshlrev_b32_e32 v34, 2, v18
	v_cndmask_b32_e32 v0, v0, v1, vcc
	v_lshlrev_b32_e32 v36, 2, v0
	v_lshrrev_b32_e32 v0, 4, v10
	v_and_b32_e32 v37, 60, v0
	v_mul_i32_i24_e32 v0, -12, v10
	v_and_b32_e32 v13, 3, v1
	s_mov_b32 s37, s36
	s_mov_b32 s26, s36
	;; [unrolled: 1-line block ×3, first 2 shown]
	s_add_i32 s40, s35, s34
	v_cmp_lt_u32_e64 s[10:11], 31, v1
	v_cmp_gt_u32_e64 s[14:15], 4, v10
	v_cmp_lt_u32_e64 s[16:17], 63, v10
	v_cmp_eq_u32_e64 s[20:21], 0, v10
	v_cmp_eq_u32_e64 s[22:23], 0, v13
	v_cmp_lt_u32_e64 s[24:25], 1, v13
	v_add_u32_e32 v38, -4, v37
	v_lshl_add_u32 v39, v1, 3, v12
	v_mov_b64_e32 v[12:13], s[36:37]
	v_mov_b64_e32 v[14:15], s[26:27]
	s_brev_b32 s37, 1
	v_mov_b32_e32 v25, 0
	v_add_u32_e32 v40, v34, v0
	s_branch .LBB140_20
.LBB140_19:                             ;   in Loop: Header=BB140_20 Depth=1
	s_andn2_b64 vcc, exec, s[26:27]
	s_cbranch_vccz .LBB140_36
.LBB140_20:                             ; =>This Inner Loop Header: Depth=1
	v_mov_b64_e32 v[32:33], v[2:3]
	v_cmp_ne_u64_e32 vcc, s[36:37], v[32:33]
	s_min_u32 s26, s35, 8
	s_lshl_b32 s41, -1, s26
	v_cndmask_b32_e32 v1, v11, v33, vcc
	v_cndmask_b32_e32 v0, -1, v32, vcc
	v_lshrrev_b64 v[0:1], s34, v[0:1]
	v_bitop3_b32 v2, v0, s41, v0 bitop3:0x30
	v_and_b32_e32 v24, 1, v2
	v_lshl_add_u64 v[0:1], v[24:25], 0, -1
	v_cmp_ne_u32_e32 vcc, 0, v24
	v_mov_b64_e32 v[30:31], v[4:5]
	v_lshlrev_b32_e32 v3, 4, v2
	v_xor_b32_e32 v1, vcc_hi, v1
	v_xor_b32_e32 v0, vcc_lo, v0
	v_and_b32_e32 v4, exec_hi, v1
	v_and_b32_e32 v5, exec_lo, v0
	v_lshlrev_b32_e32 v1, 30, v2
	v_mov_b32_e32 v0, v25
	v_cmp_gt_i64_e32 vcc, 0, v[0:1]
	v_not_b32_e32 v0, v1
	v_ashrrev_i32_e32 v0, 31, v0
	v_xor_b32_e32 v1, vcc_hi, v0
	v_xor_b32_e32 v0, vcc_lo, v0
	v_and_b32_e32 v4, v4, v1
	v_and_b32_e32 v5, v5, v0
	v_lshlrev_b32_e32 v1, 29, v2
	v_mov_b32_e32 v0, v25
	v_cmp_gt_i64_e32 vcc, 0, v[0:1]
	v_not_b32_e32 v0, v1
	v_ashrrev_i32_e32 v0, 31, v0
	v_xor_b32_e32 v1, vcc_hi, v0
	v_xor_b32_e32 v0, vcc_lo, v0
	v_and_b32_e32 v4, v4, v1
	v_and_b32_e32 v5, v5, v0
	;; [unrolled: 9-line block ×7, first 2 shown]
	v_mbcnt_lo_u32_b32 v2, v0, 0
	v_mbcnt_hi_u32_b32 v4, v1, v2
	v_cmp_eq_u32_e32 vcc, 0, v4
	v_cmp_ne_u64_e64 s[26:27], 0, v[0:1]
	v_mov_b64_e32 v[26:27], v[8:9]
	v_mov_b64_e32 v[28:29], v[6:7]
	;; [unrolled: 1-line block ×6, first 2 shown]
	s_and_b64 s[44:45], s[26:27], vcc
	v_add_u32_e32 v5, v35, v3
	ds_write2_b64 v34, v[12:13], v[14:15] offset0:2 offset1:3
	s_waitcnt lgkmcnt(0)
	s_barrier
	; wave barrier
	s_and_saveexec_b64 s[26:27], s[44:45]
; %bb.21:                               ;   in Loop: Header=BB140_20 Depth=1
	v_bcnt_u32_b32 v0, v0, 0
	v_bcnt_u32_b32 v0, v1, v0
	ds_write_b32 v5, v0 offset:16
; %bb.22:                               ;   in Loop: Header=BB140_20 Depth=1
	s_or_b64 exec, exec, s[26:27]
	v_cmp_ne_u64_e32 vcc, s[36:37], v[30:31]
	s_not_b32 s41, s41
	s_nop 0
	v_cndmask_b32_e32 v1, v11, v31, vcc
	v_cndmask_b32_e32 v0, -1, v30, vcc
	v_lshrrev_b64 v[0:1], s34, v[0:1]
	v_and_b32_e32 v2, s41, v0
	v_lshlrev_b32_e32 v0, 4, v2
	v_and_b32_e32 v24, 1, v2
	v_add_u32_e32 v7, v35, v0
	v_lshl_add_u64 v[0:1], v[24:25], 0, -1
	v_cmp_ne_u32_e32 vcc, 0, v24
	; wave barrier
	ds_read_b32 v6, v7 offset:16
	s_nop 0
	v_xor_b32_e32 v1, vcc_hi, v1
	v_xor_b32_e32 v0, vcc_lo, v0
	v_and_b32_e32 v3, exec_hi, v1
	v_and_b32_e32 v8, exec_lo, v0
	v_lshlrev_b32_e32 v1, 30, v2
	v_mov_b32_e32 v0, v25
	v_cmp_gt_i64_e32 vcc, 0, v[0:1]
	v_not_b32_e32 v0, v1
	v_ashrrev_i32_e32 v0, 31, v0
	v_xor_b32_e32 v1, vcc_hi, v0
	v_xor_b32_e32 v0, vcc_lo, v0
	v_and_b32_e32 v3, v3, v1
	v_and_b32_e32 v8, v8, v0
	v_lshlrev_b32_e32 v1, 29, v2
	v_mov_b32_e32 v0, v25
	v_cmp_gt_i64_e32 vcc, 0, v[0:1]
	v_not_b32_e32 v0, v1
	v_ashrrev_i32_e32 v0, 31, v0
	v_xor_b32_e32 v1, vcc_hi, v0
	v_xor_b32_e32 v0, vcc_lo, v0
	v_and_b32_e32 v3, v3, v1
	v_and_b32_e32 v8, v8, v0
	;; [unrolled: 9-line block ×7, first 2 shown]
	v_mbcnt_lo_u32_b32 v2, v0, 0
	v_mbcnt_hi_u32_b32 v8, v1, v2
	v_cmp_eq_u32_e32 vcc, 0, v8
	v_cmp_ne_u64_e64 s[26:27], 0, v[0:1]
	s_and_b64 s[44:45], s[26:27], vcc
	; wave barrier
	s_and_saveexec_b64 s[26:27], s[44:45]
	s_cbranch_execz .LBB140_24
; %bb.23:                               ;   in Loop: Header=BB140_20 Depth=1
	v_bcnt_u32_b32 v0, v0, 0
	v_bcnt_u32_b32 v0, v1, v0
	s_waitcnt lgkmcnt(0)
	v_add_u32_e32 v0, v6, v0
	ds_write_b32 v7, v0 offset:16
.LBB140_24:                             ;   in Loop: Header=BB140_20 Depth=1
	s_or_b64 exec, exec, s[26:27]
	v_cmp_ne_u64_e32 vcc, s[36:37], v[28:29]
	; wave barrier
	s_nop 1
	v_cndmask_b32_e32 v1, v11, v29, vcc
	v_cndmask_b32_e32 v0, -1, v28, vcc
	v_lshrrev_b64 v[0:1], s34, v[0:1]
	v_and_b32_e32 v2, s41, v0
	v_lshlrev_b32_e32 v0, 4, v2
	v_and_b32_e32 v24, 1, v2
	v_add_u32_e32 v41, v35, v0
	v_lshl_add_u64 v[0:1], v[24:25], 0, -1
	v_cmp_ne_u32_e32 vcc, 0, v24
	ds_read_b32 v9, v41 offset:16
	s_nop 0
	v_xor_b32_e32 v1, vcc_hi, v1
	v_xor_b32_e32 v0, vcc_lo, v0
	v_and_b32_e32 v3, exec_hi, v1
	v_and_b32_e32 v24, exec_lo, v0
	v_lshlrev_b32_e32 v1, 30, v2
	v_mov_b32_e32 v0, v25
	v_cmp_gt_i64_e32 vcc, 0, v[0:1]
	v_not_b32_e32 v0, v1
	v_ashrrev_i32_e32 v0, 31, v0
	v_xor_b32_e32 v1, vcc_hi, v0
	v_xor_b32_e32 v0, vcc_lo, v0
	v_and_b32_e32 v3, v3, v1
	v_and_b32_e32 v24, v24, v0
	v_lshlrev_b32_e32 v1, 29, v2
	v_mov_b32_e32 v0, v25
	v_cmp_gt_i64_e32 vcc, 0, v[0:1]
	v_not_b32_e32 v0, v1
	v_ashrrev_i32_e32 v0, 31, v0
	v_xor_b32_e32 v1, vcc_hi, v0
	v_xor_b32_e32 v0, vcc_lo, v0
	v_and_b32_e32 v3, v3, v1
	v_and_b32_e32 v24, v24, v0
	;; [unrolled: 9-line block ×7, first 2 shown]
	v_mbcnt_lo_u32_b32 v2, v0, 0
	v_mbcnt_hi_u32_b32 v42, v1, v2
	v_cmp_eq_u32_e32 vcc, 0, v42
	v_cmp_ne_u64_e64 s[26:27], 0, v[0:1]
	s_and_b64 s[44:45], s[26:27], vcc
	; wave barrier
	s_and_saveexec_b64 s[26:27], s[44:45]
	s_cbranch_execz .LBB140_26
; %bb.25:                               ;   in Loop: Header=BB140_20 Depth=1
	v_bcnt_u32_b32 v0, v0, 0
	v_bcnt_u32_b32 v0, v1, v0
	s_waitcnt lgkmcnt(0)
	v_add_u32_e32 v0, v9, v0
	ds_write_b32 v41, v0 offset:16
.LBB140_26:                             ;   in Loop: Header=BB140_20 Depth=1
	s_or_b64 exec, exec, s[26:27]
	v_cmp_ne_u64_e32 vcc, s[36:37], v[26:27]
	; wave barrier
	s_nop 1
	v_cndmask_b32_e32 v1, v11, v27, vcc
	v_cndmask_b32_e32 v0, -1, v26, vcc
	v_lshrrev_b64 v[0:1], s34, v[0:1]
	v_and_b32_e32 v2, s41, v0
	v_lshlrev_b32_e32 v0, 4, v2
	v_and_b32_e32 v24, 1, v2
	v_add_u32_e32 v44, v35, v0
	v_lshl_add_u64 v[0:1], v[24:25], 0, -1
	v_cmp_ne_u32_e32 vcc, 0, v24
	ds_read_b32 v43, v44 offset:16
	s_nop 0
	v_xor_b32_e32 v1, vcc_hi, v1
	v_xor_b32_e32 v0, vcc_lo, v0
	v_and_b32_e32 v3, exec_hi, v1
	v_and_b32_e32 v24, exec_lo, v0
	v_lshlrev_b32_e32 v1, 30, v2
	v_mov_b32_e32 v0, v25
	v_cmp_gt_i64_e32 vcc, 0, v[0:1]
	v_not_b32_e32 v0, v1
	v_ashrrev_i32_e32 v0, 31, v0
	v_xor_b32_e32 v1, vcc_hi, v0
	v_xor_b32_e32 v0, vcc_lo, v0
	v_and_b32_e32 v3, v3, v1
	v_and_b32_e32 v24, v24, v0
	v_lshlrev_b32_e32 v1, 29, v2
	v_mov_b32_e32 v0, v25
	v_cmp_gt_i64_e32 vcc, 0, v[0:1]
	v_not_b32_e32 v0, v1
	v_ashrrev_i32_e32 v0, 31, v0
	v_xor_b32_e32 v1, vcc_hi, v0
	v_xor_b32_e32 v0, vcc_lo, v0
	v_and_b32_e32 v3, v3, v1
	v_and_b32_e32 v24, v24, v0
	;; [unrolled: 9-line block ×7, first 2 shown]
	v_mbcnt_lo_u32_b32 v2, v0, 0
	v_mbcnt_hi_u32_b32 v24, v1, v2
	v_cmp_eq_u32_e32 vcc, 0, v24
	v_cmp_ne_u64_e64 s[26:27], 0, v[0:1]
	s_and_b64 s[44:45], s[26:27], vcc
	; wave barrier
	s_and_saveexec_b64 s[26:27], s[44:45]
	s_cbranch_execz .LBB140_28
; %bb.27:                               ;   in Loop: Header=BB140_20 Depth=1
	v_bcnt_u32_b32 v0, v0, 0
	v_bcnt_u32_b32 v0, v1, v0
	s_waitcnt lgkmcnt(0)
	v_add_u32_e32 v0, v43, v0
	ds_write_b32 v44, v0 offset:16
.LBB140_28:                             ;   in Loop: Header=BB140_20 Depth=1
	s_or_b64 exec, exec, s[26:27]
	; wave barrier
	s_waitcnt lgkmcnt(0)
	s_barrier
	ds_read2_b64 v[0:3], v34 offset0:2 offset1:3
	s_waitcnt lgkmcnt(0)
	v_add_u32_e32 v45, v1, v0
	v_add3_u32 v3, v45, v2, v3
	s_nop 1
	v_mov_b32_dpp v45, v3 row_shr:1 row_mask:0xf bank_mask:0xf
	v_cndmask_b32_e64 v45, v45, 0, s[0:1]
	v_add_u32_e32 v3, v45, v3
	s_nop 1
	v_mov_b32_dpp v45, v3 row_shr:2 row_mask:0xf bank_mask:0xf
	v_cndmask_b32_e64 v45, 0, v45, s[2:3]
	v_add_u32_e32 v3, v3, v45
	;; [unrolled: 4-line block ×4, first 2 shown]
	s_nop 1
	v_mov_b32_dpp v45, v3 row_bcast:15 row_mask:0xf bank_mask:0xf
	v_cndmask_b32_e64 v45, v45, 0, s[8:9]
	v_add_u32_e32 v3, v3, v45
	s_nop 1
	v_mov_b32_dpp v45, v3 row_bcast:31 row_mask:0xf bank_mask:0xf
	v_cndmask_b32_e64 v45, 0, v45, s[10:11]
	v_add_u32_e32 v3, v3, v45
	s_and_saveexec_b64 s[26:27], s[12:13]
; %bb.29:                               ;   in Loop: Header=BB140_20 Depth=1
	ds_write_b32 v37, v3
; %bb.30:                               ;   in Loop: Header=BB140_20 Depth=1
	s_or_b64 exec, exec, s[26:27]
	s_waitcnt lgkmcnt(0)
	s_barrier
	s_and_saveexec_b64 s[26:27], s[14:15]
	s_cbranch_execz .LBB140_32
; %bb.31:                               ;   in Loop: Header=BB140_20 Depth=1
	ds_read_b32 v45, v40
	s_waitcnt lgkmcnt(0)
	s_nop 0
	v_mov_b32_dpp v46, v45 row_shr:1 row_mask:0xf bank_mask:0xf
	v_cndmask_b32_e64 v46, v46, 0, s[22:23]
	v_add_u32_e32 v45, v46, v45
	s_nop 1
	v_mov_b32_dpp v46, v45 row_shr:2 row_mask:0xf bank_mask:0xf
	v_cndmask_b32_e64 v46, 0, v46, s[24:25]
	v_add_u32_e32 v45, v45, v46
	ds_write_b32 v40, v45
.LBB140_32:                             ;   in Loop: Header=BB140_20 Depth=1
	s_or_b64 exec, exec, s[26:27]
	v_mov_b32_e32 v45, 0
	s_waitcnt lgkmcnt(0)
	s_barrier
	s_and_saveexec_b64 s[26:27], s[16:17]
; %bb.33:                               ;   in Loop: Header=BB140_20 Depth=1
	ds_read_b32 v45, v38
; %bb.34:                               ;   in Loop: Header=BB140_20 Depth=1
	s_or_b64 exec, exec, s[26:27]
	s_waitcnt lgkmcnt(0)
	v_add_u32_e32 v3, v45, v3
	ds_bpermute_b32 v3, v36, v3
	v_lshlrev_b32_e32 v4, 3, v4
	s_add_i32 s34, s34, 8
	s_cmp_ge_u32 s34, s40
	s_mov_b64 s[26:27], -1
	s_waitcnt lgkmcnt(0)
	v_cndmask_b32_e64 v3, v3, v45, s[18:19]
	v_cndmask_b32_e64 v46, v3, 0, s[20:21]
	v_add_u32_e32 v47, v46, v0
	v_add_u32_e32 v0, v47, v1
	v_add_u32_e32 v1, v0, v2
	ds_write2_b64 v34, v[46:47], v[0:1] offset0:2 offset1:3
	s_waitcnt lgkmcnt(0)
	s_barrier
	ds_read_b32 v0, v5 offset:16
	ds_read_b32 v1, v7 offset:16
	;; [unrolled: 1-line block ×4, first 2 shown]
	v_lshlrev_b32_e32 v5, 3, v6
	s_waitcnt lgkmcnt(3)
	v_lshl_add_u32 v0, v0, 3, v4
	v_lshlrev_b32_e32 v4, 3, v8
	s_waitcnt lgkmcnt(2)
	v_lshlrev_b32_e32 v1, 3, v1
	v_add3_u32 v1, v4, v5, v1
	v_lshlrev_b32_e32 v4, 3, v42
	v_lshlrev_b32_e32 v5, 3, v9
	s_waitcnt lgkmcnt(1)
	v_lshlrev_b32_e32 v2, 3, v2
	v_add3_u32 v41, v4, v5, v2
	v_lshlrev_b32_e32 v2, 3, v24
	v_lshlrev_b32_e32 v4, 3, v43
	s_waitcnt lgkmcnt(0)
	v_lshlrev_b32_e32 v3, 3, v3
	v_add3_u32 v24, v2, v4, v3
                                        ; implicit-def: $vgpr8_vgpr9
                                        ; implicit-def: $vgpr4_vgpr5
                                        ; implicit-def: $vgpr42_vgpr43
                                        ; implicit-def: $vgpr46_vgpr47
	s_cbranch_scc1 .LBB140_19
; %bb.35:                               ;   in Loop: Header=BB140_20 Depth=1
	s_barrier
	ds_write_b64 v0, v[32:33]
	ds_write_b64 v1, v[30:31]
	;; [unrolled: 1-line block ×4, first 2 shown]
	s_waitcnt lgkmcnt(0)
	s_barrier
	ds_read2st64_b64 v[2:5], v39 offset1:1
	ds_read2st64_b64 v[6:9], v39 offset0:2 offset1:3
	s_waitcnt lgkmcnt(0)
	s_barrier
	ds_write_b64 v0, v[22:23]
	ds_write_b64 v1, v[20:21]
	;; [unrolled: 1-line block ×4, first 2 shown]
	s_waitcnt lgkmcnt(0)
	s_barrier
	ds_read2st64_b64 v[42:45], v39 offset1:1
	ds_read2st64_b64 v[46:49], v39 offset0:2 offset1:3
	s_add_i32 s35, s35, -8
	s_mov_b64 s[26:27], 0
	s_waitcnt lgkmcnt(0)
	s_barrier
	s_branch .LBB140_19
.LBB140_36:
	v_lshlrev_b32_e32 v8, 3, v10
	s_barrier
	ds_write_b64 v0, v[32:33]
	ds_write_b64 v1, v[30:31]
	;; [unrolled: 1-line block ×4, first 2 shown]
	s_waitcnt lgkmcnt(0)
	s_barrier
	ds_read2st64_b64 v[12:15], v8 offset1:4
	ds_read2st64_b64 v[26:29], v8 offset0:8 offset1:12
	s_waitcnt lgkmcnt(0)
	s_barrier
	ds_write_b64 v0, v[22:23]
	ds_write_b64 v1, v[20:21]
	;; [unrolled: 1-line block ×4, first 2 shown]
	v_bfrev_b32_e32 v9, -2
	v_cmp_gt_i64_e32 vcc, 0, v[12:13]
	v_ashrrev_i32_e32 v16, 31, v13
	v_not_b32_e32 v16, v16
	v_cndmask_b32_e64 v11, v9, 0, vcc
	v_cmp_gt_i64_e32 vcc, 0, v[14:15]
	s_waitcnt lgkmcnt(0)
	s_barrier
	ds_read2st64_b64 v[4:7], v8 offset1:4
	ds_read2st64_b64 v[0:3], v8 offset0:8 offset1:12
	v_xor_b32_e32 v21, v11, v13
	v_xor_b32_e32 v20, v16, v12
	v_cndmask_b32_e64 v11, v9, 0, vcc
	v_ashrrev_i32_e32 v12, 31, v15
	v_cmp_gt_i64_e32 vcc, 0, v[26:27]
	v_not_b32_e32 v12, v12
	v_xor_b32_e32 v19, v11, v15
	v_cndmask_b32_e64 v11, v9, 0, vcc
	v_cmp_gt_i64_e32 vcc, 0, v[28:29]
	v_xor_b32_e32 v18, v12, v14
	v_ashrrev_i32_e32 v12, 31, v27
	v_xor_b32_e32 v15, v11, v27
	v_cndmask_b32_e64 v9, v9, 0, vcc
	v_ashrrev_i32_e32 v11, 31, v29
	s_add_u32 s0, s38, s28
	v_not_b32_e32 v12, v12
	v_not_b32_e32 v11, v11
	v_xor_b32_e32 v13, v9, v29
	s_addc_u32 s1, s39, s29
	v_mov_b32_e32 v9, 0
	s_mov_b64 s[6:7], 0
	v_xor_b32_e32 v14, v12, v26
	v_xor_b32_e32 v12, v11, v28
	v_lshl_add_u64 v[16:17], s[0:1], 0, v[8:9]
	s_andn2_b64 vcc, exec, s[30:31]
	s_mov_b64 s[0:1], -1
	s_cbranch_vccz .LBB140_40
; %bb.37:
	s_andn2_b64 vcc, exec, s[0:1]
	s_cbranch_vccz .LBB140_41
.LBB140_38:
	s_and_saveexec_b64 s[0:1], s[6:7]
	s_cbranch_execnz .LBB140_54
.LBB140_39:
	s_endpgm
.LBB140_40:
	v_add_co_u32_e32 v22, vcc, 0x1000, v16
	s_add_u32 s0, s42, s28
	s_nop 0
	v_addc_co_u32_e32 v23, vcc, 0, v17, vcc
	s_addc_u32 s1, s43, s29
	global_store_dwordx2 v[16:17], v[20:21], off
	global_store_dwordx2 v[16:17], v[18:19], off offset:2048
	global_store_dwordx2 v[22:23], v[14:15], off
	global_store_dwordx2 v[22:23], v[12:13], off offset:2048
	v_lshl_add_u64 v[22:23], s[0:1], 0, v[8:9]
	v_add_co_u32_e32 v22, vcc, 0x1000, v22
	s_waitcnt lgkmcnt(1)
	global_store_dwordx2 v8, v[4:5], s[0:1]
	global_store_dwordx2 v8, v[6:7], s[0:1] offset:2048
	v_addc_co_u32_e32 v23, vcc, 0, v23, vcc
	s_mov_b64 s[6:7], -1
	s_waitcnt lgkmcnt(0)
	global_store_dwordx2 v[22:23], v[0:1], off
	s_cbranch_execnz .LBB140_38
.LBB140_41:
	v_cmp_gt_u32_e64 s[0:1], s33, v10
	s_and_saveexec_b64 s[2:3], s[0:1]
	s_cbranch_execz .LBB140_43
; %bb.42:
	global_store_dwordx2 v[16:17], v[20:21], off
.LBB140_43:
	s_or_b64 exec, exec, s[2:3]
	v_add_u32_e32 v9, 0x100, v10
	v_cmp_gt_u32_e64 s[2:3], s33, v9
	s_and_saveexec_b64 s[4:5], s[2:3]
	s_cbranch_execz .LBB140_45
; %bb.44:
	global_store_dwordx2 v[16:17], v[18:19], off offset:2048
.LBB140_45:
	s_or_b64 exec, exec, s[4:5]
	v_add_u32_e32 v9, 0x200, v10
	v_cmp_gt_u32_e64 s[4:5], s33, v9
	s_and_saveexec_b64 s[6:7], s[4:5]
	s_cbranch_execz .LBB140_47
; %bb.46:
	v_add_co_u32_e32 v18, vcc, 0x1000, v16
	s_nop 1
	v_addc_co_u32_e32 v19, vcc, 0, v17, vcc
	global_store_dwordx2 v[18:19], v[14:15], off
.LBB140_47:
	s_or_b64 exec, exec, s[6:7]
	v_add_u32_e32 v9, 0x300, v10
	v_cmp_gt_u32_e64 s[6:7], s33, v9
	s_and_saveexec_b64 s[8:9], s[6:7]
	s_cbranch_execz .LBB140_49
; %bb.48:
	v_add_co_u32_e32 v10, vcc, 0x1000, v16
	s_nop 1
	v_addc_co_u32_e32 v11, vcc, 0, v17, vcc
	global_store_dwordx2 v[10:11], v[12:13], off offset:2048
.LBB140_49:
	s_or_b64 exec, exec, s[8:9]
	s_add_u32 s8, s42, s28
	s_addc_u32 s9, s43, s29
	v_mov_b32_e32 v9, 0
	v_lshl_add_u64 v[10:11], s[8:9], 0, v[8:9]
	s_and_saveexec_b64 s[8:9], s[0:1]
	s_cbranch_execnz .LBB140_57
; %bb.50:
	s_or_b64 exec, exec, s[8:9]
	s_and_saveexec_b64 s[0:1], s[2:3]
	s_cbranch_execnz .LBB140_58
.LBB140_51:
	s_or_b64 exec, exec, s[0:1]
	s_and_saveexec_b64 s[0:1], s[4:5]
	s_cbranch_execz .LBB140_53
.LBB140_52:
	s_waitcnt lgkmcnt(1)
	v_add_co_u32_e32 v4, vcc, 0x1000, v10
	s_nop 1
	v_addc_co_u32_e32 v5, vcc, 0, v11, vcc
	s_waitcnt lgkmcnt(0)
	global_store_dwordx2 v[4:5], v[0:1], off
.LBB140_53:
	s_or_b64 exec, exec, s[0:1]
	s_and_saveexec_b64 s[0:1], s[6:7]
	s_cbranch_execz .LBB140_39
.LBB140_54:
	s_add_u32 s0, s42, s28
	s_addc_u32 s1, s43, s29
	v_mov_b32_e32 v9, 0
	s_waitcnt lgkmcnt(0)
	v_lshl_add_u64 v[0:1], s[0:1], 0, v[8:9]
	v_add_co_u32_e32 v0, vcc, 0x1000, v0
	s_nop 1
	v_addc_co_u32_e32 v1, vcc, 0, v1, vcc
	global_store_dwordx2 v[0:1], v[2:3], off offset:2048
	s_endpgm
.LBB140_55:
	global_load_dwordx2 v[42:43], v[16:17], off
	s_or_b64 exec, exec, s[8:9]
	s_and_saveexec_b64 s[8:9], s[2:3]
	s_cbranch_execz .LBB140_13
.LBB140_56:
	global_load_dwordx2 v[44:45], v[16:17], off offset:512
	s_or_b64 exec, exec, s[8:9]
                                        ; implicit-def: $vgpr46_vgpr47
	s_and_saveexec_b64 s[2:3], s[4:5]
	s_cbranch_execnz .LBB140_14
	s_branch .LBB140_15
.LBB140_57:
	s_waitcnt lgkmcnt(1)
	global_store_dwordx2 v[10:11], v[4:5], off
	s_or_b64 exec, exec, s[8:9]
	s_and_saveexec_b64 s[0:1], s[2:3]
	s_cbranch_execz .LBB140_51
.LBB140_58:
	s_waitcnt lgkmcnt(1)
	global_store_dwordx2 v[10:11], v[6:7], off offset:2048
	s_or_b64 exec, exec, s[0:1]
	s_and_saveexec_b64 s[0:1], s[4:5]
	s_cbranch_execnz .LBB140_52
	s_branch .LBB140_53
	.section	.rodata,"a",@progbits
	.p2align	6, 0x0
	.amdhsa_kernel _ZN7rocprim17ROCPRIM_304000_NS6detail28radix_sort_block_sort_kernelINS1_36wrapped_radix_sort_block_sort_configINS0_13kernel_configILj256ELj4ELj4294967295EEEdN2at4cuda3cub6detail10OpaqueTypeILi8EEEEELb1EPKdPdPKSB_PSB_NS0_19identity_decomposerEEEvT1_T2_T3_T4_jT5_jj
		.amdhsa_group_segment_fixed_size 8192
		.amdhsa_private_segment_fixed_size 0
		.amdhsa_kernarg_size 304
		.amdhsa_user_sgpr_count 2
		.amdhsa_user_sgpr_dispatch_ptr 0
		.amdhsa_user_sgpr_queue_ptr 0
		.amdhsa_user_sgpr_kernarg_segment_ptr 1
		.amdhsa_user_sgpr_dispatch_id 0
		.amdhsa_user_sgpr_kernarg_preload_length 0
		.amdhsa_user_sgpr_kernarg_preload_offset 0
		.amdhsa_user_sgpr_private_segment_size 0
		.amdhsa_uses_dynamic_stack 0
		.amdhsa_enable_private_segment 0
		.amdhsa_system_sgpr_workgroup_id_x 1
		.amdhsa_system_sgpr_workgroup_id_y 0
		.amdhsa_system_sgpr_workgroup_id_z 0
		.amdhsa_system_sgpr_workgroup_info 0
		.amdhsa_system_vgpr_workitem_id 2
		.amdhsa_next_free_vgpr 50
		.amdhsa_next_free_sgpr 46
		.amdhsa_accum_offset 52
		.amdhsa_reserve_vcc 1
		.amdhsa_float_round_mode_32 0
		.amdhsa_float_round_mode_16_64 0
		.amdhsa_float_denorm_mode_32 3
		.amdhsa_float_denorm_mode_16_64 3
		.amdhsa_dx10_clamp 1
		.amdhsa_ieee_mode 1
		.amdhsa_fp16_overflow 0
		.amdhsa_tg_split 0
		.amdhsa_exception_fp_ieee_invalid_op 0
		.amdhsa_exception_fp_denorm_src 0
		.amdhsa_exception_fp_ieee_div_zero 0
		.amdhsa_exception_fp_ieee_overflow 0
		.amdhsa_exception_fp_ieee_underflow 0
		.amdhsa_exception_fp_ieee_inexact 0
		.amdhsa_exception_int_div_zero 0
	.end_amdhsa_kernel
	.section	.text._ZN7rocprim17ROCPRIM_304000_NS6detail28radix_sort_block_sort_kernelINS1_36wrapped_radix_sort_block_sort_configINS0_13kernel_configILj256ELj4ELj4294967295EEEdN2at4cuda3cub6detail10OpaqueTypeILi8EEEEELb1EPKdPdPKSB_PSB_NS0_19identity_decomposerEEEvT1_T2_T3_T4_jT5_jj,"axG",@progbits,_ZN7rocprim17ROCPRIM_304000_NS6detail28radix_sort_block_sort_kernelINS1_36wrapped_radix_sort_block_sort_configINS0_13kernel_configILj256ELj4ELj4294967295EEEdN2at4cuda3cub6detail10OpaqueTypeILi8EEEEELb1EPKdPdPKSB_PSB_NS0_19identity_decomposerEEEvT1_T2_T3_T4_jT5_jj,comdat
.Lfunc_end140:
	.size	_ZN7rocprim17ROCPRIM_304000_NS6detail28radix_sort_block_sort_kernelINS1_36wrapped_radix_sort_block_sort_configINS0_13kernel_configILj256ELj4ELj4294967295EEEdN2at4cuda3cub6detail10OpaqueTypeILi8EEEEELb1EPKdPdPKSB_PSB_NS0_19identity_decomposerEEEvT1_T2_T3_T4_jT5_jj, .Lfunc_end140-_ZN7rocprim17ROCPRIM_304000_NS6detail28radix_sort_block_sort_kernelINS1_36wrapped_radix_sort_block_sort_configINS0_13kernel_configILj256ELj4ELj4294967295EEEdN2at4cuda3cub6detail10OpaqueTypeILi8EEEEELb1EPKdPdPKSB_PSB_NS0_19identity_decomposerEEEvT1_T2_T3_T4_jT5_jj
                                        ; -- End function
	.set _ZN7rocprim17ROCPRIM_304000_NS6detail28radix_sort_block_sort_kernelINS1_36wrapped_radix_sort_block_sort_configINS0_13kernel_configILj256ELj4ELj4294967295EEEdN2at4cuda3cub6detail10OpaqueTypeILi8EEEEELb1EPKdPdPKSB_PSB_NS0_19identity_decomposerEEEvT1_T2_T3_T4_jT5_jj.num_vgpr, 50
	.set _ZN7rocprim17ROCPRIM_304000_NS6detail28radix_sort_block_sort_kernelINS1_36wrapped_radix_sort_block_sort_configINS0_13kernel_configILj256ELj4ELj4294967295EEEdN2at4cuda3cub6detail10OpaqueTypeILi8EEEEELb1EPKdPdPKSB_PSB_NS0_19identity_decomposerEEEvT1_T2_T3_T4_jT5_jj.num_agpr, 0
	.set _ZN7rocprim17ROCPRIM_304000_NS6detail28radix_sort_block_sort_kernelINS1_36wrapped_radix_sort_block_sort_configINS0_13kernel_configILj256ELj4ELj4294967295EEEdN2at4cuda3cub6detail10OpaqueTypeILi8EEEEELb1EPKdPdPKSB_PSB_NS0_19identity_decomposerEEEvT1_T2_T3_T4_jT5_jj.numbered_sgpr, 46
	.set _ZN7rocprim17ROCPRIM_304000_NS6detail28radix_sort_block_sort_kernelINS1_36wrapped_radix_sort_block_sort_configINS0_13kernel_configILj256ELj4ELj4294967295EEEdN2at4cuda3cub6detail10OpaqueTypeILi8EEEEELb1EPKdPdPKSB_PSB_NS0_19identity_decomposerEEEvT1_T2_T3_T4_jT5_jj.num_named_barrier, 0
	.set _ZN7rocprim17ROCPRIM_304000_NS6detail28radix_sort_block_sort_kernelINS1_36wrapped_radix_sort_block_sort_configINS0_13kernel_configILj256ELj4ELj4294967295EEEdN2at4cuda3cub6detail10OpaqueTypeILi8EEEEELb1EPKdPdPKSB_PSB_NS0_19identity_decomposerEEEvT1_T2_T3_T4_jT5_jj.private_seg_size, 0
	.set _ZN7rocprim17ROCPRIM_304000_NS6detail28radix_sort_block_sort_kernelINS1_36wrapped_radix_sort_block_sort_configINS0_13kernel_configILj256ELj4ELj4294967295EEEdN2at4cuda3cub6detail10OpaqueTypeILi8EEEEELb1EPKdPdPKSB_PSB_NS0_19identity_decomposerEEEvT1_T2_T3_T4_jT5_jj.uses_vcc, 1
	.set _ZN7rocprim17ROCPRIM_304000_NS6detail28radix_sort_block_sort_kernelINS1_36wrapped_radix_sort_block_sort_configINS0_13kernel_configILj256ELj4ELj4294967295EEEdN2at4cuda3cub6detail10OpaqueTypeILi8EEEEELb1EPKdPdPKSB_PSB_NS0_19identity_decomposerEEEvT1_T2_T3_T4_jT5_jj.uses_flat_scratch, 0
	.set _ZN7rocprim17ROCPRIM_304000_NS6detail28radix_sort_block_sort_kernelINS1_36wrapped_radix_sort_block_sort_configINS0_13kernel_configILj256ELj4ELj4294967295EEEdN2at4cuda3cub6detail10OpaqueTypeILi8EEEEELb1EPKdPdPKSB_PSB_NS0_19identity_decomposerEEEvT1_T2_T3_T4_jT5_jj.has_dyn_sized_stack, 0
	.set _ZN7rocprim17ROCPRIM_304000_NS6detail28radix_sort_block_sort_kernelINS1_36wrapped_radix_sort_block_sort_configINS0_13kernel_configILj256ELj4ELj4294967295EEEdN2at4cuda3cub6detail10OpaqueTypeILi8EEEEELb1EPKdPdPKSB_PSB_NS0_19identity_decomposerEEEvT1_T2_T3_T4_jT5_jj.has_recursion, 0
	.set _ZN7rocprim17ROCPRIM_304000_NS6detail28radix_sort_block_sort_kernelINS1_36wrapped_radix_sort_block_sort_configINS0_13kernel_configILj256ELj4ELj4294967295EEEdN2at4cuda3cub6detail10OpaqueTypeILi8EEEEELb1EPKdPdPKSB_PSB_NS0_19identity_decomposerEEEvT1_T2_T3_T4_jT5_jj.has_indirect_call, 0
	.section	.AMDGPU.csdata,"",@progbits
; Kernel info:
; codeLenInByte = 4164
; TotalNumSgprs: 52
; NumVgprs: 50
; NumAgprs: 0
; TotalNumVgprs: 50
; ScratchSize: 0
; MemoryBound: 1
; FloatMode: 240
; IeeeMode: 1
; LDSByteSize: 8192 bytes/workgroup (compile time only)
; SGPRBlocks: 6
; VGPRBlocks: 6
; NumSGPRsForWavesPerEU: 52
; NumVGPRsForWavesPerEU: 50
; AccumOffset: 52
; Occupancy: 8
; WaveLimiterHint : 1
; COMPUTE_PGM_RSRC2:SCRATCH_EN: 0
; COMPUTE_PGM_RSRC2:USER_SGPR: 2
; COMPUTE_PGM_RSRC2:TRAP_HANDLER: 0
; COMPUTE_PGM_RSRC2:TGID_X_EN: 1
; COMPUTE_PGM_RSRC2:TGID_Y_EN: 0
; COMPUTE_PGM_RSRC2:TGID_Z_EN: 0
; COMPUTE_PGM_RSRC2:TIDIG_COMP_CNT: 2
; COMPUTE_PGM_RSRC3_GFX90A:ACCUM_OFFSET: 12
; COMPUTE_PGM_RSRC3_GFX90A:TG_SPLIT: 0
	.section	.text._ZN7rocprim17ROCPRIM_304000_NS6detail39device_merge_sort_compile_time_verifierINS1_36wrapped_merge_sort_block_sort_configINS1_28merge_sort_block_sort_configILj256ELj4ELNS0_20block_sort_algorithmE0EEEdN2at4cuda3cub6detail10OpaqueTypeILi8EEEEENS1_37wrapped_merge_sort_block_merge_configINS0_14default_configEdSC_EEEEvv,"axG",@progbits,_ZN7rocprim17ROCPRIM_304000_NS6detail39device_merge_sort_compile_time_verifierINS1_36wrapped_merge_sort_block_sort_configINS1_28merge_sort_block_sort_configILj256ELj4ELNS0_20block_sort_algorithmE0EEEdN2at4cuda3cub6detail10OpaqueTypeILi8EEEEENS1_37wrapped_merge_sort_block_merge_configINS0_14default_configEdSC_EEEEvv,comdat
	.protected	_ZN7rocprim17ROCPRIM_304000_NS6detail39device_merge_sort_compile_time_verifierINS1_36wrapped_merge_sort_block_sort_configINS1_28merge_sort_block_sort_configILj256ELj4ELNS0_20block_sort_algorithmE0EEEdN2at4cuda3cub6detail10OpaqueTypeILi8EEEEENS1_37wrapped_merge_sort_block_merge_configINS0_14default_configEdSC_EEEEvv ; -- Begin function _ZN7rocprim17ROCPRIM_304000_NS6detail39device_merge_sort_compile_time_verifierINS1_36wrapped_merge_sort_block_sort_configINS1_28merge_sort_block_sort_configILj256ELj4ELNS0_20block_sort_algorithmE0EEEdN2at4cuda3cub6detail10OpaqueTypeILi8EEEEENS1_37wrapped_merge_sort_block_merge_configINS0_14default_configEdSC_EEEEvv
	.globl	_ZN7rocprim17ROCPRIM_304000_NS6detail39device_merge_sort_compile_time_verifierINS1_36wrapped_merge_sort_block_sort_configINS1_28merge_sort_block_sort_configILj256ELj4ELNS0_20block_sort_algorithmE0EEEdN2at4cuda3cub6detail10OpaqueTypeILi8EEEEENS1_37wrapped_merge_sort_block_merge_configINS0_14default_configEdSC_EEEEvv
	.p2align	8
	.type	_ZN7rocprim17ROCPRIM_304000_NS6detail39device_merge_sort_compile_time_verifierINS1_36wrapped_merge_sort_block_sort_configINS1_28merge_sort_block_sort_configILj256ELj4ELNS0_20block_sort_algorithmE0EEEdN2at4cuda3cub6detail10OpaqueTypeILi8EEEEENS1_37wrapped_merge_sort_block_merge_configINS0_14default_configEdSC_EEEEvv,@function
_ZN7rocprim17ROCPRIM_304000_NS6detail39device_merge_sort_compile_time_verifierINS1_36wrapped_merge_sort_block_sort_configINS1_28merge_sort_block_sort_configILj256ELj4ELNS0_20block_sort_algorithmE0EEEdN2at4cuda3cub6detail10OpaqueTypeILi8EEEEENS1_37wrapped_merge_sort_block_merge_configINS0_14default_configEdSC_EEEEvv: ; @_ZN7rocprim17ROCPRIM_304000_NS6detail39device_merge_sort_compile_time_verifierINS1_36wrapped_merge_sort_block_sort_configINS1_28merge_sort_block_sort_configILj256ELj4ELNS0_20block_sort_algorithmE0EEEdN2at4cuda3cub6detail10OpaqueTypeILi8EEEEENS1_37wrapped_merge_sort_block_merge_configINS0_14default_configEdSC_EEEEvv
; %bb.0:
	s_endpgm
	.section	.rodata,"a",@progbits
	.p2align	6, 0x0
	.amdhsa_kernel _ZN7rocprim17ROCPRIM_304000_NS6detail39device_merge_sort_compile_time_verifierINS1_36wrapped_merge_sort_block_sort_configINS1_28merge_sort_block_sort_configILj256ELj4ELNS0_20block_sort_algorithmE0EEEdN2at4cuda3cub6detail10OpaqueTypeILi8EEEEENS1_37wrapped_merge_sort_block_merge_configINS0_14default_configEdSC_EEEEvv
		.amdhsa_group_segment_fixed_size 0
		.amdhsa_private_segment_fixed_size 0
		.amdhsa_kernarg_size 0
		.amdhsa_user_sgpr_count 0
		.amdhsa_user_sgpr_dispatch_ptr 0
		.amdhsa_user_sgpr_queue_ptr 0
		.amdhsa_user_sgpr_kernarg_segment_ptr 0
		.amdhsa_user_sgpr_dispatch_id 0
		.amdhsa_user_sgpr_kernarg_preload_length 0
		.amdhsa_user_sgpr_kernarg_preload_offset 0
		.amdhsa_user_sgpr_private_segment_size 0
		.amdhsa_uses_dynamic_stack 0
		.amdhsa_enable_private_segment 0
		.amdhsa_system_sgpr_workgroup_id_x 1
		.amdhsa_system_sgpr_workgroup_id_y 0
		.amdhsa_system_sgpr_workgroup_id_z 0
		.amdhsa_system_sgpr_workgroup_info 0
		.amdhsa_system_vgpr_workitem_id 0
		.amdhsa_next_free_vgpr 1
		.amdhsa_next_free_sgpr 0
		.amdhsa_accum_offset 4
		.amdhsa_reserve_vcc 0
		.amdhsa_float_round_mode_32 0
		.amdhsa_float_round_mode_16_64 0
		.amdhsa_float_denorm_mode_32 3
		.amdhsa_float_denorm_mode_16_64 3
		.amdhsa_dx10_clamp 1
		.amdhsa_ieee_mode 1
		.amdhsa_fp16_overflow 0
		.amdhsa_tg_split 0
		.amdhsa_exception_fp_ieee_invalid_op 0
		.amdhsa_exception_fp_denorm_src 0
		.amdhsa_exception_fp_ieee_div_zero 0
		.amdhsa_exception_fp_ieee_overflow 0
		.amdhsa_exception_fp_ieee_underflow 0
		.amdhsa_exception_fp_ieee_inexact 0
		.amdhsa_exception_int_div_zero 0
	.end_amdhsa_kernel
	.section	.text._ZN7rocprim17ROCPRIM_304000_NS6detail39device_merge_sort_compile_time_verifierINS1_36wrapped_merge_sort_block_sort_configINS1_28merge_sort_block_sort_configILj256ELj4ELNS0_20block_sort_algorithmE0EEEdN2at4cuda3cub6detail10OpaqueTypeILi8EEEEENS1_37wrapped_merge_sort_block_merge_configINS0_14default_configEdSC_EEEEvv,"axG",@progbits,_ZN7rocprim17ROCPRIM_304000_NS6detail39device_merge_sort_compile_time_verifierINS1_36wrapped_merge_sort_block_sort_configINS1_28merge_sort_block_sort_configILj256ELj4ELNS0_20block_sort_algorithmE0EEEdN2at4cuda3cub6detail10OpaqueTypeILi8EEEEENS1_37wrapped_merge_sort_block_merge_configINS0_14default_configEdSC_EEEEvv,comdat
.Lfunc_end141:
	.size	_ZN7rocprim17ROCPRIM_304000_NS6detail39device_merge_sort_compile_time_verifierINS1_36wrapped_merge_sort_block_sort_configINS1_28merge_sort_block_sort_configILj256ELj4ELNS0_20block_sort_algorithmE0EEEdN2at4cuda3cub6detail10OpaqueTypeILi8EEEEENS1_37wrapped_merge_sort_block_merge_configINS0_14default_configEdSC_EEEEvv, .Lfunc_end141-_ZN7rocprim17ROCPRIM_304000_NS6detail39device_merge_sort_compile_time_verifierINS1_36wrapped_merge_sort_block_sort_configINS1_28merge_sort_block_sort_configILj256ELj4ELNS0_20block_sort_algorithmE0EEEdN2at4cuda3cub6detail10OpaqueTypeILi8EEEEENS1_37wrapped_merge_sort_block_merge_configINS0_14default_configEdSC_EEEEvv
                                        ; -- End function
	.set _ZN7rocprim17ROCPRIM_304000_NS6detail39device_merge_sort_compile_time_verifierINS1_36wrapped_merge_sort_block_sort_configINS1_28merge_sort_block_sort_configILj256ELj4ELNS0_20block_sort_algorithmE0EEEdN2at4cuda3cub6detail10OpaqueTypeILi8EEEEENS1_37wrapped_merge_sort_block_merge_configINS0_14default_configEdSC_EEEEvv.num_vgpr, 0
	.set _ZN7rocprim17ROCPRIM_304000_NS6detail39device_merge_sort_compile_time_verifierINS1_36wrapped_merge_sort_block_sort_configINS1_28merge_sort_block_sort_configILj256ELj4ELNS0_20block_sort_algorithmE0EEEdN2at4cuda3cub6detail10OpaqueTypeILi8EEEEENS1_37wrapped_merge_sort_block_merge_configINS0_14default_configEdSC_EEEEvv.num_agpr, 0
	.set _ZN7rocprim17ROCPRIM_304000_NS6detail39device_merge_sort_compile_time_verifierINS1_36wrapped_merge_sort_block_sort_configINS1_28merge_sort_block_sort_configILj256ELj4ELNS0_20block_sort_algorithmE0EEEdN2at4cuda3cub6detail10OpaqueTypeILi8EEEEENS1_37wrapped_merge_sort_block_merge_configINS0_14default_configEdSC_EEEEvv.numbered_sgpr, 0
	.set _ZN7rocprim17ROCPRIM_304000_NS6detail39device_merge_sort_compile_time_verifierINS1_36wrapped_merge_sort_block_sort_configINS1_28merge_sort_block_sort_configILj256ELj4ELNS0_20block_sort_algorithmE0EEEdN2at4cuda3cub6detail10OpaqueTypeILi8EEEEENS1_37wrapped_merge_sort_block_merge_configINS0_14default_configEdSC_EEEEvv.num_named_barrier, 0
	.set _ZN7rocprim17ROCPRIM_304000_NS6detail39device_merge_sort_compile_time_verifierINS1_36wrapped_merge_sort_block_sort_configINS1_28merge_sort_block_sort_configILj256ELj4ELNS0_20block_sort_algorithmE0EEEdN2at4cuda3cub6detail10OpaqueTypeILi8EEEEENS1_37wrapped_merge_sort_block_merge_configINS0_14default_configEdSC_EEEEvv.private_seg_size, 0
	.set _ZN7rocprim17ROCPRIM_304000_NS6detail39device_merge_sort_compile_time_verifierINS1_36wrapped_merge_sort_block_sort_configINS1_28merge_sort_block_sort_configILj256ELj4ELNS0_20block_sort_algorithmE0EEEdN2at4cuda3cub6detail10OpaqueTypeILi8EEEEENS1_37wrapped_merge_sort_block_merge_configINS0_14default_configEdSC_EEEEvv.uses_vcc, 0
	.set _ZN7rocprim17ROCPRIM_304000_NS6detail39device_merge_sort_compile_time_verifierINS1_36wrapped_merge_sort_block_sort_configINS1_28merge_sort_block_sort_configILj256ELj4ELNS0_20block_sort_algorithmE0EEEdN2at4cuda3cub6detail10OpaqueTypeILi8EEEEENS1_37wrapped_merge_sort_block_merge_configINS0_14default_configEdSC_EEEEvv.uses_flat_scratch, 0
	.set _ZN7rocprim17ROCPRIM_304000_NS6detail39device_merge_sort_compile_time_verifierINS1_36wrapped_merge_sort_block_sort_configINS1_28merge_sort_block_sort_configILj256ELj4ELNS0_20block_sort_algorithmE0EEEdN2at4cuda3cub6detail10OpaqueTypeILi8EEEEENS1_37wrapped_merge_sort_block_merge_configINS0_14default_configEdSC_EEEEvv.has_dyn_sized_stack, 0
	.set _ZN7rocprim17ROCPRIM_304000_NS6detail39device_merge_sort_compile_time_verifierINS1_36wrapped_merge_sort_block_sort_configINS1_28merge_sort_block_sort_configILj256ELj4ELNS0_20block_sort_algorithmE0EEEdN2at4cuda3cub6detail10OpaqueTypeILi8EEEEENS1_37wrapped_merge_sort_block_merge_configINS0_14default_configEdSC_EEEEvv.has_recursion, 0
	.set _ZN7rocprim17ROCPRIM_304000_NS6detail39device_merge_sort_compile_time_verifierINS1_36wrapped_merge_sort_block_sort_configINS1_28merge_sort_block_sort_configILj256ELj4ELNS0_20block_sort_algorithmE0EEEdN2at4cuda3cub6detail10OpaqueTypeILi8EEEEENS1_37wrapped_merge_sort_block_merge_configINS0_14default_configEdSC_EEEEvv.has_indirect_call, 0
	.section	.AMDGPU.csdata,"",@progbits
; Kernel info:
; codeLenInByte = 4
; TotalNumSgprs: 6
; NumVgprs: 0
; NumAgprs: 0
; TotalNumVgprs: 0
; ScratchSize: 0
; MemoryBound: 0
; FloatMode: 240
; IeeeMode: 1
; LDSByteSize: 0 bytes/workgroup (compile time only)
; SGPRBlocks: 0
; VGPRBlocks: 0
; NumSGPRsForWavesPerEU: 6
; NumVGPRsForWavesPerEU: 1
; AccumOffset: 4
; Occupancy: 8
; WaveLimiterHint : 0
; COMPUTE_PGM_RSRC2:SCRATCH_EN: 0
; COMPUTE_PGM_RSRC2:USER_SGPR: 0
; COMPUTE_PGM_RSRC2:TRAP_HANDLER: 0
; COMPUTE_PGM_RSRC2:TGID_X_EN: 1
; COMPUTE_PGM_RSRC2:TGID_Y_EN: 0
; COMPUTE_PGM_RSRC2:TGID_Z_EN: 0
; COMPUTE_PGM_RSRC2:TIDIG_COMP_CNT: 0
; COMPUTE_PGM_RSRC3_GFX90A:ACCUM_OFFSET: 0
; COMPUTE_PGM_RSRC3_GFX90A:TG_SPLIT: 0
	.section	.text._ZN7rocprim17ROCPRIM_304000_NS6detail45device_block_merge_mergepath_partition_kernelINS1_37wrapped_merge_sort_block_merge_configINS0_14default_configEdN2at4cuda3cub6detail10OpaqueTypeILi8EEEEEPdjNS1_19radix_merge_compareILb1ELb0EdNS0_19identity_decomposerEEEEEvT0_T1_jPSH_T2_SH_,"axG",@progbits,_ZN7rocprim17ROCPRIM_304000_NS6detail45device_block_merge_mergepath_partition_kernelINS1_37wrapped_merge_sort_block_merge_configINS0_14default_configEdN2at4cuda3cub6detail10OpaqueTypeILi8EEEEEPdjNS1_19radix_merge_compareILb1ELb0EdNS0_19identity_decomposerEEEEEvT0_T1_jPSH_T2_SH_,comdat
	.protected	_ZN7rocprim17ROCPRIM_304000_NS6detail45device_block_merge_mergepath_partition_kernelINS1_37wrapped_merge_sort_block_merge_configINS0_14default_configEdN2at4cuda3cub6detail10OpaqueTypeILi8EEEEEPdjNS1_19radix_merge_compareILb1ELb0EdNS0_19identity_decomposerEEEEEvT0_T1_jPSH_T2_SH_ ; -- Begin function _ZN7rocprim17ROCPRIM_304000_NS6detail45device_block_merge_mergepath_partition_kernelINS1_37wrapped_merge_sort_block_merge_configINS0_14default_configEdN2at4cuda3cub6detail10OpaqueTypeILi8EEEEEPdjNS1_19radix_merge_compareILb1ELb0EdNS0_19identity_decomposerEEEEEvT0_T1_jPSH_T2_SH_
	.globl	_ZN7rocprim17ROCPRIM_304000_NS6detail45device_block_merge_mergepath_partition_kernelINS1_37wrapped_merge_sort_block_merge_configINS0_14default_configEdN2at4cuda3cub6detail10OpaqueTypeILi8EEEEEPdjNS1_19radix_merge_compareILb1ELb0EdNS0_19identity_decomposerEEEEEvT0_T1_jPSH_T2_SH_
	.p2align	8
	.type	_ZN7rocprim17ROCPRIM_304000_NS6detail45device_block_merge_mergepath_partition_kernelINS1_37wrapped_merge_sort_block_merge_configINS0_14default_configEdN2at4cuda3cub6detail10OpaqueTypeILi8EEEEEPdjNS1_19radix_merge_compareILb1ELb0EdNS0_19identity_decomposerEEEEEvT0_T1_jPSH_T2_SH_,@function
_ZN7rocprim17ROCPRIM_304000_NS6detail45device_block_merge_mergepath_partition_kernelINS1_37wrapped_merge_sort_block_merge_configINS0_14default_configEdN2at4cuda3cub6detail10OpaqueTypeILi8EEEEEPdjNS1_19radix_merge_compareILb1ELb0EdNS0_19identity_decomposerEEEEEvT0_T1_jPSH_T2_SH_: ; @_ZN7rocprim17ROCPRIM_304000_NS6detail45device_block_merge_mergepath_partition_kernelINS1_37wrapped_merge_sort_block_merge_configINS0_14default_configEdN2at4cuda3cub6detail10OpaqueTypeILi8EEEEEPdjNS1_19radix_merge_compareILb1ELb0EdNS0_19identity_decomposerEEEEEvT0_T1_jPSH_T2_SH_
; %bb.0:
	s_load_dwordx2 s[6:7], s[0:1], 0x8
	v_lshl_or_b32 v0, s2, 7, v0
	s_waitcnt lgkmcnt(0)
	v_cmp_gt_u32_e32 vcc, s7, v0
	s_and_saveexec_b64 s[2:3], vcc
	s_cbranch_execz .LBB142_6
; %bb.1:
	s_load_dword s2, s[0:1], 0x1c
	s_mov_b32 s4, 0
	s_waitcnt lgkmcnt(0)
	s_lshr_b32 s3, s2, 9
	s_and_b32 s3, s3, 0x7ffffe
	s_add_i32 s5, s3, -1
	s_sub_i32 s3, 0, s3
	v_and_b32_e32 v1, s3, v0
	v_lshlrev_b32_e32 v1, 10, v1
	v_min_u32_e32 v2, s6, v1
	v_add_u32_e32 v1, s2, v1
	v_min_u32_e32 v4, s6, v1
	v_add_u32_e32 v1, s2, v4
	v_and_b32_e32 v3, s5, v0
	v_min_u32_e32 v1, s6, v1
	v_sub_u32_e32 v5, v1, v2
	v_lshlrev_b32_e32 v3, 10, v3
	v_min_u32_e32 v10, v5, v3
	v_sub_u32_e32 v3, v4, v2
	v_sub_u32_e32 v1, v1, v4
	v_sub_u32_e64 v1, v10, v1 clamp
	v_min_u32_e32 v11, v10, v3
	v_cmp_lt_u32_e32 vcc, v1, v11
	s_and_saveexec_b64 s[6:7], vcc
	s_cbranch_execz .LBB142_5
; %bb.2:
	s_load_dwordx2 s[2:3], s[0:1], 0x0
	v_mov_b32_e32 v5, 0
	v_mov_b32_e32 v3, v5
	s_mov_b64 s[8:9], 0
	s_brev_b32 s5, 1
	s_waitcnt lgkmcnt(0)
	v_lshl_add_u64 v[6:7], v[2:3], 3, s[2:3]
	v_lshl_add_u64 v[8:9], v[4:5], 3, s[2:3]
	v_bfrev_b32_e32 v3, 1
.LBB142_3:                              ; =>This Inner Loop Header: Depth=1
	v_add_u32_e32 v4, v11, v1
	v_lshrrev_b32_e32 v4, 1, v4
	v_mov_b32_e32 v13, v5
	v_xad_u32 v12, v4, -1, v10
	v_lshl_add_u64 v[14:15], v[4:5], 3, v[6:7]
	global_load_dwordx2 v[14:15], v[14:15], off
	v_lshl_add_u64 v[12:13], v[12:13], 3, v[8:9]
	global_load_dwordx2 v[12:13], v[12:13], off
	v_add_u32_e32 v16, 1, v4
	s_waitcnt vmcnt(1)
	v_cmp_ne_u64_e32 vcc, s[4:5], v[14:15]
	s_nop 1
	v_cndmask_b32_e32 v15, 0, v15, vcc
	s_waitcnt vmcnt(0)
	v_cmp_ne_u64_e64 s[2:3], s[4:5], v[12:13]
	v_cndmask_b32_e32 v14, 0, v14, vcc
	v_cmp_lt_i64_e32 vcc, -1, v[14:15]
	v_cndmask_b32_e64 v13, 0, v13, s[2:3]
	v_cndmask_b32_e64 v12, 0, v12, s[2:3]
	v_ashrrev_i32_e32 v17, 31, v15
	v_cndmask_b32_e32 v19, -1, v3, vcc
	v_cmp_lt_i64_e32 vcc, -1, v[12:13]
	v_ashrrev_i32_e32 v18, 31, v13
	v_xor_b32_e32 v14, v17, v14
	v_cndmask_b32_e32 v17, -1, v3, vcc
	v_xor_b32_e32 v12, v18, v12
	v_xor_b32_e32 v15, v19, v15
	;; [unrolled: 1-line block ×3, first 2 shown]
	v_cmp_gt_u64_e32 vcc, v[12:13], v[14:15]
	s_nop 1
	v_cndmask_b32_e32 v11, v11, v4, vcc
	v_cndmask_b32_e32 v1, v16, v1, vcc
	v_cmp_ge_u32_e32 vcc, v1, v11
	s_or_b64 s[8:9], vcc, s[8:9]
	s_andn2_b64 exec, exec, s[8:9]
	s_cbranch_execnz .LBB142_3
; %bb.4:
	s_or_b64 exec, exec, s[8:9]
.LBB142_5:
	s_or_b64 exec, exec, s[6:7]
	s_load_dwordx2 s[0:1], s[0:1], 0x10
	v_add_u32_e32 v2, v1, v2
	v_mov_b32_e32 v1, 0
	s_waitcnt lgkmcnt(0)
	v_lshl_add_u64 v[0:1], v[0:1], 2, s[0:1]
	global_store_dword v[0:1], v2, off
.LBB142_6:
	s_endpgm
	.section	.rodata,"a",@progbits
	.p2align	6, 0x0
	.amdhsa_kernel _ZN7rocprim17ROCPRIM_304000_NS6detail45device_block_merge_mergepath_partition_kernelINS1_37wrapped_merge_sort_block_merge_configINS0_14default_configEdN2at4cuda3cub6detail10OpaqueTypeILi8EEEEEPdjNS1_19radix_merge_compareILb1ELb0EdNS0_19identity_decomposerEEEEEvT0_T1_jPSH_T2_SH_
		.amdhsa_group_segment_fixed_size 0
		.amdhsa_private_segment_fixed_size 0
		.amdhsa_kernarg_size 32
		.amdhsa_user_sgpr_count 2
		.amdhsa_user_sgpr_dispatch_ptr 0
		.amdhsa_user_sgpr_queue_ptr 0
		.amdhsa_user_sgpr_kernarg_segment_ptr 1
		.amdhsa_user_sgpr_dispatch_id 0
		.amdhsa_user_sgpr_kernarg_preload_length 0
		.amdhsa_user_sgpr_kernarg_preload_offset 0
		.amdhsa_user_sgpr_private_segment_size 0
		.amdhsa_uses_dynamic_stack 0
		.amdhsa_enable_private_segment 0
		.amdhsa_system_sgpr_workgroup_id_x 1
		.amdhsa_system_sgpr_workgroup_id_y 0
		.amdhsa_system_sgpr_workgroup_id_z 0
		.amdhsa_system_sgpr_workgroup_info 0
		.amdhsa_system_vgpr_workitem_id 0
		.amdhsa_next_free_vgpr 20
		.amdhsa_next_free_sgpr 10
		.amdhsa_accum_offset 20
		.amdhsa_reserve_vcc 1
		.amdhsa_float_round_mode_32 0
		.amdhsa_float_round_mode_16_64 0
		.amdhsa_float_denorm_mode_32 3
		.amdhsa_float_denorm_mode_16_64 3
		.amdhsa_dx10_clamp 1
		.amdhsa_ieee_mode 1
		.amdhsa_fp16_overflow 0
		.amdhsa_tg_split 0
		.amdhsa_exception_fp_ieee_invalid_op 0
		.amdhsa_exception_fp_denorm_src 0
		.amdhsa_exception_fp_ieee_div_zero 0
		.amdhsa_exception_fp_ieee_overflow 0
		.amdhsa_exception_fp_ieee_underflow 0
		.amdhsa_exception_fp_ieee_inexact 0
		.amdhsa_exception_int_div_zero 0
	.end_amdhsa_kernel
	.section	.text._ZN7rocprim17ROCPRIM_304000_NS6detail45device_block_merge_mergepath_partition_kernelINS1_37wrapped_merge_sort_block_merge_configINS0_14default_configEdN2at4cuda3cub6detail10OpaqueTypeILi8EEEEEPdjNS1_19radix_merge_compareILb1ELb0EdNS0_19identity_decomposerEEEEEvT0_T1_jPSH_T2_SH_,"axG",@progbits,_ZN7rocprim17ROCPRIM_304000_NS6detail45device_block_merge_mergepath_partition_kernelINS1_37wrapped_merge_sort_block_merge_configINS0_14default_configEdN2at4cuda3cub6detail10OpaqueTypeILi8EEEEEPdjNS1_19radix_merge_compareILb1ELb0EdNS0_19identity_decomposerEEEEEvT0_T1_jPSH_T2_SH_,comdat
.Lfunc_end142:
	.size	_ZN7rocprim17ROCPRIM_304000_NS6detail45device_block_merge_mergepath_partition_kernelINS1_37wrapped_merge_sort_block_merge_configINS0_14default_configEdN2at4cuda3cub6detail10OpaqueTypeILi8EEEEEPdjNS1_19radix_merge_compareILb1ELb0EdNS0_19identity_decomposerEEEEEvT0_T1_jPSH_T2_SH_, .Lfunc_end142-_ZN7rocprim17ROCPRIM_304000_NS6detail45device_block_merge_mergepath_partition_kernelINS1_37wrapped_merge_sort_block_merge_configINS0_14default_configEdN2at4cuda3cub6detail10OpaqueTypeILi8EEEEEPdjNS1_19radix_merge_compareILb1ELb0EdNS0_19identity_decomposerEEEEEvT0_T1_jPSH_T2_SH_
                                        ; -- End function
	.set _ZN7rocprim17ROCPRIM_304000_NS6detail45device_block_merge_mergepath_partition_kernelINS1_37wrapped_merge_sort_block_merge_configINS0_14default_configEdN2at4cuda3cub6detail10OpaqueTypeILi8EEEEEPdjNS1_19radix_merge_compareILb1ELb0EdNS0_19identity_decomposerEEEEEvT0_T1_jPSH_T2_SH_.num_vgpr, 20
	.set _ZN7rocprim17ROCPRIM_304000_NS6detail45device_block_merge_mergepath_partition_kernelINS1_37wrapped_merge_sort_block_merge_configINS0_14default_configEdN2at4cuda3cub6detail10OpaqueTypeILi8EEEEEPdjNS1_19radix_merge_compareILb1ELb0EdNS0_19identity_decomposerEEEEEvT0_T1_jPSH_T2_SH_.num_agpr, 0
	.set _ZN7rocprim17ROCPRIM_304000_NS6detail45device_block_merge_mergepath_partition_kernelINS1_37wrapped_merge_sort_block_merge_configINS0_14default_configEdN2at4cuda3cub6detail10OpaqueTypeILi8EEEEEPdjNS1_19radix_merge_compareILb1ELb0EdNS0_19identity_decomposerEEEEEvT0_T1_jPSH_T2_SH_.numbered_sgpr, 10
	.set _ZN7rocprim17ROCPRIM_304000_NS6detail45device_block_merge_mergepath_partition_kernelINS1_37wrapped_merge_sort_block_merge_configINS0_14default_configEdN2at4cuda3cub6detail10OpaqueTypeILi8EEEEEPdjNS1_19radix_merge_compareILb1ELb0EdNS0_19identity_decomposerEEEEEvT0_T1_jPSH_T2_SH_.num_named_barrier, 0
	.set _ZN7rocprim17ROCPRIM_304000_NS6detail45device_block_merge_mergepath_partition_kernelINS1_37wrapped_merge_sort_block_merge_configINS0_14default_configEdN2at4cuda3cub6detail10OpaqueTypeILi8EEEEEPdjNS1_19radix_merge_compareILb1ELb0EdNS0_19identity_decomposerEEEEEvT0_T1_jPSH_T2_SH_.private_seg_size, 0
	.set _ZN7rocprim17ROCPRIM_304000_NS6detail45device_block_merge_mergepath_partition_kernelINS1_37wrapped_merge_sort_block_merge_configINS0_14default_configEdN2at4cuda3cub6detail10OpaqueTypeILi8EEEEEPdjNS1_19radix_merge_compareILb1ELb0EdNS0_19identity_decomposerEEEEEvT0_T1_jPSH_T2_SH_.uses_vcc, 1
	.set _ZN7rocprim17ROCPRIM_304000_NS6detail45device_block_merge_mergepath_partition_kernelINS1_37wrapped_merge_sort_block_merge_configINS0_14default_configEdN2at4cuda3cub6detail10OpaqueTypeILi8EEEEEPdjNS1_19radix_merge_compareILb1ELb0EdNS0_19identity_decomposerEEEEEvT0_T1_jPSH_T2_SH_.uses_flat_scratch, 0
	.set _ZN7rocprim17ROCPRIM_304000_NS6detail45device_block_merge_mergepath_partition_kernelINS1_37wrapped_merge_sort_block_merge_configINS0_14default_configEdN2at4cuda3cub6detail10OpaqueTypeILi8EEEEEPdjNS1_19radix_merge_compareILb1ELb0EdNS0_19identity_decomposerEEEEEvT0_T1_jPSH_T2_SH_.has_dyn_sized_stack, 0
	.set _ZN7rocprim17ROCPRIM_304000_NS6detail45device_block_merge_mergepath_partition_kernelINS1_37wrapped_merge_sort_block_merge_configINS0_14default_configEdN2at4cuda3cub6detail10OpaqueTypeILi8EEEEEPdjNS1_19radix_merge_compareILb1ELb0EdNS0_19identity_decomposerEEEEEvT0_T1_jPSH_T2_SH_.has_recursion, 0
	.set _ZN7rocprim17ROCPRIM_304000_NS6detail45device_block_merge_mergepath_partition_kernelINS1_37wrapped_merge_sort_block_merge_configINS0_14default_configEdN2at4cuda3cub6detail10OpaqueTypeILi8EEEEEPdjNS1_19radix_merge_compareILb1ELb0EdNS0_19identity_decomposerEEEEEvT0_T1_jPSH_T2_SH_.has_indirect_call, 0
	.section	.AMDGPU.csdata,"",@progbits
; Kernel info:
; codeLenInByte = 416
; TotalNumSgprs: 16
; NumVgprs: 20
; NumAgprs: 0
; TotalNumVgprs: 20
; ScratchSize: 0
; MemoryBound: 0
; FloatMode: 240
; IeeeMode: 1
; LDSByteSize: 0 bytes/workgroup (compile time only)
; SGPRBlocks: 1
; VGPRBlocks: 2
; NumSGPRsForWavesPerEU: 16
; NumVGPRsForWavesPerEU: 20
; AccumOffset: 20
; Occupancy: 8
; WaveLimiterHint : 0
; COMPUTE_PGM_RSRC2:SCRATCH_EN: 0
; COMPUTE_PGM_RSRC2:USER_SGPR: 2
; COMPUTE_PGM_RSRC2:TRAP_HANDLER: 0
; COMPUTE_PGM_RSRC2:TGID_X_EN: 1
; COMPUTE_PGM_RSRC2:TGID_Y_EN: 0
; COMPUTE_PGM_RSRC2:TGID_Z_EN: 0
; COMPUTE_PGM_RSRC2:TIDIG_COMP_CNT: 0
; COMPUTE_PGM_RSRC3_GFX90A:ACCUM_OFFSET: 4
; COMPUTE_PGM_RSRC3_GFX90A:TG_SPLIT: 0
	.section	.text._ZN7rocprim17ROCPRIM_304000_NS6detail35device_block_merge_mergepath_kernelINS1_37wrapped_merge_sort_block_merge_configINS0_14default_configEdN2at4cuda3cub6detail10OpaqueTypeILi8EEEEEPdSC_PSA_SD_jNS1_19radix_merge_compareILb1ELb0EdNS0_19identity_decomposerEEEEEvT0_T1_T2_T3_T4_SL_jT5_PKSL_NS1_7vsmem_tE,"axG",@progbits,_ZN7rocprim17ROCPRIM_304000_NS6detail35device_block_merge_mergepath_kernelINS1_37wrapped_merge_sort_block_merge_configINS0_14default_configEdN2at4cuda3cub6detail10OpaqueTypeILi8EEEEEPdSC_PSA_SD_jNS1_19radix_merge_compareILb1ELb0EdNS0_19identity_decomposerEEEEEvT0_T1_T2_T3_T4_SL_jT5_PKSL_NS1_7vsmem_tE,comdat
	.protected	_ZN7rocprim17ROCPRIM_304000_NS6detail35device_block_merge_mergepath_kernelINS1_37wrapped_merge_sort_block_merge_configINS0_14default_configEdN2at4cuda3cub6detail10OpaqueTypeILi8EEEEEPdSC_PSA_SD_jNS1_19radix_merge_compareILb1ELb0EdNS0_19identity_decomposerEEEEEvT0_T1_T2_T3_T4_SL_jT5_PKSL_NS1_7vsmem_tE ; -- Begin function _ZN7rocprim17ROCPRIM_304000_NS6detail35device_block_merge_mergepath_kernelINS1_37wrapped_merge_sort_block_merge_configINS0_14default_configEdN2at4cuda3cub6detail10OpaqueTypeILi8EEEEEPdSC_PSA_SD_jNS1_19radix_merge_compareILb1ELb0EdNS0_19identity_decomposerEEEEEvT0_T1_T2_T3_T4_SL_jT5_PKSL_NS1_7vsmem_tE
	.globl	_ZN7rocprim17ROCPRIM_304000_NS6detail35device_block_merge_mergepath_kernelINS1_37wrapped_merge_sort_block_merge_configINS0_14default_configEdN2at4cuda3cub6detail10OpaqueTypeILi8EEEEEPdSC_PSA_SD_jNS1_19radix_merge_compareILb1ELb0EdNS0_19identity_decomposerEEEEEvT0_T1_T2_T3_T4_SL_jT5_PKSL_NS1_7vsmem_tE
	.p2align	8
	.type	_ZN7rocprim17ROCPRIM_304000_NS6detail35device_block_merge_mergepath_kernelINS1_37wrapped_merge_sort_block_merge_configINS0_14default_configEdN2at4cuda3cub6detail10OpaqueTypeILi8EEEEEPdSC_PSA_SD_jNS1_19radix_merge_compareILb1ELb0EdNS0_19identity_decomposerEEEEEvT0_T1_T2_T3_T4_SL_jT5_PKSL_NS1_7vsmem_tE,@function
_ZN7rocprim17ROCPRIM_304000_NS6detail35device_block_merge_mergepath_kernelINS1_37wrapped_merge_sort_block_merge_configINS0_14default_configEdN2at4cuda3cub6detail10OpaqueTypeILi8EEEEEPdSC_PSA_SD_jNS1_19radix_merge_compareILb1ELb0EdNS0_19identity_decomposerEEEEEvT0_T1_T2_T3_T4_SL_jT5_PKSL_NS1_7vsmem_tE: ; @_ZN7rocprim17ROCPRIM_304000_NS6detail35device_block_merge_mergepath_kernelINS1_37wrapped_merge_sort_block_merge_configINS0_14default_configEdN2at4cuda3cub6detail10OpaqueTypeILi8EEEEEPdSC_PSA_SD_jNS1_19radix_merge_compareILb1ELb0EdNS0_19identity_decomposerEEEEEvT0_T1_T2_T3_T4_SL_jT5_PKSL_NS1_7vsmem_tE
; %bb.0:
	s_load_dwordx2 s[30:31], s[0:1], 0x40
	s_load_dwordx4 s[12:15], s[0:1], 0x20
	s_add_u32 s28, s0, 64
	s_addc_u32 s29, s1, 0
	s_waitcnt lgkmcnt(0)
	s_mul_i32 s4, s31, s4
	s_add_i32 s3, s4, s3
	s_mul_i32 s3, s3, s30
	s_add_i32 s26, s3, s2
	s_cmp_ge_u32 s26, s14
	s_cbranch_scc1 .LBB143_133
; %bb.1:
	s_load_dwordx8 s[4:11], s[0:1], 0x0
	s_load_dwordx2 s[14:15], s[0:1], 0x30
	s_lshr_b32 s31, s12, 10
	s_cmp_lg_u32 s26, s31
	s_mov_b32 s27, 0
	s_cselect_b64 s[16:17], -1, 0
	s_lshl_b64 s[0:1], s[26:27], 2
	s_waitcnt lgkmcnt(0)
	s_add_u32 s0, s14, s0
	s_addc_u32 s1, s15, s1
	s_load_dwordx2 s[18:19], s[0:1], 0x0
	s_lshr_b32 s0, s13, 9
	s_and_b32 s0, s0, 0x7ffffe
	s_sub_i32 s0, 0, s0
	s_and_b32 s1, s26, s0
	s_lshl_b32 s3, s1, 10
	s_lshl_b32 s14, s26, 10
	;; [unrolled: 1-line block ×3, first 2 shown]
	s_sub_i32 s15, s14, s3
	s_add_i32 s1, s1, s13
	s_add_i32 s15, s1, s15
	s_waitcnt lgkmcnt(0)
	s_sub_i32 s20, s15, s18
	s_sub_i32 s15, s15, s19
	s_sub_i32 s1, s1, s3
	s_min_u32 s20, s12, s20
	s_addk_i32 s15, 0x400
	s_or_b32 s0, s26, s0
	s_min_u32 s3, s12, s1
	s_add_i32 s1, s1, s13
	s_cmp_eq_u32 s0, -1
	s_cselect_b32 s0, s1, s15
	s_cselect_b32 s1, s3, s19
	s_min_u32 s0, s0, s12
	s_mov_b32 s19, s27
	s_sub_i32 s15, s1, s18
	s_sub_i32 s33, s0, s20
	s_lshl_b64 s[22:23], s[18:19], 3
	s_add_u32 s0, s4, s22
	s_mov_b32 s21, s27
	s_addc_u32 s1, s5, s23
	s_lshl_b64 s[24:25], s[20:21], 3
	s_add_u32 s4, s4, s24
	s_addc_u32 s5, s5, s25
	s_cmp_lt_u32 s2, s30
	v_mov_b32_e32 v19, 0
	s_cselect_b32 s2, 12, 18
	global_load_dword v1, v19, s[28:29] offset:14
	s_add_u32 s2, s28, s2
	s_addc_u32 s3, s29, 0
	global_load_ushort v2, v19, s[2:3]
	v_cmp_gt_u32_e32 vcc, s15, v0
	s_cmp_eq_u32 s26, s31
	v_lshlrev_b32_e32 v18, 3, v0
	s_waitcnt vmcnt(1)
	v_lshrrev_b32_e32 v3, 16, v1
	v_and_b32_e32 v1, 0xffff, v1
	v_mul_lo_u32 v1, v1, v3
	s_waitcnt vmcnt(0)
	v_mul_lo_u32 v1, v1, v2
	v_add_u32_e32 v20, v1, v0
	s_cbranch_scc1 .LBB143_3
; %bb.2:
	v_subrev_u32_e32 v4, s15, v0
	v_lshlrev_b32_e32 v4, 3, v4
	v_mov_b32_e32 v5, v19
	v_lshl_add_u64 v[2:3], s[0:1], 0, v[18:19]
	v_lshl_add_u64 v[4:5], s[4:5], 0, v[4:5]
	v_cndmask_b32_e32 v3, v5, v3, vcc
	v_cndmask_b32_e32 v2, v4, v2, vcc
	v_mov_b32_e32 v21, v19
	v_subrev_co_u32_e32 v6, vcc, s15, v20
	v_mov_b32_e32 v7, v19
	v_lshl_add_u64 v[4:5], v[20:21], 3, s[0:1]
	v_lshl_add_u64 v[6:7], v[6:7], 3, s[4:5]
	v_add_u32_e32 v8, v20, v1
	v_cndmask_b32_e32 v5, v7, v5, vcc
	v_cndmask_b32_e32 v4, v6, v4, vcc
	v_mov_b32_e32 v9, v19
	v_subrev_co_u32_e32 v10, vcc, s15, v8
	v_mov_b32_e32 v11, v19
	v_lshl_add_u64 v[6:7], v[8:9], 3, s[0:1]
	v_lshl_add_u64 v[10:11], v[10:11], 3, s[4:5]
	v_cndmask_b32_e32 v6, v10, v6, vcc
	v_add_u32_e32 v10, v8, v1
	v_cndmask_b32_e32 v7, v11, v7, vcc
	v_mov_b32_e32 v11, v19
	v_subrev_co_u32_e32 v12, vcc, s15, v10
	v_mov_b32_e32 v13, v19
	v_lshl_add_u64 v[8:9], v[10:11], 3, s[0:1]
	v_lshl_add_u64 v[12:13], v[12:13], 3, s[4:5]
	v_cndmask_b32_e32 v8, v12, v8, vcc
	v_add_u32_e32 v12, v10, v1
	;; [unrolled: 8-line block ×4, first 2 shown]
	v_cndmask_b32_e32 v13, v17, v13, vcc
	v_mov_b32_e32 v17, v19
	v_subrev_co_u32_e32 v22, vcc, s15, v16
	v_mov_b32_e32 v23, v19
	v_lshl_add_u64 v[14:15], v[16:17], 3, s[0:1]
	v_lshl_add_u64 v[22:23], v[22:23], 3, s[4:5]
	v_add_u32_e32 v16, v16, v1
	v_cndmask_b32_e32 v15, v23, v15, vcc
	v_cndmask_b32_e32 v14, v22, v14, vcc
	v_lshl_add_u64 v[22:23], v[16:17], 3, s[0:1]
	v_subrev_co_u32_e32 v16, vcc, s15, v16
	v_lshl_add_u64 v[16:17], v[16:17], 3, s[4:5]
	s_nop 0
	v_cndmask_b32_e32 v17, v17, v23, vcc
	v_cndmask_b32_e32 v16, v16, v22, vcc
	global_load_dwordx2 v[2:3], v[2:3], off
	s_add_i32 s13, s33, s15
	global_load_dwordx2 v[4:5], v[4:5], off
	s_nop 0
	global_load_dwordx2 v[6:7], v[6:7], off
	s_nop 0
	;; [unrolled: 2-line block ×6, first 2 shown]
	global_load_dwordx2 v[16:17], v[16:17], off
	s_cbranch_execz .LBB143_4
	s_branch .LBB143_21
.LBB143_3:
                                        ; implicit-def: $vgpr2_vgpr3_vgpr4_vgpr5_vgpr6_vgpr7_vgpr8_vgpr9_vgpr10_vgpr11_vgpr12_vgpr13_vgpr14_vgpr15_vgpr16_vgpr17
                                        ; implicit-def: $sgpr13
.LBB143_4:
	s_add_i32 s13, s33, s15
	s_waitcnt vmcnt(7)
	v_mov_b32_e32 v2, 0
	v_cmp_gt_u32_e32 vcc, s13, v0
	v_mov_b32_e32 v3, v2
	s_waitcnt vmcnt(6)
	v_mov_b32_e32 v4, v2
	v_mov_b32_e32 v5, v2
	s_waitcnt vmcnt(5)
	v_mov_b32_e32 v6, v2
	;; [unrolled: 3-line block ×7, first 2 shown]
	v_mov_b32_e32 v17, v2
	s_and_saveexec_b64 s[2:3], vcc
	s_cbranch_execz .LBB143_6
; %bb.5:
	v_subrev_u32_e32 v3, s15, v0
	v_mov_b32_e32 v19, v2
	v_lshlrev_b32_e32 v6, 3, v3
	v_mov_b32_e32 v7, v2
	v_lshl_add_u64 v[4:5], s[0:1], 0, v[18:19]
	v_lshl_add_u64 v[6:7], s[4:5], 0, v[6:7]
	v_cmp_gt_u32_e32 vcc, s15, v0
	v_mov_b32_e32 v24, v2
	v_mov_b32_e32 v25, v2
	v_cndmask_b32_e32 v5, v7, v5, vcc
	v_cndmask_b32_e32 v4, v6, v4, vcc
	global_load_dwordx2 v[22:23], v[4:5], off
	v_mov_b32_e32 v26, v2
	v_mov_b32_e32 v27, v2
	;; [unrolled: 1-line block ×12, first 2 shown]
	s_waitcnt vmcnt(0)
	v_mov_b64_e32 v[2:3], v[22:23]
	v_mov_b64_e32 v[4:5], v[24:25]
	;; [unrolled: 1-line block ×8, first 2 shown]
.LBB143_6:
	s_or_b64 exec, exec, s[2:3]
	v_cmp_gt_u32_e32 vcc, s13, v20
	s_and_saveexec_b64 s[2:3], vcc
	s_cbranch_execz .LBB143_8
; %bb.7:
	v_mov_b32_e32 v21, 0
	v_subrev_co_u32_e32 v22, vcc, s15, v20
	v_mov_b32_e32 v23, v21
	v_lshl_add_u64 v[4:5], v[20:21], 3, s[0:1]
	v_lshl_add_u64 v[22:23], v[22:23], 3, s[4:5]
	v_cndmask_b32_e32 v5, v23, v5, vcc
	v_cndmask_b32_e32 v4, v22, v4, vcc
	global_load_dwordx2 v[4:5], v[4:5], off
.LBB143_8:
	s_or_b64 exec, exec, s[2:3]
	v_add_u32_e32 v20, v20, v1
	v_cmp_gt_u32_e32 vcc, s13, v20
	s_and_saveexec_b64 s[2:3], vcc
	s_cbranch_execz .LBB143_10
; %bb.9:
	v_mov_b32_e32 v21, 0
	v_subrev_co_u32_e32 v22, vcc, s15, v20
	v_mov_b32_e32 v23, v21
	v_lshl_add_u64 v[6:7], v[20:21], 3, s[0:1]
	v_lshl_add_u64 v[22:23], v[22:23], 3, s[4:5]
	v_cndmask_b32_e32 v7, v23, v7, vcc
	v_cndmask_b32_e32 v6, v22, v6, vcc
	global_load_dwordx2 v[6:7], v[6:7], off
.LBB143_10:
	s_or_b64 exec, exec, s[2:3]
	v_add_u32_e32 v20, v20, v1
	;; [unrolled: 15-line block ×6, first 2 shown]
	v_cmp_gt_u32_e32 vcc, s13, v20
	s_and_saveexec_b64 s[2:3], vcc
	s_cbranch_execz .LBB143_20
; %bb.19:
	v_mov_b32_e32 v21, 0
	v_lshl_add_u64 v[16:17], v[20:21], 3, s[0:1]
	v_subrev_co_u32_e32 v20, vcc, s15, v20
	v_lshl_add_u64 v[20:21], v[20:21], 3, s[4:5]
	s_nop 0
	v_cndmask_b32_e32 v17, v21, v17, vcc
	v_cndmask_b32_e32 v16, v20, v16, vcc
	global_load_dwordx2 v[16:17], v[16:17], off
.LBB143_20:
	s_or_b64 exec, exec, s[2:3]
.LBB143_21:
	v_min_u32_e32 v1, s13, v18
	v_sub_u32_e64 v19, v1, s33 clamp
	v_min_u32_e32 v20, s15, v1
	v_cmp_lt_u32_e32 vcc, v19, v20
	s_waitcnt vmcnt(0)
	ds_write2st64_b64 v18, v[2:3], v[4:5] offset1:2
	ds_write2st64_b64 v18, v[6:7], v[8:9] offset0:4 offset1:6
	ds_write2st64_b64 v18, v[10:11], v[12:13] offset0:8 offset1:10
	;; [unrolled: 1-line block ×3, first 2 shown]
	s_waitcnt lgkmcnt(0)
	s_barrier
	s_and_saveexec_b64 s[2:3], vcc
	s_cbranch_execz .LBB143_25
; %bb.22:
	v_lshlrev_b32_e32 v21, 3, v1
	s_mov_b32 s26, 0
	v_lshl_add_u32 v21, s15, 3, v21
	s_mov_b64 s[4:5], 0
	s_brev_b32 s27, 1
	v_bfrev_b32_e32 v22, 1
.LBB143_23:                             ; =>This Inner Loop Header: Depth=1
	v_add_u32_e32 v23, v20, v19
	v_lshrrev_b32_e32 v23, 1, v23
	v_not_b32_e32 v26, v23
	v_lshlrev_b32_e32 v24, 3, v23
	ds_read_b64 v[24:25], v24
	v_lshl_add_u32 v26, v26, 3, v21
	ds_read_b64 v[26:27], v26
	v_add_u32_e32 v28, 1, v23
	s_waitcnt lgkmcnt(1)
	v_cmp_ne_u64_e32 vcc, s[26:27], v[24:25]
	s_waitcnt lgkmcnt(0)
	v_cmp_ne_u64_e64 s[0:1], s[26:27], v[26:27]
	v_cndmask_b32_e32 v25, 0, v25, vcc
	v_cndmask_b32_e32 v24, 0, v24, vcc
	v_cndmask_b32_e64 v27, 0, v27, s[0:1]
	v_cndmask_b32_e64 v26, 0, v26, s[0:1]
	v_cmp_lt_i64_e32 vcc, -1, v[24:25]
	v_ashrrev_i32_e32 v29, 31, v25
	v_ashrrev_i32_e32 v30, 31, v27
	v_cndmask_b32_e32 v31, -1, v22, vcc
	v_cmp_lt_i64_e32 vcc, -1, v[26:27]
	v_xor_b32_e32 v24, v29, v24
	v_xor_b32_e32 v26, v30, v26
	v_cndmask_b32_e32 v29, -1, v22, vcc
	v_xor_b32_e32 v25, v31, v25
	v_xor_b32_e32 v27, v29, v27
	v_cmp_gt_u64_e32 vcc, v[26:27], v[24:25]
	s_nop 1
	v_cndmask_b32_e32 v20, v20, v23, vcc
	v_cndmask_b32_e32 v19, v28, v19, vcc
	v_cmp_ge_u32_e32 vcc, v19, v20
	s_or_b64 s[4:5], vcc, s[4:5]
	s_andn2_b64 exec, exec, s[4:5]
	s_cbranch_execnz .LBB143_23
; %bb.24:
	s_or_b64 exec, exec, s[4:5]
.LBB143_25:
	s_or_b64 exec, exec, s[2:3]
	v_sub_u32_e32 v1, v1, v19
	v_add_u32_e32 v20, s15, v1
	v_cmp_ge_u32_e32 vcc, s15, v19
	v_cmp_ge_u32_e64 s[0:1], s13, v20
	s_or_b64 s[0:1], vcc, s[0:1]
	v_mov_b32_e32 v24, 0
	v_mov_b32_e32 v41, 0
	v_mov_b32_e32 v40, 0
	v_mov_b32_e32 v39, 0
	v_mov_b32_e32 v38, 0
	v_mov_b32_e32 v37, 0
	v_mov_b32_e32 v36, 0
	v_mov_b32_e32 v1, 0
	s_and_saveexec_b64 s[2:3], s[0:1]
	s_cbranch_execz .LBB143_61
; %bb.26:
	v_cmp_le_u32_e32 vcc, s15, v19
	v_cmp_gt_u32_e64 s[0:1], s15, v19
                                        ; implicit-def: $vgpr2_vgpr3
	s_and_saveexec_b64 s[4:5], s[0:1]
; %bb.27:
	v_lshlrev_b32_e32 v1, 3, v19
	ds_read_b64 v[2:3], v1
; %bb.28:
	s_or_b64 exec, exec, s[4:5]
	v_cmp_le_u32_e64 s[4:5], s13, v20
	v_cmp_gt_u32_e64 s[0:1], s13, v20
                                        ; implicit-def: $vgpr4_vgpr5
	s_and_saveexec_b64 s[26:27], s[0:1]
; %bb.29:
	v_lshlrev_b32_e32 v1, 3, v20
	ds_read_b64 v[4:5], v1
; %bb.30:
	s_or_b64 exec, exec, s[26:27]
	s_nor_b64 s[26:27], vcc, s[4:5]
	s_and_saveexec_b64 s[0:1], s[26:27]
	s_cbranch_execz .LBB143_32
; %bb.31:
	s_mov_b32 s26, 0
	s_brev_b32 s27, 1
	s_waitcnt lgkmcnt(0)
	v_cmp_ne_u64_e32 vcc, s[26:27], v[4:5]
	v_bfrev_b32_e32 v1, 1
	s_andn2_b64 s[4:5], s[4:5], exec
	v_cndmask_b32_e32 v7, 0, v5, vcc
	v_cndmask_b32_e32 v6, 0, v4, vcc
	v_cmp_ne_u64_e32 vcc, s[26:27], v[2:3]
	v_ashrrev_i32_e32 v11, 31, v7
	s_nop 0
	v_cndmask_b32_e32 v9, 0, v3, vcc
	v_cndmask_b32_e32 v8, 0, v2, vcc
	v_cmp_lt_i64_e32 vcc, -1, v[6:7]
	v_xor_b32_e32 v6, v11, v6
	s_nop 0
	v_cndmask_b32_e32 v10, -1, v1, vcc
	v_cmp_lt_i64_e32 vcc, -1, v[8:9]
	v_xor_b32_e32 v7, v10, v7
	v_ashrrev_i32_e32 v10, 31, v9
	v_cndmask_b32_e32 v1, -1, v1, vcc
	v_xor_b32_e32 v9, v1, v9
	v_xor_b32_e32 v8, v10, v8
	v_cmp_le_u64_e32 vcc, v[6:7], v[8:9]
	s_and_b64 s[26:27], vcc, exec
	s_or_b64 s[4:5], s[4:5], s[26:27]
.LBB143_32:
	s_or_b64 exec, exec, s[0:1]
	v_mov_b32_e32 v6, s13
	v_mov_b32_e32 v7, s15
	v_cndmask_b32_e64 v1, v20, v19, s[4:5]
	v_cndmask_b32_e64 v6, v6, v7, s[4:5]
	v_add_u32_e32 v10, 1, v1
	v_add_u32_e32 v6, -1, v6
	v_min_u32_e32 v6, v10, v6
	v_lshlrev_b32_e32 v6, 3, v6
	ds_read_b64 v[8:9], v6
	v_cndmask_b32_e64 v14, v10, v20, s[4:5]
	v_cndmask_b32_e64 v15, v19, v10, s[4:5]
	v_cmp_gt_u32_e32 vcc, s13, v14
	s_mov_b64 s[0:1], -1
	s_waitcnt lgkmcnt(0)
	v_cndmask_b32_e64 v7, v9, v5, s[4:5]
	v_cndmask_b32_e64 v6, v8, v4, s[4:5]
	v_cndmask_b32_e64 v9, v3, v9, s[4:5]
	v_cndmask_b32_e64 v8, v2, v8, s[4:5]
	s_mov_b64 s[26:27], -1
	s_and_saveexec_b64 s[28:29], vcc
	s_cbranch_execz .LBB143_36
; %bb.33:
	v_cmp_gt_u32_e32 vcc, s15, v15
	s_mov_b64 s[30:31], 0
	s_and_saveexec_b64 s[26:27], vcc
	s_cbranch_execz .LBB143_35
; %bb.34:
	s_mov_b32 s30, 0
	s_brev_b32 s31, 1
	v_cmp_ne_u64_e32 vcc, s[30:31], v[6:7]
	v_bfrev_b32_e32 v16, 1
	s_nop 0
	v_cndmask_b32_e32 v11, 0, v7, vcc
	v_cndmask_b32_e32 v10, 0, v6, vcc
	v_cmp_ne_u64_e32 vcc, s[30:31], v[8:9]
	v_ashrrev_i32_e32 v19, 31, v11
	s_nop 0
	v_cndmask_b32_e32 v13, 0, v9, vcc
	v_cndmask_b32_e32 v12, 0, v8, vcc
	v_cmp_lt_i64_e32 vcc, -1, v[10:11]
	v_xor_b32_e32 v10, v19, v10
	s_nop 0
	v_cndmask_b32_e32 v17, -1, v16, vcc
	v_cmp_lt_i64_e32 vcc, -1, v[12:13]
	v_xor_b32_e32 v11, v17, v11
	v_ashrrev_i32_e32 v17, 31, v13
	v_cndmask_b32_e32 v16, -1, v16, vcc
	v_xor_b32_e32 v13, v16, v13
	v_xor_b32_e32 v12, v17, v12
	v_cmp_le_u64_e32 vcc, v[10:11], v[12:13]
	s_and_b64 s[30:31], vcc, exec
.LBB143_35:
	s_or_b64 exec, exec, s[26:27]
	s_orn2_b64 s[26:27], s[30:31], exec
.LBB143_36:
	s_or_b64 exec, exec, s[28:29]
	v_mov_b32_e32 v10, s13
	v_mov_b32_e32 v11, s15
	v_cndmask_b32_e64 v36, v14, v15, s[26:27]
	v_cndmask_b32_e64 v10, v10, v11, s[26:27]
	v_add_u32_e32 v16, 1, v36
	v_add_u32_e32 v10, -1, v10
	v_min_u32_e32 v10, v16, v10
	v_lshlrev_b32_e32 v10, 3, v10
	ds_read_b64 v[12:13], v10
	v_cndmask_b32_e64 v19, v16, v14, s[26:27]
	v_cndmask_b32_e64 v20, v15, v16, s[26:27]
	v_cmp_gt_u32_e32 vcc, s13, v19
	s_waitcnt lgkmcnt(0)
	v_cndmask_b32_e64 v11, v13, v7, s[26:27]
	v_cndmask_b32_e64 v10, v12, v6, s[26:27]
	;; [unrolled: 1-line block ×4, first 2 shown]
	s_and_saveexec_b64 s[28:29], vcc
	s_cbranch_execz .LBB143_40
; %bb.37:
	v_cmp_gt_u32_e32 vcc, s15, v20
	s_mov_b64 s[30:31], 0
	s_and_saveexec_b64 s[0:1], vcc
	s_cbranch_execz .LBB143_39
; %bb.38:
	s_mov_b32 s30, 0
	s_brev_b32 s31, 1
	v_cmp_ne_u64_e32 vcc, s[30:31], v[10:11]
	v_bfrev_b32_e32 v21, 1
	s_nop 0
	v_cndmask_b32_e32 v15, 0, v11, vcc
	v_cndmask_b32_e32 v14, 0, v10, vcc
	v_cmp_ne_u64_e32 vcc, s[30:31], v[12:13]
	v_ashrrev_i32_e32 v23, 31, v15
	s_nop 0
	v_cndmask_b32_e32 v17, 0, v13, vcc
	v_cndmask_b32_e32 v16, 0, v12, vcc
	v_cmp_lt_i64_e32 vcc, -1, v[14:15]
	v_xor_b32_e32 v14, v23, v14
	s_nop 0
	v_cndmask_b32_e32 v22, -1, v21, vcc
	v_cmp_lt_i64_e32 vcc, -1, v[16:17]
	v_xor_b32_e32 v15, v22, v15
	v_ashrrev_i32_e32 v22, 31, v17
	v_cndmask_b32_e32 v21, -1, v21, vcc
	v_xor_b32_e32 v17, v21, v17
	v_xor_b32_e32 v16, v22, v16
	v_cmp_le_u64_e32 vcc, v[14:15], v[16:17]
	s_and_b64 s[30:31], vcc, exec
.LBB143_39:
	s_or_b64 exec, exec, s[0:1]
	s_orn2_b64 s[0:1], s[30:31], exec
.LBB143_40:
	s_or_b64 exec, exec, s[28:29]
	v_mov_b32_e32 v14, s13
	v_mov_b32_e32 v15, s15
	v_cndmask_b32_e64 v37, v19, v20, s[0:1]
	v_cndmask_b32_e64 v14, v14, v15, s[0:1]
	v_add_u32_e32 v21, 1, v37
	v_add_u32_e32 v14, -1, v14
	v_min_u32_e32 v14, v21, v14
	v_lshlrev_b32_e32 v14, 3, v14
	ds_read_b64 v[16:17], v14
	v_cndmask_b32_e64 v19, v21, v19, s[0:1]
	v_cndmask_b32_e64 v24, v20, v21, s[0:1]
	v_cmp_gt_u32_e32 vcc, s13, v19
	s_mov_b64 s[28:29], -1
	s_waitcnt lgkmcnt(0)
	v_cndmask_b32_e64 v15, v17, v11, s[0:1]
	v_cndmask_b32_e64 v14, v16, v10, s[0:1]
	;; [unrolled: 1-line block ×4, first 2 shown]
	s_mov_b64 s[30:31], -1
	s_and_saveexec_b64 s[34:35], vcc
	s_cbranch_execz .LBB143_44
; %bb.41:
	v_cmp_gt_u32_e32 vcc, s15, v24
	s_mov_b64 s[36:37], 0
	s_and_saveexec_b64 s[30:31], vcc
	s_cbranch_execz .LBB143_43
; %bb.42:
	s_mov_b32 s36, 0
	s_brev_b32 s37, 1
	v_cmp_ne_u64_e32 vcc, s[36:37], v[14:15]
	v_bfrev_b32_e32 v25, 1
	s_nop 0
	v_cndmask_b32_e32 v21, 0, v15, vcc
	v_cndmask_b32_e32 v20, 0, v14, vcc
	v_cmp_ne_u64_e32 vcc, s[36:37], v[16:17]
	v_ashrrev_i32_e32 v27, 31, v21
	s_nop 0
	v_cndmask_b32_e32 v23, 0, v17, vcc
	v_cndmask_b32_e32 v22, 0, v16, vcc
	v_cmp_lt_i64_e32 vcc, -1, v[20:21]
	v_xor_b32_e32 v20, v27, v20
	s_nop 0
	v_cndmask_b32_e32 v26, -1, v25, vcc
	v_cmp_lt_i64_e32 vcc, -1, v[22:23]
	v_xor_b32_e32 v21, v26, v21
	v_ashrrev_i32_e32 v26, 31, v23
	v_cndmask_b32_e32 v25, -1, v25, vcc
	v_xor_b32_e32 v23, v25, v23
	v_xor_b32_e32 v22, v26, v22
	v_cmp_le_u64_e32 vcc, v[20:21], v[22:23]
	s_and_b64 s[36:37], vcc, exec
.LBB143_43:
	s_or_b64 exec, exec, s[30:31]
	s_orn2_b64 s[30:31], s[36:37], exec
.LBB143_44:
	s_or_b64 exec, exec, s[34:35]
	v_mov_b32_e32 v20, s13
	v_mov_b32_e32 v21, s15
	v_cndmask_b32_e64 v38, v19, v24, s[30:31]
	v_cndmask_b32_e64 v20, v20, v21, s[30:31]
	v_add_u32_e32 v25, 1, v38
	v_add_u32_e32 v20, -1, v20
	v_min_u32_e32 v20, v25, v20
	v_lshlrev_b32_e32 v20, 3, v20
	ds_read_b64 v[22:23], v20
	v_cndmask_b32_e64 v19, v25, v19, s[30:31]
	v_cndmask_b32_e64 v28, v24, v25, s[30:31]
	v_cmp_gt_u32_e32 vcc, s13, v19
	s_waitcnt lgkmcnt(0)
	v_cndmask_b32_e64 v21, v23, v15, s[30:31]
	v_cndmask_b32_e64 v20, v22, v14, s[30:31]
	;; [unrolled: 1-line block ×4, first 2 shown]
	s_and_saveexec_b64 s[34:35], vcc
	s_cbranch_execz .LBB143_48
; %bb.45:
	v_cmp_gt_u32_e32 vcc, s15, v28
	s_mov_b64 s[36:37], 0
	s_and_saveexec_b64 s[28:29], vcc
	s_cbranch_execz .LBB143_47
; %bb.46:
	s_mov_b32 s36, 0
	s_brev_b32 s37, 1
	v_cmp_ne_u64_e32 vcc, s[36:37], v[20:21]
	v_bfrev_b32_e32 v29, 1
	s_nop 0
	v_cndmask_b32_e32 v25, 0, v21, vcc
	v_cndmask_b32_e32 v24, 0, v20, vcc
	v_cmp_ne_u64_e32 vcc, s[36:37], v[22:23]
	v_ashrrev_i32_e32 v31, 31, v25
	s_nop 0
	v_cndmask_b32_e32 v27, 0, v23, vcc
	v_cndmask_b32_e32 v26, 0, v22, vcc
	v_cmp_lt_i64_e32 vcc, -1, v[24:25]
	v_xor_b32_e32 v24, v31, v24
	s_nop 0
	v_cndmask_b32_e32 v30, -1, v29, vcc
	v_cmp_lt_i64_e32 vcc, -1, v[26:27]
	v_xor_b32_e32 v25, v30, v25
	v_ashrrev_i32_e32 v30, 31, v27
	v_cndmask_b32_e32 v29, -1, v29, vcc
	v_xor_b32_e32 v27, v29, v27
	v_xor_b32_e32 v26, v30, v26
	v_cmp_le_u64_e32 vcc, v[24:25], v[26:27]
	s_and_b64 s[36:37], vcc, exec
.LBB143_47:
	s_or_b64 exec, exec, s[28:29]
	s_orn2_b64 s[28:29], s[36:37], exec
.LBB143_48:
	s_or_b64 exec, exec, s[34:35]
	v_mov_b32_e32 v24, s13
	v_mov_b32_e32 v25, s15
	v_cndmask_b32_e64 v39, v19, v28, s[28:29]
	v_cndmask_b32_e64 v24, v24, v25, s[28:29]
	v_add_u32_e32 v29, 1, v39
	v_add_u32_e32 v24, -1, v24
	v_min_u32_e32 v24, v29, v24
	v_lshlrev_b32_e32 v24, 3, v24
	ds_read_b64 v[26:27], v24
	v_cndmask_b32_e64 v19, v29, v19, s[28:29]
	v_cndmask_b32_e64 v32, v28, v29, s[28:29]
	v_cmp_gt_u32_e32 vcc, s13, v19
	s_mov_b64 s[34:35], -1
	s_waitcnt lgkmcnt(0)
	v_cndmask_b32_e64 v25, v27, v21, s[28:29]
	v_cndmask_b32_e64 v24, v26, v20, s[28:29]
	;; [unrolled: 1-line block ×4, first 2 shown]
	s_mov_b64 s[36:37], -1
	s_and_saveexec_b64 s[38:39], vcc
	s_cbranch_execz .LBB143_52
; %bb.49:
	v_cmp_gt_u32_e32 vcc, s15, v32
	s_mov_b64 s[40:41], 0
	s_and_saveexec_b64 s[36:37], vcc
	s_cbranch_execz .LBB143_51
; %bb.50:
	s_mov_b32 s40, 0
	s_brev_b32 s41, 1
	v_cmp_ne_u64_e32 vcc, s[40:41], v[24:25]
	v_bfrev_b32_e32 v33, 1
	s_nop 0
	v_cndmask_b32_e32 v29, 0, v25, vcc
	v_cndmask_b32_e32 v28, 0, v24, vcc
	v_cmp_ne_u64_e32 vcc, s[40:41], v[26:27]
	v_ashrrev_i32_e32 v35, 31, v29
	s_nop 0
	v_cndmask_b32_e32 v31, 0, v27, vcc
	v_cndmask_b32_e32 v30, 0, v26, vcc
	v_cmp_lt_i64_e32 vcc, -1, v[28:29]
	v_xor_b32_e32 v28, v35, v28
	s_nop 0
	v_cndmask_b32_e32 v34, -1, v33, vcc
	v_cmp_lt_i64_e32 vcc, -1, v[30:31]
	v_xor_b32_e32 v29, v34, v29
	v_ashrrev_i32_e32 v34, 31, v31
	v_cndmask_b32_e32 v33, -1, v33, vcc
	v_xor_b32_e32 v31, v33, v31
	v_xor_b32_e32 v30, v34, v30
	v_cmp_le_u64_e32 vcc, v[28:29], v[30:31]
	s_and_b64 s[40:41], vcc, exec
.LBB143_51:
	s_or_b64 exec, exec, s[36:37]
	s_orn2_b64 s[36:37], s[40:41], exec
.LBB143_52:
	s_or_b64 exec, exec, s[38:39]
	v_mov_b32_e32 v28, s13
	v_mov_b32_e32 v29, s15
	v_cndmask_b32_e64 v40, v19, v32, s[36:37]
	v_cndmask_b32_e64 v28, v28, v29, s[36:37]
	v_add_u32_e32 v33, 1, v40
	v_add_u32_e32 v28, -1, v28
	v_min_u32_e32 v28, v33, v28
	v_lshlrev_b32_e32 v28, 3, v28
	ds_read_b64 v[30:31], v28
	v_cndmask_b32_e64 v19, v33, v19, s[36:37]
	v_cndmask_b32_e64 v42, v32, v33, s[36:37]
	v_cmp_gt_u32_e32 vcc, s13, v19
	s_waitcnt lgkmcnt(0)
	v_cndmask_b32_e64 v29, v31, v25, s[36:37]
	v_cndmask_b32_e64 v28, v30, v24, s[36:37]
	;; [unrolled: 1-line block ×4, first 2 shown]
	s_and_saveexec_b64 s[38:39], vcc
	s_cbranch_execz .LBB143_56
; %bb.53:
	v_cmp_gt_u32_e32 vcc, s15, v42
	s_mov_b64 s[40:41], 0
	s_and_saveexec_b64 s[34:35], vcc
	s_cbranch_execz .LBB143_55
; %bb.54:
	s_mov_b32 s40, 0
	s_brev_b32 s41, 1
	v_cmp_ne_u64_e32 vcc, s[40:41], v[28:29]
	v_bfrev_b32_e32 v41, 1
	s_nop 0
	v_cndmask_b32_e32 v33, 0, v29, vcc
	v_cndmask_b32_e32 v32, 0, v28, vcc
	v_cmp_ne_u64_e32 vcc, s[40:41], v[30:31]
	v_ashrrev_i32_e32 v44, 31, v33
	s_nop 0
	v_cndmask_b32_e32 v35, 0, v31, vcc
	v_cndmask_b32_e32 v34, 0, v30, vcc
	v_cmp_lt_i64_e32 vcc, -1, v[32:33]
	v_xor_b32_e32 v32, v44, v32
	s_nop 0
	v_cndmask_b32_e32 v43, -1, v41, vcc
	v_cmp_lt_i64_e32 vcc, -1, v[34:35]
	v_xor_b32_e32 v33, v43, v33
	v_ashrrev_i32_e32 v43, 31, v35
	v_cndmask_b32_e32 v41, -1, v41, vcc
	v_xor_b32_e32 v35, v41, v35
	v_xor_b32_e32 v34, v43, v34
	v_cmp_le_u64_e32 vcc, v[32:33], v[34:35]
	s_and_b64 s[40:41], vcc, exec
.LBB143_55:
	s_or_b64 exec, exec, s[34:35]
	s_orn2_b64 s[34:35], s[40:41], exec
.LBB143_56:
	s_or_b64 exec, exec, s[38:39]
	v_mov_b32_e32 v32, s13
	v_mov_b32_e32 v33, s15
	v_cndmask_b32_e64 v41, v19, v42, s[34:35]
	v_cndmask_b32_e64 v32, v32, v33, s[34:35]
	v_add_u32_e32 v43, 1, v41
	v_add_u32_e32 v32, -1, v32
	v_min_u32_e32 v32, v43, v32
	v_lshlrev_b32_e32 v32, 3, v32
	ds_read_b64 v[34:35], v32
	v_cndmask_b32_e64 v19, v43, v19, s[34:35]
	v_cndmask_b32_e64 v42, v42, v43, s[34:35]
	v_cmp_gt_u32_e32 vcc, s13, v19
	s_mov_b64 s[40:41], -1
	s_waitcnt lgkmcnt(0)
	v_cndmask_b32_e64 v33, v35, v29, s[34:35]
	v_cndmask_b32_e64 v32, v34, v28, s[34:35]
	;; [unrolled: 1-line block ×4, first 2 shown]
	s_and_saveexec_b64 s[38:39], vcc
	s_cbranch_execz .LBB143_60
; %bb.57:
	v_cmp_gt_u32_e32 vcc, s15, v42
	s_mov_b64 s[42:43], 0
	s_and_saveexec_b64 s[40:41], vcc
	s_cbranch_execz .LBB143_59
; %bb.58:
	s_mov_b32 s42, 0
	s_brev_b32 s43, 1
	v_cmp_ne_u64_e32 vcc, s[42:43], v[32:33]
	v_bfrev_b32_e32 v43, 1
	s_nop 0
	v_cndmask_b32_e32 v45, 0, v33, vcc
	v_cndmask_b32_e32 v44, 0, v32, vcc
	v_cmp_ne_u64_e32 vcc, s[42:43], v[34:35]
	v_ashrrev_i32_e32 v49, 31, v45
	s_nop 0
	v_cndmask_b32_e32 v47, 0, v35, vcc
	v_cndmask_b32_e32 v46, 0, v34, vcc
	v_cmp_lt_i64_e32 vcc, -1, v[44:45]
	v_xor_b32_e32 v44, v49, v44
	s_nop 0
	v_cndmask_b32_e32 v48, -1, v43, vcc
	v_cmp_lt_i64_e32 vcc, -1, v[46:47]
	v_xor_b32_e32 v45, v48, v45
	v_ashrrev_i32_e32 v48, 31, v47
	v_cndmask_b32_e32 v43, -1, v43, vcc
	v_xor_b32_e32 v47, v43, v47
	v_xor_b32_e32 v46, v48, v46
	v_cmp_le_u64_e32 vcc, v[44:45], v[46:47]
	s_and_b64 s[42:43], vcc, exec
.LBB143_59:
	s_or_b64 exec, exec, s[40:41]
	s_orn2_b64 s[40:41], s[42:43], exec
.LBB143_60:
	s_or_b64 exec, exec, s[38:39]
	v_cndmask_b32_e64 v3, v5, v3, s[4:5]
	v_cndmask_b32_e64 v2, v4, v2, s[4:5]
	;; [unrolled: 1-line block ×17, first 2 shown]
.LBB143_61:
	s_or_b64 exec, exec, s[2:3]
	s_add_u32 s26, s8, s22
	s_addc_u32 s27, s9, s23
	s_add_u32 s22, s8, s24
	v_cndmask_b32_e64 v19, 0, 1, s[16:17]
	v_mov_b32_e32 v21, 0
	s_addc_u32 s23, s9, s25
	v_cmp_gt_u32_e64 s[4:5], s15, v0
	v_cmp_ne_u32_e64 s[0:1], 1, v19
	s_andn2_b64 vcc, exec, s[16:17]
	v_cmp_le_u32_e64 s[2:3], s15, v0
	s_barrier
	s_cbranch_vccnz .LBB143_63
; %bb.62:
	v_subrev_u32_e32 v19, s15, v0
	v_lshlrev_b32_e32 v20, 3, v19
	v_mov_b32_e32 v19, v21
	v_lshl_add_u64 v[26:27], s[26:27], 0, v[18:19]
	v_or_b32_e32 v19, 0x80, v0
	v_lshl_add_u64 v[22:23], s[22:23], 0, v[20:21]
	v_subrev_u32_e32 v20, s15, v19
	v_cndmask_b32_e64 v23, v23, v27, s[4:5]
	v_cndmask_b32_e64 v22, v22, v26, s[4:5]
	v_min_u32_e32 v20, v19, v20
	v_mov_b32_e32 v25, s23
	v_mov_b32_e32 v46, s27
	v_cmp_gt_u32_e32 vcc, s15, v19
	v_mov_b32_e32 v47, s22
	v_mov_b32_e32 v48, s26
	global_load_dwordx2 v[26:27], v[22:23], off
	v_cndmask_b32_e32 v23, v25, v46, vcc
	v_cndmask_b32_e32 v22, v47, v48, vcc
	v_lshlrev_b32_e32 v20, 3, v20
	v_or_b32_e32 v19, 0x100, v0
	v_lshl_add_u64 v[22:23], v[22:23], 0, v[20:21]
	v_subrev_u32_e32 v20, s15, v19
	v_min_u32_e32 v20, v19, v20
	v_cmp_gt_u32_e32 vcc, s15, v19
	global_load_dwordx2 v[28:29], v[22:23], off
	v_lshlrev_b32_e32 v20, 3, v20
	v_cndmask_b32_e32 v23, v25, v46, vcc
	v_cndmask_b32_e32 v22, v47, v48, vcc
	v_or_b32_e32 v19, 0x180, v0
	v_lshl_add_u64 v[22:23], v[22:23], 0, v[20:21]
	v_subrev_u32_e32 v20, s15, v19
	v_min_u32_e32 v20, v19, v20
	v_cmp_gt_u32_e32 vcc, s15, v19
	global_load_dwordx2 v[30:31], v[22:23], off
	v_lshlrev_b32_e32 v20, 3, v20
	v_cndmask_b32_e32 v23, v25, v46, vcc
	v_cndmask_b32_e32 v22, v47, v48, vcc
	;; [unrolled: 9-line block ×5, first 2 shown]
	v_lshl_add_u64 v[20:21], v[22:23], 0, v[20:21]
	global_load_dwordx2 v[44:45], v[20:21], off
	v_or_b32_e32 v19, 0x380, v0
	v_subrev_u32_e32 v20, s15, v19
	v_cmp_gt_u32_e32 vcc, s15, v19
	v_min_u32_e32 v22, v19, v20
	s_nop 0
	v_cndmask_b32_e32 v21, v25, v46, vcc
	v_cndmask_b32_e32 v20, v47, v48, vcc
	s_mov_b64 s[4:5], -1
	s_waitcnt vmcnt(5)
	ds_write2st64_b64 v18, v[26:27], v[28:29] offset1:2
	s_waitcnt vmcnt(3)
	ds_write2st64_b64 v18, v[30:31], v[32:33] offset0:4 offset1:6
	s_waitcnt vmcnt(1)
	ds_write2st64_b64 v18, v[34:35], v[42:43] offset0:8 offset1:10
	s_waitcnt vmcnt(0)
	ds_write_b64 v18, v[44:45] offset:6144
	s_cbranch_execz .LBB143_64
	s_branch .LBB143_95
.LBB143_63:
	s_mov_b64 s[4:5], 0
                                        ; implicit-def: $vgpr19
                                        ; implicit-def: $vgpr20_vgpr21
                                        ; implicit-def: $vgpr22
.LBB143_64:
	s_mov_b64 s[4:5], 0
                                        ; implicit-def: $vgpr20_vgpr21
	s_and_saveexec_b64 s[24:25], s[2:3]
	s_xor_b64 s[2:3], exec, s[24:25]
	s_cbranch_execnz .LBB143_134
; %bb.65:
	s_andn2_saveexec_b64 s[2:3], s[2:3]
	s_cbranch_execnz .LBB143_137
.LBB143_66:
	s_or_b64 exec, exec, s[2:3]
	s_and_saveexec_b64 s[2:3], s[4:5]
	s_cbranch_execz .LBB143_68
.LBB143_67:
	global_load_dwordx2 v[20:21], v[20:21], off
	s_waitcnt vmcnt(0)
	ds_write_b64 v18, v[20:21]
.LBB143_68:
	s_or_b64 exec, exec, s[2:3]
	v_or_b32_e32 v19, 0x80, v0
	v_cmp_le_u32_e32 vcc, s15, v19
	s_mov_b64 s[2:3], -1
	v_mov_b64_e32 v[20:21], s[18:19]
	s_and_saveexec_b64 s[4:5], vcc
; %bb.69:
	v_subrev_u32_e32 v19, s15, v19
	v_cmp_gt_u32_e32 vcc, s33, v19
	v_mov_b64_e32 v[20:21], s[20:21]
	s_orn2_b64 s[2:3], vcc, exec
; %bb.70:
	s_or_b64 exec, exec, s[4:5]
	s_and_saveexec_b64 s[4:5], s[2:3]
	s_cbranch_execz .LBB143_72
; %bb.71:
	v_lshl_add_u64 v[20:21], v[20:21], 3, s[8:9]
	v_lshlrev_b32_e32 v22, 3, v19
	v_mov_b32_e32 v23, 0
	v_lshl_add_u64 v[20:21], v[20:21], 0, v[22:23]
	global_load_dwordx2 v[20:21], v[20:21], off
	s_waitcnt vmcnt(0)
	ds_write_b64 v18, v[20:21] offset:1024
.LBB143_72:
	s_or_b64 exec, exec, s[4:5]
	v_or_b32_e32 v19, 0x100, v0
	v_cmp_le_u32_e32 vcc, s15, v19
	s_mov_b64 s[2:3], -1
	v_mov_b64_e32 v[20:21], s[18:19]
	s_and_saveexec_b64 s[4:5], vcc
; %bb.73:
	v_subrev_u32_e32 v19, s15, v19
	v_cmp_gt_u32_e32 vcc, s33, v19
	v_mov_b64_e32 v[20:21], s[20:21]
	s_orn2_b64 s[2:3], vcc, exec
; %bb.74:
	s_or_b64 exec, exec, s[4:5]
	s_and_saveexec_b64 s[4:5], s[2:3]
	s_cbranch_execz .LBB143_76
; %bb.75:
	v_lshl_add_u64 v[20:21], v[20:21], 3, s[8:9]
	v_lshlrev_b32_e32 v22, 3, v19
	v_mov_b32_e32 v23, 0
	v_lshl_add_u64 v[20:21], v[20:21], 0, v[22:23]
	global_load_dwordx2 v[20:21], v[20:21], off
	s_waitcnt vmcnt(0)
	ds_write_b64 v18, v[20:21] offset:2048
.LBB143_76:
	;; [unrolled: 24-line block ×6, first 2 shown]
	s_or_b64 exec, exec, s[4:5]
	v_or_b32_e32 v19, 0x380, v0
	v_cmp_le_u32_e32 vcc, s15, v19
	s_mov_b64 s[4:5], -1
	v_mov_b64_e32 v[20:21], s[26:27]
	v_mov_b32_e32 v22, v19
	s_and_saveexec_b64 s[2:3], vcc
; %bb.93:
	v_subrev_u32_e32 v22, s15, v19
	v_cmp_gt_u32_e32 vcc, s33, v22
	v_mov_b64_e32 v[20:21], s[22:23]
	s_orn2_b64 s[4:5], vcc, exec
; %bb.94:
	s_or_b64 exec, exec, s[2:3]
.LBB143_95:
	s_and_saveexec_b64 s[2:3], s[4:5]
	s_cbranch_execz .LBB143_97
; %bb.96:
	v_mov_b32_e32 v23, 0
	v_lshl_add_u64 v[20:21], v[22:23], 3, v[20:21]
	global_load_dwordx2 v[20:21], v[20:21], off
	v_lshlrev_b32_e32 v19, 3, v19
	s_waitcnt vmcnt(0)
	ds_write_b64 v19, v[20:21]
.LBB143_97:
	s_or_b64 exec, exec, s[2:3]
	s_and_b64 vcc, exec, s[0:1]
	v_add_u32_e32 v20, s14, v18
	s_waitcnt lgkmcnt(0)
	s_barrier
	s_cbranch_vccnz .LBB143_99
; %bb.98:
	v_lshlrev_b32_e32 v19, 3, v1
	v_lshlrev_b32_e32 v22, 3, v36
	;; [unrolled: 1-line block ×4, first 2 shown]
	ds_read_b64 v[28:29], v19
	ds_read_b64 v[30:31], v22
	;; [unrolled: 1-line block ×4, first 2 shown]
	v_lshlrev_b32_e32 v19, 3, v39
	v_lshlrev_b32_e32 v22, 3, v40
	;; [unrolled: 1-line block ×3, first 2 shown]
	ds_read_b64 v[42:43], v19
	ds_read_b64 v[44:45], v22
	;; [unrolled: 1-line block ×3, first 2 shown]
	v_mov_b32_e32 v21, 0
	v_lshl_add_u64 v[26:27], v[20:21], 3, s[10:11]
	s_mov_b64 s[0:1], -1
	s_waitcnt lgkmcnt(5)
	global_store_dwordx4 v[26:27], v[28:31], off
	s_waitcnt lgkmcnt(3)
	global_store_dwordx4 v[26:27], v[32:35], off offset:16
	s_waitcnt lgkmcnt(1)
	global_store_dwordx4 v[26:27], v[42:45], off offset:32
	s_waitcnt lgkmcnt(0)
	global_store_dwordx2 v[26:27], v[22:23], off offset:48
	s_cbranch_execz .LBB143_100
	s_branch .LBB143_117
.LBB143_99:
	s_mov_b64 s[0:1], 0
.LBB143_100:
	v_cmp_gt_u32_e32 vcc, s13, v18
	s_and_saveexec_b64 s[2:3], vcc
	s_cbranch_execz .LBB143_102
; %bb.101:
	v_lshlrev_b32_e32 v1, 3, v1
	ds_read_b64 v[22:23], v1
	v_mov_b32_e32 v21, 0
	v_lshl_add_u64 v[26:27], v[20:21], 3, s[10:11]
	s_waitcnt lgkmcnt(0)
	global_store_dwordx2 v[26:27], v[22:23], off
.LBB143_102:
	s_or_b64 exec, exec, s[2:3]
	v_or_b32_e32 v1, 1, v18
	v_cmp_gt_u32_e32 vcc, s13, v1
	s_and_saveexec_b64 s[2:3], vcc
	s_cbranch_execz .LBB143_104
; %bb.103:
	v_lshlrev_b32_e32 v1, 3, v36
	ds_read_b64 v[22:23], v1
	v_mov_b32_e32 v21, 0
	v_lshl_add_u64 v[26:27], v[20:21], 3, s[10:11]
	s_waitcnt lgkmcnt(0)
	global_store_dwordx2 v[26:27], v[22:23], off offset:8
.LBB143_104:
	s_or_b64 exec, exec, s[2:3]
	v_or_b32_e32 v1, 2, v18
	v_cmp_gt_u32_e32 vcc, s13, v1
	s_and_saveexec_b64 s[2:3], vcc
	s_cbranch_execz .LBB143_106
; %bb.105:
	v_lshlrev_b32_e32 v1, 3, v37
	ds_read_b64 v[22:23], v1
	v_mov_b32_e32 v21, 0
	v_lshl_add_u64 v[26:27], v[20:21], 3, s[10:11]
	s_waitcnt lgkmcnt(0)
	global_store_dwordx2 v[26:27], v[22:23], off offset:16
.LBB143_106:
	;; [unrolled: 13-line block ×6, first 2 shown]
	s_or_b64 exec, exec, s[2:3]
	v_or_b32_e32 v1, 7, v18
	v_cmp_gt_u32_e32 vcc, s13, v1
	s_and_saveexec_b64 s[2:3], vcc
; %bb.115:
	v_mov_b32_e32 v21, 0
	s_or_b64 s[0:1], s[0:1], exec
; %bb.116:
	s_or_b64 exec, exec, s[2:3]
.LBB143_117:
	s_and_saveexec_b64 s[2:3], s[0:1]
	s_cbranch_execz .LBB143_119
; %bb.118:
	v_lshlrev_b32_e32 v1, 3, v24
	ds_read_b64 v[22:23], v1
	v_lshl_add_u64 v[20:21], v[20:21], 3, s[10:11]
	s_waitcnt lgkmcnt(0)
	global_store_dwordx2 v[20:21], v[22:23], off offset:56
.LBB143_119:
	s_or_b64 exec, exec, s[2:3]
	v_lshrrev_b32_e32 v1, 2, v0
	v_lshlrev_b32_e32 v19, 3, v18
	v_lshl_add_u32 v19, v1, 3, v19
	v_and_b32_e32 v1, 24, v1
	v_or_b32_e32 v23, 0x80, v0
	v_add_u32_e32 v24, v1, v18
	v_lshrrev_b32_e32 v1, 2, v23
	v_and_b32_e32 v1, 56, v1
	v_or_b32_e32 v22, 0x100, v0
	s_barrier
	s_barrier
	ds_write2_b64 v19, v[2:3], v[4:5] offset1:1
	ds_write2_b64 v19, v[6:7], v[8:9] offset0:2 offset1:3
	ds_write2_b64 v19, v[10:11], v[12:13] offset0:4 offset1:5
	;; [unrolled: 1-line block ×3, first 2 shown]
	v_add_u32_e32 v4, v1, v18
	v_lshrrev_b32_e32 v1, 2, v22
	v_and_b32_e32 v1, 0x58, v1
	v_or_b32_e32 v21, 0x180, v0
	v_add_u32_e32 v5, v1, v18
	v_lshrrev_b32_e32 v1, 2, v21
	v_and_b32_e32 v1, 0x78, v1
	v_or_b32_e32 v20, 0x200, v0
	;; [unrolled: 4-line block ×4, first 2 shown]
	v_add_u32_e32 v25, v1, v18
	v_lshrrev_b32_e32 v1, 2, v16
	s_mov_b32 s15, 0
	v_and_b32_e32 v1, 0xd8, v1
	s_lshl_b64 s[0:1], s[14:15], 3
	v_add_u32_e32 v26, v1, v18
	v_or_b32_e32 v1, 0x380, v0
	s_add_u32 s0, s6, s0
	v_lshrrev_b32_e32 v2, 2, v1
	s_addc_u32 s1, s7, s1
	v_and_b32_e32 v2, 0xf8, v2
	v_mov_b32_e32 v19, 0
	v_add_u32_e32 v27, v2, v18
	v_lshl_add_u64 v[2:3], s[0:1], 0, v[18:19]
	s_and_b64 vcc, exec, s[16:17]
	s_waitcnt lgkmcnt(0)
	s_cbranch_vccz .LBB143_121
; %bb.120:
	s_barrier
	ds_read_b64 v[8:9], v24
	ds_read_b64 v[10:11], v4 offset:1024
	ds_read_b64 v[12:13], v5 offset:2048
	;; [unrolled: 1-line block ×7, first 2 shown]
	s_waitcnt lgkmcnt(7)
	global_store_dwordx2 v[2:3], v[8:9], off
	s_waitcnt lgkmcnt(6)
	global_store_dwordx2 v[2:3], v[10:11], off offset:1024
	s_waitcnt lgkmcnt(5)
	global_store_dwordx2 v[2:3], v[12:13], off offset:2048
	;; [unrolled: 2-line block ×3, first 2 shown]
	v_add_co_u32_e32 v8, vcc, 0x1000, v2
	s_nop 1
	v_addc_co_u32_e32 v9, vcc, 0, v3, vcc
	s_waitcnt lgkmcnt(3)
	global_store_dwordx2 v[8:9], v[28:29], off
	s_waitcnt lgkmcnt(2)
	global_store_dwordx2 v[8:9], v[30:31], off offset:1024
	s_waitcnt lgkmcnt(1)
	global_store_dwordx2 v[8:9], v[32:33], off offset:2048
	s_mov_b64 s[0:1], -1
	s_cbranch_execz .LBB143_122
	s_branch .LBB143_131
.LBB143_121:
	s_mov_b64 s[0:1], 0
                                        ; implicit-def: $vgpr18_vgpr19
.LBB143_122:
	s_barrier
	s_waitcnt lgkmcnt(0)
	ds_read_b64 v[14:15], v4 offset:1024
	ds_read_b64 v[12:13], v5 offset:2048
	;; [unrolled: 1-line block ×7, first 2 shown]
	s_sub_i32 s2, s12, s14
	v_cmp_gt_u32_e32 vcc, s2, v0
	s_and_saveexec_b64 s[0:1], vcc
	s_cbranch_execnz .LBB143_138
; %bb.123:
	s_or_b64 exec, exec, s[0:1]
	v_cmp_gt_u32_e32 vcc, s2, v23
	s_and_saveexec_b64 s[0:1], vcc
	s_cbranch_execnz .LBB143_139
.LBB143_124:
	s_or_b64 exec, exec, s[0:1]
	v_cmp_gt_u32_e32 vcc, s2, v22
	s_and_saveexec_b64 s[0:1], vcc
	s_cbranch_execnz .LBB143_140
.LBB143_125:
	s_or_b64 exec, exec, s[0:1]
	v_cmp_gt_u32_e32 vcc, s2, v21
	s_and_saveexec_b64 s[0:1], vcc
	s_cbranch_execnz .LBB143_141
.LBB143_126:
	s_or_b64 exec, exec, s[0:1]
	v_cmp_gt_u32_e32 vcc, s2, v20
	s_and_saveexec_b64 s[0:1], vcc
	s_cbranch_execnz .LBB143_142
.LBB143_127:
	s_or_b64 exec, exec, s[0:1]
	v_cmp_gt_u32_e32 vcc, s2, v17
	s_and_saveexec_b64 s[0:1], vcc
	s_cbranch_execnz .LBB143_143
.LBB143_128:
	s_or_b64 exec, exec, s[0:1]
	v_cmp_gt_u32_e32 vcc, s2, v16
	s_and_saveexec_b64 s[0:1], vcc
	s_cbranch_execz .LBB143_130
.LBB143_129:
	s_waitcnt lgkmcnt(2)
	v_add_co_u32_e32 v6, vcc, 0x1000, v2
	s_nop 1
	v_addc_co_u32_e32 v7, vcc, 0, v3, vcc
	s_waitcnt lgkmcnt(1)
	global_store_dwordx2 v[6:7], v[4:5], off offset:2048
.LBB143_130:
	s_or_b64 exec, exec, s[0:1]
	v_cmp_gt_u32_e64 s[0:1], s2, v1
.LBB143_131:
	s_and_saveexec_b64 s[2:3], s[0:1]
	s_cbranch_execz .LBB143_133
; %bb.132:
	v_add_co_u32_e32 v0, vcc, 0x1000, v2
	s_nop 1
	v_addc_co_u32_e32 v1, vcc, 0, v3, vcc
	s_waitcnt lgkmcnt(0)
	global_store_dwordx2 v[0:1], v[18:19], off offset:3072
.LBB143_133:
	s_endpgm
.LBB143_134:
	v_subrev_u32_e32 v19, s15, v0
	v_cmp_gt_u32_e32 vcc, s33, v19
                                        ; implicit-def: $vgpr20_vgpr21
	s_and_saveexec_b64 s[24:25], vcc
	s_xor_b64 s[24:25], exec, s[24:25]
; %bb.135:
	v_lshlrev_b32_e32 v20, 3, v19
	v_mov_b32_e32 v21, 0
	s_mov_b64 s[4:5], exec
	v_lshl_add_u64 v[20:21], s[22:23], 0, v[20:21]
; %bb.136:
	s_or_b64 exec, exec, s[24:25]
	s_and_b64 s[4:5], s[4:5], exec
	s_andn2_saveexec_b64 s[2:3], s[2:3]
	s_cbranch_execz .LBB143_66
.LBB143_137:
	v_mov_b32_e32 v19, 0
	v_lshl_add_u64 v[20:21], s[26:27], 0, v[18:19]
	s_or_b64 s[4:5], s[4:5], exec
	s_or_b64 exec, exec, s[2:3]
	s_and_saveexec_b64 s[2:3], s[4:5]
	s_cbranch_execnz .LBB143_67
	s_branch .LBB143_68
.LBB143_138:
	ds_read_b64 v[24:25], v24
	s_waitcnt lgkmcnt(0)
	global_store_dwordx2 v[2:3], v[24:25], off
	s_or_b64 exec, exec, s[0:1]
	v_cmp_gt_u32_e32 vcc, s2, v23
	s_and_saveexec_b64 s[0:1], vcc
	s_cbranch_execz .LBB143_124
.LBB143_139:
	s_waitcnt lgkmcnt(6)
	global_store_dwordx2 v[2:3], v[14:15], off offset:1024
	s_or_b64 exec, exec, s[0:1]
	v_cmp_gt_u32_e32 vcc, s2, v22
	s_and_saveexec_b64 s[0:1], vcc
	s_cbranch_execz .LBB143_125
.LBB143_140:
	s_waitcnt lgkmcnt(5)
	global_store_dwordx2 v[2:3], v[12:13], off offset:2048
	s_or_b64 exec, exec, s[0:1]
	v_cmp_gt_u32_e32 vcc, s2, v21
	s_and_saveexec_b64 s[0:1], vcc
	s_cbranch_execz .LBB143_126
.LBB143_141:
	s_waitcnt lgkmcnt(4)
	global_store_dwordx2 v[2:3], v[10:11], off offset:3072
	s_or_b64 exec, exec, s[0:1]
	v_cmp_gt_u32_e32 vcc, s2, v20
	s_and_saveexec_b64 s[0:1], vcc
	s_cbranch_execz .LBB143_127
.LBB143_142:
	s_waitcnt lgkmcnt(4)
	v_add_co_u32_e32 v10, vcc, 0x1000, v2
	s_nop 1
	v_addc_co_u32_e32 v11, vcc, 0, v3, vcc
	s_waitcnt lgkmcnt(3)
	global_store_dwordx2 v[10:11], v[8:9], off
	s_or_b64 exec, exec, s[0:1]
	v_cmp_gt_u32_e32 vcc, s2, v17
	s_and_saveexec_b64 s[0:1], vcc
	s_cbranch_execz .LBB143_128
.LBB143_143:
	s_waitcnt lgkmcnt(3)
	v_add_co_u32_e32 v8, vcc, 0x1000, v2
	s_nop 1
	v_addc_co_u32_e32 v9, vcc, 0, v3, vcc
	s_waitcnt lgkmcnt(2)
	global_store_dwordx2 v[8:9], v[6:7], off offset:1024
	s_or_b64 exec, exec, s[0:1]
	v_cmp_gt_u32_e32 vcc, s2, v16
	s_and_saveexec_b64 s[0:1], vcc
	s_cbranch_execnz .LBB143_129
	s_branch .LBB143_130
	.section	.rodata,"a",@progbits
	.p2align	6, 0x0
	.amdhsa_kernel _ZN7rocprim17ROCPRIM_304000_NS6detail35device_block_merge_mergepath_kernelINS1_37wrapped_merge_sort_block_merge_configINS0_14default_configEdN2at4cuda3cub6detail10OpaqueTypeILi8EEEEEPdSC_PSA_SD_jNS1_19radix_merge_compareILb1ELb0EdNS0_19identity_decomposerEEEEEvT0_T1_T2_T3_T4_SL_jT5_PKSL_NS1_7vsmem_tE
		.amdhsa_group_segment_fixed_size 8448
		.amdhsa_private_segment_fixed_size 0
		.amdhsa_kernarg_size 320
		.amdhsa_user_sgpr_count 2
		.amdhsa_user_sgpr_dispatch_ptr 0
		.amdhsa_user_sgpr_queue_ptr 0
		.amdhsa_user_sgpr_kernarg_segment_ptr 1
		.amdhsa_user_sgpr_dispatch_id 0
		.amdhsa_user_sgpr_kernarg_preload_length 0
		.amdhsa_user_sgpr_kernarg_preload_offset 0
		.amdhsa_user_sgpr_private_segment_size 0
		.amdhsa_uses_dynamic_stack 0
		.amdhsa_enable_private_segment 0
		.amdhsa_system_sgpr_workgroup_id_x 1
		.amdhsa_system_sgpr_workgroup_id_y 1
		.amdhsa_system_sgpr_workgroup_id_z 1
		.amdhsa_system_sgpr_workgroup_info 0
		.amdhsa_system_vgpr_workitem_id 0
		.amdhsa_next_free_vgpr 50
		.amdhsa_next_free_sgpr 44
		.amdhsa_accum_offset 52
		.amdhsa_reserve_vcc 1
		.amdhsa_float_round_mode_32 0
		.amdhsa_float_round_mode_16_64 0
		.amdhsa_float_denorm_mode_32 3
		.amdhsa_float_denorm_mode_16_64 3
		.amdhsa_dx10_clamp 1
		.amdhsa_ieee_mode 1
		.amdhsa_fp16_overflow 0
		.amdhsa_tg_split 0
		.amdhsa_exception_fp_ieee_invalid_op 0
		.amdhsa_exception_fp_denorm_src 0
		.amdhsa_exception_fp_ieee_div_zero 0
		.amdhsa_exception_fp_ieee_overflow 0
		.amdhsa_exception_fp_ieee_underflow 0
		.amdhsa_exception_fp_ieee_inexact 0
		.amdhsa_exception_int_div_zero 0
	.end_amdhsa_kernel
	.section	.text._ZN7rocprim17ROCPRIM_304000_NS6detail35device_block_merge_mergepath_kernelINS1_37wrapped_merge_sort_block_merge_configINS0_14default_configEdN2at4cuda3cub6detail10OpaqueTypeILi8EEEEEPdSC_PSA_SD_jNS1_19radix_merge_compareILb1ELb0EdNS0_19identity_decomposerEEEEEvT0_T1_T2_T3_T4_SL_jT5_PKSL_NS1_7vsmem_tE,"axG",@progbits,_ZN7rocprim17ROCPRIM_304000_NS6detail35device_block_merge_mergepath_kernelINS1_37wrapped_merge_sort_block_merge_configINS0_14default_configEdN2at4cuda3cub6detail10OpaqueTypeILi8EEEEEPdSC_PSA_SD_jNS1_19radix_merge_compareILb1ELb0EdNS0_19identity_decomposerEEEEEvT0_T1_T2_T3_T4_SL_jT5_PKSL_NS1_7vsmem_tE,comdat
.Lfunc_end143:
	.size	_ZN7rocprim17ROCPRIM_304000_NS6detail35device_block_merge_mergepath_kernelINS1_37wrapped_merge_sort_block_merge_configINS0_14default_configEdN2at4cuda3cub6detail10OpaqueTypeILi8EEEEEPdSC_PSA_SD_jNS1_19radix_merge_compareILb1ELb0EdNS0_19identity_decomposerEEEEEvT0_T1_T2_T3_T4_SL_jT5_PKSL_NS1_7vsmem_tE, .Lfunc_end143-_ZN7rocprim17ROCPRIM_304000_NS6detail35device_block_merge_mergepath_kernelINS1_37wrapped_merge_sort_block_merge_configINS0_14default_configEdN2at4cuda3cub6detail10OpaqueTypeILi8EEEEEPdSC_PSA_SD_jNS1_19radix_merge_compareILb1ELb0EdNS0_19identity_decomposerEEEEEvT0_T1_T2_T3_T4_SL_jT5_PKSL_NS1_7vsmem_tE
                                        ; -- End function
	.set _ZN7rocprim17ROCPRIM_304000_NS6detail35device_block_merge_mergepath_kernelINS1_37wrapped_merge_sort_block_merge_configINS0_14default_configEdN2at4cuda3cub6detail10OpaqueTypeILi8EEEEEPdSC_PSA_SD_jNS1_19radix_merge_compareILb1ELb0EdNS0_19identity_decomposerEEEEEvT0_T1_T2_T3_T4_SL_jT5_PKSL_NS1_7vsmem_tE.num_vgpr, 50
	.set _ZN7rocprim17ROCPRIM_304000_NS6detail35device_block_merge_mergepath_kernelINS1_37wrapped_merge_sort_block_merge_configINS0_14default_configEdN2at4cuda3cub6detail10OpaqueTypeILi8EEEEEPdSC_PSA_SD_jNS1_19radix_merge_compareILb1ELb0EdNS0_19identity_decomposerEEEEEvT0_T1_T2_T3_T4_SL_jT5_PKSL_NS1_7vsmem_tE.num_agpr, 0
	.set _ZN7rocprim17ROCPRIM_304000_NS6detail35device_block_merge_mergepath_kernelINS1_37wrapped_merge_sort_block_merge_configINS0_14default_configEdN2at4cuda3cub6detail10OpaqueTypeILi8EEEEEPdSC_PSA_SD_jNS1_19radix_merge_compareILb1ELb0EdNS0_19identity_decomposerEEEEEvT0_T1_T2_T3_T4_SL_jT5_PKSL_NS1_7vsmem_tE.numbered_sgpr, 44
	.set _ZN7rocprim17ROCPRIM_304000_NS6detail35device_block_merge_mergepath_kernelINS1_37wrapped_merge_sort_block_merge_configINS0_14default_configEdN2at4cuda3cub6detail10OpaqueTypeILi8EEEEEPdSC_PSA_SD_jNS1_19radix_merge_compareILb1ELb0EdNS0_19identity_decomposerEEEEEvT0_T1_T2_T3_T4_SL_jT5_PKSL_NS1_7vsmem_tE.num_named_barrier, 0
	.set _ZN7rocprim17ROCPRIM_304000_NS6detail35device_block_merge_mergepath_kernelINS1_37wrapped_merge_sort_block_merge_configINS0_14default_configEdN2at4cuda3cub6detail10OpaqueTypeILi8EEEEEPdSC_PSA_SD_jNS1_19radix_merge_compareILb1ELb0EdNS0_19identity_decomposerEEEEEvT0_T1_T2_T3_T4_SL_jT5_PKSL_NS1_7vsmem_tE.private_seg_size, 0
	.set _ZN7rocprim17ROCPRIM_304000_NS6detail35device_block_merge_mergepath_kernelINS1_37wrapped_merge_sort_block_merge_configINS0_14default_configEdN2at4cuda3cub6detail10OpaqueTypeILi8EEEEEPdSC_PSA_SD_jNS1_19radix_merge_compareILb1ELb0EdNS0_19identity_decomposerEEEEEvT0_T1_T2_T3_T4_SL_jT5_PKSL_NS1_7vsmem_tE.uses_vcc, 1
	.set _ZN7rocprim17ROCPRIM_304000_NS6detail35device_block_merge_mergepath_kernelINS1_37wrapped_merge_sort_block_merge_configINS0_14default_configEdN2at4cuda3cub6detail10OpaqueTypeILi8EEEEEPdSC_PSA_SD_jNS1_19radix_merge_compareILb1ELb0EdNS0_19identity_decomposerEEEEEvT0_T1_T2_T3_T4_SL_jT5_PKSL_NS1_7vsmem_tE.uses_flat_scratch, 0
	.set _ZN7rocprim17ROCPRIM_304000_NS6detail35device_block_merge_mergepath_kernelINS1_37wrapped_merge_sort_block_merge_configINS0_14default_configEdN2at4cuda3cub6detail10OpaqueTypeILi8EEEEEPdSC_PSA_SD_jNS1_19radix_merge_compareILb1ELb0EdNS0_19identity_decomposerEEEEEvT0_T1_T2_T3_T4_SL_jT5_PKSL_NS1_7vsmem_tE.has_dyn_sized_stack, 0
	.set _ZN7rocprim17ROCPRIM_304000_NS6detail35device_block_merge_mergepath_kernelINS1_37wrapped_merge_sort_block_merge_configINS0_14default_configEdN2at4cuda3cub6detail10OpaqueTypeILi8EEEEEPdSC_PSA_SD_jNS1_19radix_merge_compareILb1ELb0EdNS0_19identity_decomposerEEEEEvT0_T1_T2_T3_T4_SL_jT5_PKSL_NS1_7vsmem_tE.has_recursion, 0
	.set _ZN7rocprim17ROCPRIM_304000_NS6detail35device_block_merge_mergepath_kernelINS1_37wrapped_merge_sort_block_merge_configINS0_14default_configEdN2at4cuda3cub6detail10OpaqueTypeILi8EEEEEPdSC_PSA_SD_jNS1_19radix_merge_compareILb1ELb0EdNS0_19identity_decomposerEEEEEvT0_T1_T2_T3_T4_SL_jT5_PKSL_NS1_7vsmem_tE.has_indirect_call, 0
	.section	.AMDGPU.csdata,"",@progbits
; Kernel info:
; codeLenInByte = 6712
; TotalNumSgprs: 50
; NumVgprs: 50
; NumAgprs: 0
; TotalNumVgprs: 50
; ScratchSize: 0
; MemoryBound: 1
; FloatMode: 240
; IeeeMode: 1
; LDSByteSize: 8448 bytes/workgroup (compile time only)
; SGPRBlocks: 6
; VGPRBlocks: 6
; NumSGPRsForWavesPerEU: 50
; NumVGPRsForWavesPerEU: 50
; AccumOffset: 52
; Occupancy: 8
; WaveLimiterHint : 1
; COMPUTE_PGM_RSRC2:SCRATCH_EN: 0
; COMPUTE_PGM_RSRC2:USER_SGPR: 2
; COMPUTE_PGM_RSRC2:TRAP_HANDLER: 0
; COMPUTE_PGM_RSRC2:TGID_X_EN: 1
; COMPUTE_PGM_RSRC2:TGID_Y_EN: 1
; COMPUTE_PGM_RSRC2:TGID_Z_EN: 1
; COMPUTE_PGM_RSRC2:TIDIG_COMP_CNT: 0
; COMPUTE_PGM_RSRC3_GFX90A:ACCUM_OFFSET: 12
; COMPUTE_PGM_RSRC3_GFX90A:TG_SPLIT: 0
	.section	.text._ZN7rocprim17ROCPRIM_304000_NS6detail33device_block_merge_oddeven_kernelINS1_37wrapped_merge_sort_block_merge_configINS0_14default_configEdN2at4cuda3cub6detail10OpaqueTypeILi8EEEEEPdSC_PSA_SD_jNS1_19radix_merge_compareILb1ELb0EdNS0_19identity_decomposerEEEEEvT0_T1_T2_T3_T4_SL_T5_,"axG",@progbits,_ZN7rocprim17ROCPRIM_304000_NS6detail33device_block_merge_oddeven_kernelINS1_37wrapped_merge_sort_block_merge_configINS0_14default_configEdN2at4cuda3cub6detail10OpaqueTypeILi8EEEEEPdSC_PSA_SD_jNS1_19radix_merge_compareILb1ELb0EdNS0_19identity_decomposerEEEEEvT0_T1_T2_T3_T4_SL_T5_,comdat
	.protected	_ZN7rocprim17ROCPRIM_304000_NS6detail33device_block_merge_oddeven_kernelINS1_37wrapped_merge_sort_block_merge_configINS0_14default_configEdN2at4cuda3cub6detail10OpaqueTypeILi8EEEEEPdSC_PSA_SD_jNS1_19radix_merge_compareILb1ELb0EdNS0_19identity_decomposerEEEEEvT0_T1_T2_T3_T4_SL_T5_ ; -- Begin function _ZN7rocprim17ROCPRIM_304000_NS6detail33device_block_merge_oddeven_kernelINS1_37wrapped_merge_sort_block_merge_configINS0_14default_configEdN2at4cuda3cub6detail10OpaqueTypeILi8EEEEEPdSC_PSA_SD_jNS1_19radix_merge_compareILb1ELb0EdNS0_19identity_decomposerEEEEEvT0_T1_T2_T3_T4_SL_T5_
	.globl	_ZN7rocprim17ROCPRIM_304000_NS6detail33device_block_merge_oddeven_kernelINS1_37wrapped_merge_sort_block_merge_configINS0_14default_configEdN2at4cuda3cub6detail10OpaqueTypeILi8EEEEEPdSC_PSA_SD_jNS1_19radix_merge_compareILb1ELb0EdNS0_19identity_decomposerEEEEEvT0_T1_T2_T3_T4_SL_T5_
	.p2align	8
	.type	_ZN7rocprim17ROCPRIM_304000_NS6detail33device_block_merge_oddeven_kernelINS1_37wrapped_merge_sort_block_merge_configINS0_14default_configEdN2at4cuda3cub6detail10OpaqueTypeILi8EEEEEPdSC_PSA_SD_jNS1_19radix_merge_compareILb1ELb0EdNS0_19identity_decomposerEEEEEvT0_T1_T2_T3_T4_SL_T5_,@function
_ZN7rocprim17ROCPRIM_304000_NS6detail33device_block_merge_oddeven_kernelINS1_37wrapped_merge_sort_block_merge_configINS0_14default_configEdN2at4cuda3cub6detail10OpaqueTypeILi8EEEEEPdSC_PSA_SD_jNS1_19radix_merge_compareILb1ELb0EdNS0_19identity_decomposerEEEEEvT0_T1_T2_T3_T4_SL_T5_: ; @_ZN7rocprim17ROCPRIM_304000_NS6detail33device_block_merge_oddeven_kernelINS1_37wrapped_merge_sort_block_merge_configINS0_14default_configEdN2at4cuda3cub6detail10OpaqueTypeILi8EEEEEPdSC_PSA_SD_jNS1_19radix_merge_compareILb1ELb0EdNS0_19identity_decomposerEEEEEvT0_T1_T2_T3_T4_SL_T5_
; %bb.0:
	s_load_dwordx2 s[16:17], s[0:1], 0x20
	s_waitcnt lgkmcnt(0)
	s_lshr_b32 s3, s16, 8
	s_cmp_eq_u32 s2, s3
	s_cselect_b64 s[6:7], -1, 0
	s_cmp_lg_u32 s2, s3
	s_cselect_b64 s[8:9], -1, 0
	s_lshl_b32 s18, s2, 8
	s_sub_i32 s3, s16, s18
	v_cmp_gt_u32_e64 s[4:5], s3, v0
	s_or_b64 s[8:9], s[8:9], s[4:5]
	s_and_saveexec_b64 s[10:11], s[8:9]
	s_cbranch_execz .LBB144_24
; %bb.1:
	s_load_dwordx8 s[8:15], s[0:1], 0x0
	s_mov_b32 s19, 0
	s_lshl_b64 s[0:1], s[18:19], 3
	v_lshlrev_b32_e32 v1, 3, v0
	v_add_u32_e32 v0, s18, v0
	s_waitcnt lgkmcnt(0)
	s_add_u32 s20, s8, s0
	s_addc_u32 s21, s9, s1
	s_add_u32 s0, s12, s0
	s_addc_u32 s1, s13, s1
	global_load_dwordx2 v[2:3], v1, s[0:1]
	global_load_dwordx2 v[4:5], v1, s[20:21]
	s_lshr_b32 s0, s17, 8
	s_sub_i32 s1, 0, s0
	s_and_b32 s1, s2, s1
	s_and_b32 s0, s1, s0
	s_lshl_b32 s19, s1, 8
	s_sub_i32 s12, 0, s17
	s_cmp_eq_u32 s0, 0
	s_cselect_b64 s[0:1], -1, 0
	s_and_b64 s[2:3], s[0:1], exec
	s_cselect_b32 s12, s17, s12
	s_add_i32 s12, s12, s19
	s_mov_b64 s[2:3], -1
	s_cmp_gt_u32 s16, s12
	s_cbranch_scc1 .LBB144_9
; %bb.2:
	s_and_b64 vcc, exec, s[6:7]
	s_cbranch_vccz .LBB144_6
; %bb.3:
	v_cmp_gt_u32_e32 vcc, s16, v0
	s_and_saveexec_b64 s[2:3], vcc
	s_cbranch_execz .LBB144_5
; %bb.4:
	v_mov_b32_e32 v1, 0
	v_lshlrev_b64 v[6:7], 3, v[0:1]
	v_lshl_add_u64 v[8:9], s[14:15], 0, v[6:7]
	v_lshl_add_u64 v[6:7], s[10:11], 0, v[6:7]
	s_waitcnt vmcnt(0)
	global_store_dwordx2 v[6:7], v[4:5], off
	global_store_dwordx2 v[8:9], v[2:3], off
.LBB144_5:
	s_or_b64 exec, exec, s[2:3]
	s_mov_b64 s[2:3], 0
.LBB144_6:
	s_andn2_b64 vcc, exec, s[2:3]
	s_cbranch_vccnz .LBB144_8
; %bb.7:
	v_mov_b32_e32 v1, 0
	v_lshlrev_b64 v[6:7], 3, v[0:1]
	v_lshl_add_u64 v[8:9], s[10:11], 0, v[6:7]
	v_lshl_add_u64 v[6:7], s[14:15], 0, v[6:7]
	s_waitcnt vmcnt(0)
	global_store_dwordx2 v[8:9], v[4:5], off
	global_store_dwordx2 v[6:7], v[2:3], off
.LBB144_8:
	s_mov_b64 s[2:3], 0
.LBB144_9:
	s_andn2_b64 vcc, exec, s[2:3]
	s_cbranch_vccnz .LBB144_24
; %bb.10:
	s_min_u32 s13, s12, s16
	s_add_i32 s2, s13, s17
	s_min_u32 s16, s2, s16
	s_min_u32 s2, s19, s13
	s_add_i32 s19, s19, s13
	v_subrev_u32_e32 v0, s19, v0
	v_add_u32_e32 v8, s2, v0
	s_mov_b32 s2, 0
	s_brev_b32 s3, 1
	s_waitcnt vmcnt(0)
	v_cmp_ne_u64_e32 vcc, s[2:3], v[4:5]
	v_bfrev_b32_e32 v6, 1
	s_mov_b64 s[2:3], -1
	v_cndmask_b32_e32 v1, 0, v5, vcc
	v_cndmask_b32_e32 v0, 0, v4, vcc
	v_cmp_lt_i64_e32 vcc, -1, v[0:1]
	v_ashrrev_i32_e32 v7, 31, v1
	v_xor_b32_e32 v0, v7, v0
	v_cndmask_b32_e32 v6, -1, v6, vcc
	v_xor_b32_e32 v1, v6, v1
	s_and_b64 vcc, exec, s[6:7]
	s_cbranch_vccz .LBB144_18
; %bb.11:
	s_and_saveexec_b64 s[2:3], s[4:5]
	s_cbranch_execz .LBB144_17
; %bb.12:
	s_cmp_ge_u32 s12, s16
	v_mov_b32_e32 v9, s13
	s_cbranch_scc1 .LBB144_16
; %bb.13:
	s_mov_b32 s6, 0
	s_mov_b64 s[4:5], 0
	v_mov_b32_e32 v10, s16
	v_mov_b32_e32 v9, s13
	v_mov_b32_e32 v7, 0
	s_brev_b32 s7, 1
	v_bfrev_b32_e32 v11, 1
.LBB144_14:                             ; =>This Inner Loop Header: Depth=1
	v_add_u32_e32 v6, v9, v10
	v_lshrrev_b32_e32 v6, 1, v6
	v_lshl_add_u64 v[12:13], v[6:7], 3, s[8:9]
	global_load_dwordx2 v[12:13], v[12:13], off
	v_add_u32_e32 v14, 1, v6
	s_waitcnt vmcnt(0)
	v_cmp_ne_u64_e32 vcc, s[6:7], v[12:13]
	s_nop 1
	v_cndmask_b32_e32 v13, 0, v13, vcc
	v_cndmask_b32_e32 v12, 0, v12, vcc
	v_cmp_lt_i64_e32 vcc, -1, v[12:13]
	v_ashrrev_i32_e32 v15, 31, v13
	v_xor_b32_e32 v12, v15, v12
	v_cndmask_b32_e32 v16, -1, v11, vcc
	v_xor_b32_e32 v13, v16, v13
	v_cmp_gt_u64_e32 vcc, v[12:13], v[0:1]
	s_nop 1
	v_cndmask_b32_e64 v15, 0, 1, vcc
	v_cmp_le_u64_e32 vcc, v[0:1], v[12:13]
	s_nop 1
	v_cndmask_b32_e64 v12, 0, 1, vcc
	v_cndmask_b32_e64 v12, v12, v15, s[0:1]
	v_and_b32_e32 v12, 1, v12
	v_cmp_eq_u32_e32 vcc, 1, v12
	s_nop 1
	v_cndmask_b32_e32 v10, v6, v10, vcc
	v_cndmask_b32_e32 v9, v9, v14, vcc
	v_cmp_ge_u32_e32 vcc, v9, v10
	s_or_b64 s[4:5], vcc, s[4:5]
	s_andn2_b64 exec, exec, s[4:5]
	s_cbranch_execnz .LBB144_14
; %bb.15:
	s_or_b64 exec, exec, s[4:5]
.LBB144_16:
	v_add_u32_e32 v6, v9, v8
	v_mov_b32_e32 v7, 0
	v_lshlrev_b64 v[6:7], 3, v[6:7]
	v_lshl_add_u64 v[10:11], s[10:11], 0, v[6:7]
	v_lshl_add_u64 v[6:7], s[14:15], 0, v[6:7]
	global_store_dwordx2 v[10:11], v[4:5], off
	global_store_dwordx2 v[6:7], v[2:3], off
.LBB144_17:
	s_or_b64 exec, exec, s[2:3]
	s_mov_b64 s[2:3], 0
.LBB144_18:
	s_andn2_b64 vcc, exec, s[2:3]
	s_cbranch_vccnz .LBB144_24
; %bb.19:
	s_cmp_ge_u32 s12, s16
	v_mov_b32_e32 v9, s13
	s_cbranch_scc1 .LBB144_23
; %bb.20:
	s_mov_b32 s4, 0
	s_mov_b64 s[2:3], 0
	v_mov_b32_e32 v10, s16
	v_mov_b32_e32 v9, s13
	;; [unrolled: 1-line block ×3, first 2 shown]
	s_brev_b32 s5, 1
	v_bfrev_b32_e32 v11, 1
.LBB144_21:                             ; =>This Inner Loop Header: Depth=1
	v_add_u32_e32 v6, v9, v10
	v_lshrrev_b32_e32 v6, 1, v6
	v_lshl_add_u64 v[12:13], v[6:7], 3, s[8:9]
	global_load_dwordx2 v[12:13], v[12:13], off
	v_add_u32_e32 v14, 1, v6
	s_waitcnt vmcnt(0)
	v_cmp_ne_u64_e32 vcc, s[4:5], v[12:13]
	s_nop 1
	v_cndmask_b32_e32 v13, 0, v13, vcc
	v_cndmask_b32_e32 v12, 0, v12, vcc
	v_cmp_lt_i64_e32 vcc, -1, v[12:13]
	v_ashrrev_i32_e32 v15, 31, v13
	v_xor_b32_e32 v12, v15, v12
	v_cndmask_b32_e32 v16, -1, v11, vcc
	v_xor_b32_e32 v13, v16, v13
	v_cmp_gt_u64_e32 vcc, v[12:13], v[0:1]
	s_nop 1
	v_cndmask_b32_e64 v15, 0, 1, vcc
	v_cmp_le_u64_e32 vcc, v[0:1], v[12:13]
	s_nop 1
	v_cndmask_b32_e64 v12, 0, 1, vcc
	v_cndmask_b32_e64 v12, v12, v15, s[0:1]
	v_and_b32_e32 v12, 1, v12
	v_cmp_eq_u32_e32 vcc, 1, v12
	s_nop 1
	v_cndmask_b32_e32 v10, v6, v10, vcc
	v_cndmask_b32_e32 v9, v9, v14, vcc
	v_cmp_ge_u32_e32 vcc, v9, v10
	s_or_b64 s[2:3], vcc, s[2:3]
	s_andn2_b64 exec, exec, s[2:3]
	s_cbranch_execnz .LBB144_21
; %bb.22:
	s_or_b64 exec, exec, s[2:3]
.LBB144_23:
	v_add_u32_e32 v0, v9, v8
	v_mov_b32_e32 v1, 0
	v_lshlrev_b64 v[0:1], 3, v[0:1]
	v_lshl_add_u64 v[6:7], s[10:11], 0, v[0:1]
	v_lshl_add_u64 v[0:1], s[14:15], 0, v[0:1]
	global_store_dwordx2 v[6:7], v[4:5], off
	global_store_dwordx2 v[0:1], v[2:3], off
.LBB144_24:
	s_endpgm
	.section	.rodata,"a",@progbits
	.p2align	6, 0x0
	.amdhsa_kernel _ZN7rocprim17ROCPRIM_304000_NS6detail33device_block_merge_oddeven_kernelINS1_37wrapped_merge_sort_block_merge_configINS0_14default_configEdN2at4cuda3cub6detail10OpaqueTypeILi8EEEEEPdSC_PSA_SD_jNS1_19radix_merge_compareILb1ELb0EdNS0_19identity_decomposerEEEEEvT0_T1_T2_T3_T4_SL_T5_
		.amdhsa_group_segment_fixed_size 0
		.amdhsa_private_segment_fixed_size 0
		.amdhsa_kernarg_size 44
		.amdhsa_user_sgpr_count 2
		.amdhsa_user_sgpr_dispatch_ptr 0
		.amdhsa_user_sgpr_queue_ptr 0
		.amdhsa_user_sgpr_kernarg_segment_ptr 1
		.amdhsa_user_sgpr_dispatch_id 0
		.amdhsa_user_sgpr_kernarg_preload_length 0
		.amdhsa_user_sgpr_kernarg_preload_offset 0
		.amdhsa_user_sgpr_private_segment_size 0
		.amdhsa_uses_dynamic_stack 0
		.amdhsa_enable_private_segment 0
		.amdhsa_system_sgpr_workgroup_id_x 1
		.amdhsa_system_sgpr_workgroup_id_y 0
		.amdhsa_system_sgpr_workgroup_id_z 0
		.amdhsa_system_sgpr_workgroup_info 0
		.amdhsa_system_vgpr_workitem_id 0
		.amdhsa_next_free_vgpr 17
		.amdhsa_next_free_sgpr 22
		.amdhsa_accum_offset 20
		.amdhsa_reserve_vcc 1
		.amdhsa_float_round_mode_32 0
		.amdhsa_float_round_mode_16_64 0
		.amdhsa_float_denorm_mode_32 3
		.amdhsa_float_denorm_mode_16_64 3
		.amdhsa_dx10_clamp 1
		.amdhsa_ieee_mode 1
		.amdhsa_fp16_overflow 0
		.amdhsa_tg_split 0
		.amdhsa_exception_fp_ieee_invalid_op 0
		.amdhsa_exception_fp_denorm_src 0
		.amdhsa_exception_fp_ieee_div_zero 0
		.amdhsa_exception_fp_ieee_overflow 0
		.amdhsa_exception_fp_ieee_underflow 0
		.amdhsa_exception_fp_ieee_inexact 0
		.amdhsa_exception_int_div_zero 0
	.end_amdhsa_kernel
	.section	.text._ZN7rocprim17ROCPRIM_304000_NS6detail33device_block_merge_oddeven_kernelINS1_37wrapped_merge_sort_block_merge_configINS0_14default_configEdN2at4cuda3cub6detail10OpaqueTypeILi8EEEEEPdSC_PSA_SD_jNS1_19radix_merge_compareILb1ELb0EdNS0_19identity_decomposerEEEEEvT0_T1_T2_T3_T4_SL_T5_,"axG",@progbits,_ZN7rocprim17ROCPRIM_304000_NS6detail33device_block_merge_oddeven_kernelINS1_37wrapped_merge_sort_block_merge_configINS0_14default_configEdN2at4cuda3cub6detail10OpaqueTypeILi8EEEEEPdSC_PSA_SD_jNS1_19radix_merge_compareILb1ELb0EdNS0_19identity_decomposerEEEEEvT0_T1_T2_T3_T4_SL_T5_,comdat
.Lfunc_end144:
	.size	_ZN7rocprim17ROCPRIM_304000_NS6detail33device_block_merge_oddeven_kernelINS1_37wrapped_merge_sort_block_merge_configINS0_14default_configEdN2at4cuda3cub6detail10OpaqueTypeILi8EEEEEPdSC_PSA_SD_jNS1_19radix_merge_compareILb1ELb0EdNS0_19identity_decomposerEEEEEvT0_T1_T2_T3_T4_SL_T5_, .Lfunc_end144-_ZN7rocprim17ROCPRIM_304000_NS6detail33device_block_merge_oddeven_kernelINS1_37wrapped_merge_sort_block_merge_configINS0_14default_configEdN2at4cuda3cub6detail10OpaqueTypeILi8EEEEEPdSC_PSA_SD_jNS1_19radix_merge_compareILb1ELb0EdNS0_19identity_decomposerEEEEEvT0_T1_T2_T3_T4_SL_T5_
                                        ; -- End function
	.set _ZN7rocprim17ROCPRIM_304000_NS6detail33device_block_merge_oddeven_kernelINS1_37wrapped_merge_sort_block_merge_configINS0_14default_configEdN2at4cuda3cub6detail10OpaqueTypeILi8EEEEEPdSC_PSA_SD_jNS1_19radix_merge_compareILb1ELb0EdNS0_19identity_decomposerEEEEEvT0_T1_T2_T3_T4_SL_T5_.num_vgpr, 17
	.set _ZN7rocprim17ROCPRIM_304000_NS6detail33device_block_merge_oddeven_kernelINS1_37wrapped_merge_sort_block_merge_configINS0_14default_configEdN2at4cuda3cub6detail10OpaqueTypeILi8EEEEEPdSC_PSA_SD_jNS1_19radix_merge_compareILb1ELb0EdNS0_19identity_decomposerEEEEEvT0_T1_T2_T3_T4_SL_T5_.num_agpr, 0
	.set _ZN7rocprim17ROCPRIM_304000_NS6detail33device_block_merge_oddeven_kernelINS1_37wrapped_merge_sort_block_merge_configINS0_14default_configEdN2at4cuda3cub6detail10OpaqueTypeILi8EEEEEPdSC_PSA_SD_jNS1_19radix_merge_compareILb1ELb0EdNS0_19identity_decomposerEEEEEvT0_T1_T2_T3_T4_SL_T5_.numbered_sgpr, 22
	.set _ZN7rocprim17ROCPRIM_304000_NS6detail33device_block_merge_oddeven_kernelINS1_37wrapped_merge_sort_block_merge_configINS0_14default_configEdN2at4cuda3cub6detail10OpaqueTypeILi8EEEEEPdSC_PSA_SD_jNS1_19radix_merge_compareILb1ELb0EdNS0_19identity_decomposerEEEEEvT0_T1_T2_T3_T4_SL_T5_.num_named_barrier, 0
	.set _ZN7rocprim17ROCPRIM_304000_NS6detail33device_block_merge_oddeven_kernelINS1_37wrapped_merge_sort_block_merge_configINS0_14default_configEdN2at4cuda3cub6detail10OpaqueTypeILi8EEEEEPdSC_PSA_SD_jNS1_19radix_merge_compareILb1ELb0EdNS0_19identity_decomposerEEEEEvT0_T1_T2_T3_T4_SL_T5_.private_seg_size, 0
	.set _ZN7rocprim17ROCPRIM_304000_NS6detail33device_block_merge_oddeven_kernelINS1_37wrapped_merge_sort_block_merge_configINS0_14default_configEdN2at4cuda3cub6detail10OpaqueTypeILi8EEEEEPdSC_PSA_SD_jNS1_19radix_merge_compareILb1ELb0EdNS0_19identity_decomposerEEEEEvT0_T1_T2_T3_T4_SL_T5_.uses_vcc, 1
	.set _ZN7rocprim17ROCPRIM_304000_NS6detail33device_block_merge_oddeven_kernelINS1_37wrapped_merge_sort_block_merge_configINS0_14default_configEdN2at4cuda3cub6detail10OpaqueTypeILi8EEEEEPdSC_PSA_SD_jNS1_19radix_merge_compareILb1ELb0EdNS0_19identity_decomposerEEEEEvT0_T1_T2_T3_T4_SL_T5_.uses_flat_scratch, 0
	.set _ZN7rocprim17ROCPRIM_304000_NS6detail33device_block_merge_oddeven_kernelINS1_37wrapped_merge_sort_block_merge_configINS0_14default_configEdN2at4cuda3cub6detail10OpaqueTypeILi8EEEEEPdSC_PSA_SD_jNS1_19radix_merge_compareILb1ELb0EdNS0_19identity_decomposerEEEEEvT0_T1_T2_T3_T4_SL_T5_.has_dyn_sized_stack, 0
	.set _ZN7rocprim17ROCPRIM_304000_NS6detail33device_block_merge_oddeven_kernelINS1_37wrapped_merge_sort_block_merge_configINS0_14default_configEdN2at4cuda3cub6detail10OpaqueTypeILi8EEEEEPdSC_PSA_SD_jNS1_19radix_merge_compareILb1ELb0EdNS0_19identity_decomposerEEEEEvT0_T1_T2_T3_T4_SL_T5_.has_recursion, 0
	.set _ZN7rocprim17ROCPRIM_304000_NS6detail33device_block_merge_oddeven_kernelINS1_37wrapped_merge_sort_block_merge_configINS0_14default_configEdN2at4cuda3cub6detail10OpaqueTypeILi8EEEEEPdSC_PSA_SD_jNS1_19radix_merge_compareILb1ELb0EdNS0_19identity_decomposerEEEEEvT0_T1_T2_T3_T4_SL_T5_.has_indirect_call, 0
	.section	.AMDGPU.csdata,"",@progbits
; Kernel info:
; codeLenInByte = 908
; TotalNumSgprs: 28
; NumVgprs: 17
; NumAgprs: 0
; TotalNumVgprs: 17
; ScratchSize: 0
; MemoryBound: 0
; FloatMode: 240
; IeeeMode: 1
; LDSByteSize: 0 bytes/workgroup (compile time only)
; SGPRBlocks: 3
; VGPRBlocks: 2
; NumSGPRsForWavesPerEU: 28
; NumVGPRsForWavesPerEU: 17
; AccumOffset: 20
; Occupancy: 8
; WaveLimiterHint : 0
; COMPUTE_PGM_RSRC2:SCRATCH_EN: 0
; COMPUTE_PGM_RSRC2:USER_SGPR: 2
; COMPUTE_PGM_RSRC2:TRAP_HANDLER: 0
; COMPUTE_PGM_RSRC2:TGID_X_EN: 1
; COMPUTE_PGM_RSRC2:TGID_Y_EN: 0
; COMPUTE_PGM_RSRC2:TGID_Z_EN: 0
; COMPUTE_PGM_RSRC2:TIDIG_COMP_CNT: 0
; COMPUTE_PGM_RSRC3_GFX90A:ACCUM_OFFSET: 4
; COMPUTE_PGM_RSRC3_GFX90A:TG_SPLIT: 0
	.section	.text._ZN7rocprim17ROCPRIM_304000_NS6detail16transform_kernelINS1_24wrapped_transform_configINS0_14default_configEdEEdPdS6_NS0_8identityIdEEEEvT1_mT2_T3_,"axG",@progbits,_ZN7rocprim17ROCPRIM_304000_NS6detail16transform_kernelINS1_24wrapped_transform_configINS0_14default_configEdEEdPdS6_NS0_8identityIdEEEEvT1_mT2_T3_,comdat
	.protected	_ZN7rocprim17ROCPRIM_304000_NS6detail16transform_kernelINS1_24wrapped_transform_configINS0_14default_configEdEEdPdS6_NS0_8identityIdEEEEvT1_mT2_T3_ ; -- Begin function _ZN7rocprim17ROCPRIM_304000_NS6detail16transform_kernelINS1_24wrapped_transform_configINS0_14default_configEdEEdPdS6_NS0_8identityIdEEEEvT1_mT2_T3_
	.globl	_ZN7rocprim17ROCPRIM_304000_NS6detail16transform_kernelINS1_24wrapped_transform_configINS0_14default_configEdEEdPdS6_NS0_8identityIdEEEEvT1_mT2_T3_
	.p2align	8
	.type	_ZN7rocprim17ROCPRIM_304000_NS6detail16transform_kernelINS1_24wrapped_transform_configINS0_14default_configEdEEdPdS6_NS0_8identityIdEEEEvT1_mT2_T3_,@function
_ZN7rocprim17ROCPRIM_304000_NS6detail16transform_kernelINS1_24wrapped_transform_configINS0_14default_configEdEEdPdS6_NS0_8identityIdEEEEvT1_mT2_T3_: ; @_ZN7rocprim17ROCPRIM_304000_NS6detail16transform_kernelINS1_24wrapped_transform_configINS0_14default_configEdEEdPdS6_NS0_8identityIdEEEEvT1_mT2_T3_
; %bb.0:
	s_load_dword s3, s[0:1], 0x20
	s_load_dwordx4 s[4:7], s[0:1], 0x0
	s_lshl_b32 s8, s2, 7
	s_waitcnt lgkmcnt(0)
	s_add_i32 s3, s3, -1
	s_cmp_lg_u32 s2, s3
	s_cselect_b64 s[2:3], -1, 0
	s_sub_i32 s6, s6, s8
	v_cmp_gt_u32_e32 vcc, s6, v0
	s_or_b64 s[2:3], vcc, s[2:3]
	s_and_saveexec_b64 s[6:7], s[2:3]
	s_cbranch_execz .LBB145_2
; %bb.1:
	s_load_dwordx2 s[0:1], s[0:1], 0x10
	s_mov_b32 s9, 0
	s_lshl_b64 s[2:3], s[8:9], 3
	v_lshlrev_b32_e32 v2, 3, v0
	s_waitcnt lgkmcnt(0)
	s_add_u32 s0, s0, s2
	s_addc_u32 s1, s1, s3
	s_add_u32 s2, s4, s2
	s_addc_u32 s3, s5, s3
	global_load_dwordx2 v[0:1], v2, s[2:3]
	s_waitcnt vmcnt(0)
	global_store_dwordx2 v2, v[0:1], s[0:1]
.LBB145_2:
	s_endpgm
	.section	.rodata,"a",@progbits
	.p2align	6, 0x0
	.amdhsa_kernel _ZN7rocprim17ROCPRIM_304000_NS6detail16transform_kernelINS1_24wrapped_transform_configINS0_14default_configEdEEdPdS6_NS0_8identityIdEEEEvT1_mT2_T3_
		.amdhsa_group_segment_fixed_size 0
		.amdhsa_private_segment_fixed_size 0
		.amdhsa_kernarg_size 288
		.amdhsa_user_sgpr_count 2
		.amdhsa_user_sgpr_dispatch_ptr 0
		.amdhsa_user_sgpr_queue_ptr 0
		.amdhsa_user_sgpr_kernarg_segment_ptr 1
		.amdhsa_user_sgpr_dispatch_id 0
		.amdhsa_user_sgpr_kernarg_preload_length 0
		.amdhsa_user_sgpr_kernarg_preload_offset 0
		.amdhsa_user_sgpr_private_segment_size 0
		.amdhsa_uses_dynamic_stack 0
		.amdhsa_enable_private_segment 0
		.amdhsa_system_sgpr_workgroup_id_x 1
		.amdhsa_system_sgpr_workgroup_id_y 0
		.amdhsa_system_sgpr_workgroup_id_z 0
		.amdhsa_system_sgpr_workgroup_info 0
		.amdhsa_system_vgpr_workitem_id 0
		.amdhsa_next_free_vgpr 3
		.amdhsa_next_free_sgpr 10
		.amdhsa_accum_offset 4
		.amdhsa_reserve_vcc 1
		.amdhsa_float_round_mode_32 0
		.amdhsa_float_round_mode_16_64 0
		.amdhsa_float_denorm_mode_32 3
		.amdhsa_float_denorm_mode_16_64 3
		.amdhsa_dx10_clamp 1
		.amdhsa_ieee_mode 1
		.amdhsa_fp16_overflow 0
		.amdhsa_tg_split 0
		.amdhsa_exception_fp_ieee_invalid_op 0
		.amdhsa_exception_fp_denorm_src 0
		.amdhsa_exception_fp_ieee_div_zero 0
		.amdhsa_exception_fp_ieee_overflow 0
		.amdhsa_exception_fp_ieee_underflow 0
		.amdhsa_exception_fp_ieee_inexact 0
		.amdhsa_exception_int_div_zero 0
	.end_amdhsa_kernel
	.section	.text._ZN7rocprim17ROCPRIM_304000_NS6detail16transform_kernelINS1_24wrapped_transform_configINS0_14default_configEdEEdPdS6_NS0_8identityIdEEEEvT1_mT2_T3_,"axG",@progbits,_ZN7rocprim17ROCPRIM_304000_NS6detail16transform_kernelINS1_24wrapped_transform_configINS0_14default_configEdEEdPdS6_NS0_8identityIdEEEEvT1_mT2_T3_,comdat
.Lfunc_end145:
	.size	_ZN7rocprim17ROCPRIM_304000_NS6detail16transform_kernelINS1_24wrapped_transform_configINS0_14default_configEdEEdPdS6_NS0_8identityIdEEEEvT1_mT2_T3_, .Lfunc_end145-_ZN7rocprim17ROCPRIM_304000_NS6detail16transform_kernelINS1_24wrapped_transform_configINS0_14default_configEdEEdPdS6_NS0_8identityIdEEEEvT1_mT2_T3_
                                        ; -- End function
	.set _ZN7rocprim17ROCPRIM_304000_NS6detail16transform_kernelINS1_24wrapped_transform_configINS0_14default_configEdEEdPdS6_NS0_8identityIdEEEEvT1_mT2_T3_.num_vgpr, 3
	.set _ZN7rocprim17ROCPRIM_304000_NS6detail16transform_kernelINS1_24wrapped_transform_configINS0_14default_configEdEEdPdS6_NS0_8identityIdEEEEvT1_mT2_T3_.num_agpr, 0
	.set _ZN7rocprim17ROCPRIM_304000_NS6detail16transform_kernelINS1_24wrapped_transform_configINS0_14default_configEdEEdPdS6_NS0_8identityIdEEEEvT1_mT2_T3_.numbered_sgpr, 10
	.set _ZN7rocprim17ROCPRIM_304000_NS6detail16transform_kernelINS1_24wrapped_transform_configINS0_14default_configEdEEdPdS6_NS0_8identityIdEEEEvT1_mT2_T3_.num_named_barrier, 0
	.set _ZN7rocprim17ROCPRIM_304000_NS6detail16transform_kernelINS1_24wrapped_transform_configINS0_14default_configEdEEdPdS6_NS0_8identityIdEEEEvT1_mT2_T3_.private_seg_size, 0
	.set _ZN7rocprim17ROCPRIM_304000_NS6detail16transform_kernelINS1_24wrapped_transform_configINS0_14default_configEdEEdPdS6_NS0_8identityIdEEEEvT1_mT2_T3_.uses_vcc, 1
	.set _ZN7rocprim17ROCPRIM_304000_NS6detail16transform_kernelINS1_24wrapped_transform_configINS0_14default_configEdEEdPdS6_NS0_8identityIdEEEEvT1_mT2_T3_.uses_flat_scratch, 0
	.set _ZN7rocprim17ROCPRIM_304000_NS6detail16transform_kernelINS1_24wrapped_transform_configINS0_14default_configEdEEdPdS6_NS0_8identityIdEEEEvT1_mT2_T3_.has_dyn_sized_stack, 0
	.set _ZN7rocprim17ROCPRIM_304000_NS6detail16transform_kernelINS1_24wrapped_transform_configINS0_14default_configEdEEdPdS6_NS0_8identityIdEEEEvT1_mT2_T3_.has_recursion, 0
	.set _ZN7rocprim17ROCPRIM_304000_NS6detail16transform_kernelINS1_24wrapped_transform_configINS0_14default_configEdEEdPdS6_NS0_8identityIdEEEEvT1_mT2_T3_.has_indirect_call, 0
	.section	.AMDGPU.csdata,"",@progbits
; Kernel info:
; codeLenInByte = 120
; TotalNumSgprs: 16
; NumVgprs: 3
; NumAgprs: 0
; TotalNumVgprs: 3
; ScratchSize: 0
; MemoryBound: 0
; FloatMode: 240
; IeeeMode: 1
; LDSByteSize: 0 bytes/workgroup (compile time only)
; SGPRBlocks: 1
; VGPRBlocks: 0
; NumSGPRsForWavesPerEU: 16
; NumVGPRsForWavesPerEU: 3
; AccumOffset: 4
; Occupancy: 8
; WaveLimiterHint : 0
; COMPUTE_PGM_RSRC2:SCRATCH_EN: 0
; COMPUTE_PGM_RSRC2:USER_SGPR: 2
; COMPUTE_PGM_RSRC2:TRAP_HANDLER: 0
; COMPUTE_PGM_RSRC2:TGID_X_EN: 1
; COMPUTE_PGM_RSRC2:TGID_Y_EN: 0
; COMPUTE_PGM_RSRC2:TGID_Z_EN: 0
; COMPUTE_PGM_RSRC2:TIDIG_COMP_CNT: 0
; COMPUTE_PGM_RSRC3_GFX90A:ACCUM_OFFSET: 0
; COMPUTE_PGM_RSRC3_GFX90A:TG_SPLIT: 0
	.section	.text._ZN7rocprim17ROCPRIM_304000_NS6detail26onesweep_histograms_kernelINS1_34wrapped_radix_sort_onesweep_configINS0_14default_configEdN2at4cuda3cub6detail10OpaqueTypeILi8EEEEELb1EPKdmNS0_19identity_decomposerEEEvT1_PT2_SG_SG_T3_jj,"axG",@progbits,_ZN7rocprim17ROCPRIM_304000_NS6detail26onesweep_histograms_kernelINS1_34wrapped_radix_sort_onesweep_configINS0_14default_configEdN2at4cuda3cub6detail10OpaqueTypeILi8EEEEELb1EPKdmNS0_19identity_decomposerEEEvT1_PT2_SG_SG_T3_jj,comdat
	.protected	_ZN7rocprim17ROCPRIM_304000_NS6detail26onesweep_histograms_kernelINS1_34wrapped_radix_sort_onesweep_configINS0_14default_configEdN2at4cuda3cub6detail10OpaqueTypeILi8EEEEELb1EPKdmNS0_19identity_decomposerEEEvT1_PT2_SG_SG_T3_jj ; -- Begin function _ZN7rocprim17ROCPRIM_304000_NS6detail26onesweep_histograms_kernelINS1_34wrapped_radix_sort_onesweep_configINS0_14default_configEdN2at4cuda3cub6detail10OpaqueTypeILi8EEEEELb1EPKdmNS0_19identity_decomposerEEEvT1_PT2_SG_SG_T3_jj
	.globl	_ZN7rocprim17ROCPRIM_304000_NS6detail26onesweep_histograms_kernelINS1_34wrapped_radix_sort_onesweep_configINS0_14default_configEdN2at4cuda3cub6detail10OpaqueTypeILi8EEEEELb1EPKdmNS0_19identity_decomposerEEEvT1_PT2_SG_SG_T3_jj
	.p2align	8
	.type	_ZN7rocprim17ROCPRIM_304000_NS6detail26onesweep_histograms_kernelINS1_34wrapped_radix_sort_onesweep_configINS0_14default_configEdN2at4cuda3cub6detail10OpaqueTypeILi8EEEEELb1EPKdmNS0_19identity_decomposerEEEvT1_PT2_SG_SG_T3_jj,@function
_ZN7rocprim17ROCPRIM_304000_NS6detail26onesweep_histograms_kernelINS1_34wrapped_radix_sort_onesweep_configINS0_14default_configEdN2at4cuda3cub6detail10OpaqueTypeILi8EEEEELb1EPKdmNS0_19identity_decomposerEEEvT1_PT2_SG_SG_T3_jj: ; @_ZN7rocprim17ROCPRIM_304000_NS6detail26onesweep_histograms_kernelINS1_34wrapped_radix_sort_onesweep_configINS0_14default_configEdN2at4cuda3cub6detail10OpaqueTypeILi8EEEEELb1EPKdmNS0_19identity_decomposerEEEvT1_PT2_SG_SG_T3_jj
; %bb.0:
	s_load_dwordx8 s[12:19], s[0:1], 0x0
	s_load_dwordx2 s[20:21], s[0:1], 0x24
	v_mov_b32_e32 v2, s2
	v_mov_b32_e32 v3, 0
	s_mul_hi_u32 s0, s2, 0xc000
	s_mul_i32 s2, s2, 0xc000
	s_waitcnt lgkmcnt(0)
	v_cmp_le_u64_e32 vcc, s[18:19], v[2:3]
	s_add_u32 s12, s12, s2
	s_addc_u32 s13, s13, s0
	s_mov_b64 s[0:1], -1
	v_lshlrev_b32_e32 v2, 3, v0
	s_cbranch_vccz .LBB146_44
; %bb.1:
	s_mul_i32 s0, s18, 0xffffe800
	s_add_i32 s16, s0, s16
	v_lshl_add_u64 v[16:17], s[12:13], 0, v[2:3]
	v_cmp_gt_u32_e64 s[10:11], s16, v0
                                        ; implicit-def: $vgpr14_vgpr15
	s_and_saveexec_b64 s[0:1], s[10:11]
	s_cbranch_execz .LBB146_3
; %bb.2:
	global_load_dwordx2 v[14:15], v[16:17], off
.LBB146_3:
	s_or_b64 exec, exec, s[0:1]
	v_or_b32_e32 v1, 0x400, v0
	v_cmp_gt_u32_e64 s[8:9], s16, v1
                                        ; implicit-def: $vgpr12_vgpr13
	s_and_saveexec_b64 s[0:1], s[8:9]
	s_cbranch_execz .LBB146_5
; %bb.4:
	v_add_co_u32_e32 v4, vcc, 0x2000, v16
	s_nop 1
	v_addc_co_u32_e32 v5, vcc, 0, v17, vcc
	global_load_dwordx2 v[12:13], v[4:5], off
.LBB146_5:
	s_or_b64 exec, exec, s[0:1]
	v_or_b32_e32 v1, 0x800, v0
	v_cmp_gt_u32_e64 s[6:7], s16, v1
                                        ; implicit-def: $vgpr10_vgpr11
	s_and_saveexec_b64 s[0:1], s[6:7]
	s_cbranch_execz .LBB146_7
; %bb.6:
	v_add_co_u32_e32 v4, vcc, 0x4000, v16
	s_nop 1
	v_addc_co_u32_e32 v5, vcc, 0, v17, vcc
	global_load_dwordx2 v[10:11], v[4:5], off
.LBB146_7:
	s_or_b64 exec, exec, s[0:1]
	v_or_b32_e32 v1, 0xc00, v0
	v_cmp_gt_u32_e64 s[4:5], s16, v1
                                        ; implicit-def: $vgpr8_vgpr9
	s_and_saveexec_b64 s[0:1], s[4:5]
	s_cbranch_execz .LBB146_9
; %bb.8:
	v_add_co_u32_e32 v4, vcc, 0x6000, v16
	s_nop 1
	v_addc_co_u32_e32 v5, vcc, 0, v17, vcc
	global_load_dwordx2 v[8:9], v[4:5], off
.LBB146_9:
	s_or_b64 exec, exec, s[0:1]
	v_or_b32_e32 v1, 0x1000, v0
	v_cmp_gt_u32_e64 s[2:3], s16, v1
                                        ; implicit-def: $vgpr6_vgpr7
	s_and_saveexec_b64 s[0:1], s[2:3]
	s_cbranch_execz .LBB146_11
; %bb.10:
	v_add_co_u32_e32 v4, vcc, 0x8000, v16
	s_nop 1
	v_addc_co_u32_e32 v5, vcc, 0, v17, vcc
	global_load_dwordx2 v[6:7], v[4:5], off
.LBB146_11:
	s_or_b64 exec, exec, s[0:1]
	v_or_b32_e32 v1, 0x1400, v0
	v_cmp_gt_u32_e64 s[0:1], s16, v1
                                        ; implicit-def: $vgpr4_vgpr5
	s_and_saveexec_b64 s[16:17], s[0:1]
	s_cbranch_execz .LBB146_13
; %bb.12:
	v_add_co_u32_e32 v4, vcc, 0xa000, v16
	s_nop 1
	v_addc_co_u32_e32 v5, vcc, 0, v17, vcc
	global_load_dwordx2 v[4:5], v[4:5], off
.LBB146_13:
	s_or_b64 exec, exec, s[16:17]
	s_cmp_gt_u32 s21, s20
	v_lshlrev_b32_e32 v1, 2, v0
	v_mov_b32_e32 v3, 0
	s_cselect_b64 s[16:17], -1, 0
	s_cmp_le_u32 s21, s20
	ds_write2st64_b32 v1, v3, v3 offset1:16
	ds_write2st64_b32 v1, v3, v3 offset0:32 offset1:48
	ds_write2st64_b32 v1, v3, v3 offset0:64 offset1:80
	;; [unrolled: 1-line block ×3, first 2 shown]
	s_waitcnt lgkmcnt(0)
	s_barrier
	s_cbranch_scc1 .LBB146_38
; %bb.14:
	v_bfrev_b32_e32 v3, -2
	s_waitcnt vmcnt(0)
	v_cmp_gt_i64_e32 vcc, 0, v[14:15]
	v_ashrrev_i32_e32 v17, 31, v15
	s_mov_b32 s18, 0
	v_cndmask_b32_e64 v16, v3, 0, vcc
	v_not_b32_e32 v17, v17
	v_and_b32_e32 v1, 3, v0
	s_brev_b32 s19, 1
	v_xor_b32_e32 v15, v16, v15
	v_xor_b32_e32 v14, v17, v14
	v_cmp_ne_u64_e32 vcc, s[18:19], v[14:15]
	v_lshlrev_b32_e32 v1, 2, v1
	s_sub_i32 s22, s21, s20
	v_cndmask_b32_e32 v15, v3, v15, vcc
	v_cndmask_b32_e32 v14, -1, v14, vcc
	v_mov_b32_e32 v3, 1
	s_mov_b32 s23, s22
	v_mov_b32_e32 v16, v1
	s_mov_b32 s24, s20
	s_branch .LBB146_16
.LBB146_15:                             ;   in Loop: Header=BB146_16 Depth=1
	s_or_b64 exec, exec, s[18:19]
	s_add_i32 s24, s24, 8
	s_add_i32 s23, s23, -8
	s_cmp_ge_u32 s24, s21
	v_add_u32_e32 v16, 0x1000, v16
	s_cbranch_scc1 .LBB146_18
.LBB146_16:                             ; =>This Inner Loop Header: Depth=1
	s_and_saveexec_b64 s[18:19], s[10:11]
	s_cbranch_execz .LBB146_15
; %bb.17:                               ;   in Loop: Header=BB146_16 Depth=1
	s_min_u32 s25, s23, 8
	v_lshrrev_b64 v[18:19], s24, v[14:15]
	v_bfe_u32 v17, v18, 0, s25
	v_lshl_add_u32 v17, v17, 4, v16
	ds_add_u32 v17, v3
	s_branch .LBB146_15
.LBB146_18:
	v_bfrev_b32_e32 v3, -2
	v_cmp_gt_i64_e32 vcc, 0, v[12:13]
	v_ashrrev_i32_e32 v15, 31, v13
	s_mov_b32 s10, 0
	v_cndmask_b32_e64 v14, v3, 0, vcc
	v_not_b32_e32 v15, v15
	s_brev_b32 s11, 1
	v_xor_b32_e32 v13, v14, v13
	v_xor_b32_e32 v12, v15, v12
	v_cmp_ne_u64_e32 vcc, s[10:11], v[12:13]
	s_mov_b32 s18, s22
	v_mov_b32_e32 v14, v1
	v_cndmask_b32_e32 v13, v3, v13, vcc
	v_cndmask_b32_e32 v12, -1, v12, vcc
	v_mov_b32_e32 v3, 1
	s_mov_b32 s19, s20
	s_branch .LBB146_20
.LBB146_19:                             ;   in Loop: Header=BB146_20 Depth=1
	s_or_b64 exec, exec, s[10:11]
	s_add_i32 s19, s19, 8
	s_add_i32 s18, s18, -8
	s_cmp_lt_u32 s19, s21
	v_add_u32_e32 v14, 0x1000, v14
	s_cbranch_scc0 .LBB146_22
.LBB146_20:                             ; =>This Inner Loop Header: Depth=1
	s_and_saveexec_b64 s[10:11], s[8:9]
	s_cbranch_execz .LBB146_19
; %bb.21:                               ;   in Loop: Header=BB146_20 Depth=1
	s_min_u32 s23, s18, 8
	v_lshrrev_b64 v[16:17], s19, v[12:13]
	v_bfe_u32 v15, v16, 0, s23
	v_lshl_add_u32 v15, v15, 4, v14
	ds_add_u32 v15, v3
	s_branch .LBB146_19
.LBB146_22:
	v_bfrev_b32_e32 v3, -2
	v_cmp_gt_i64_e32 vcc, 0, v[10:11]
	v_ashrrev_i32_e32 v13, 31, v11
	s_mov_b32 s8, 0
	v_cndmask_b32_e64 v12, v3, 0, vcc
	v_not_b32_e32 v13, v13
	s_brev_b32 s9, 1
	v_xor_b32_e32 v11, v12, v11
	v_xor_b32_e32 v10, v13, v10
	v_cmp_ne_u64_e32 vcc, s[8:9], v[10:11]
	s_mov_b32 s10, s22
	v_mov_b32_e32 v12, v1
	v_cndmask_b32_e32 v11, v3, v11, vcc
	v_cndmask_b32_e32 v10, -1, v10, vcc
	v_mov_b32_e32 v3, 1
	s_mov_b32 s11, s20
	s_branch .LBB146_24
.LBB146_23:                             ;   in Loop: Header=BB146_24 Depth=1
	s_or_b64 exec, exec, s[8:9]
	s_add_i32 s11, s11, 8
	s_add_i32 s10, s10, -8
	s_cmp_lt_u32 s11, s21
	v_add_u32_e32 v12, 0x1000, v12
	s_cbranch_scc0 .LBB146_26
.LBB146_24:                             ; =>This Inner Loop Header: Depth=1
	s_and_saveexec_b64 s[8:9], s[6:7]
	s_cbranch_execz .LBB146_23
; %bb.25:                               ;   in Loop: Header=BB146_24 Depth=1
	s_min_u32 s18, s10, 8
	v_lshrrev_b64 v[14:15], s11, v[10:11]
	v_bfe_u32 v13, v14, 0, s18
	v_lshl_add_u32 v13, v13, 4, v12
	ds_add_u32 v13, v3
	s_branch .LBB146_23
.LBB146_26:
	;; [unrolled: 35-line block ×4, first 2 shown]
	v_bfrev_b32_e32 v3, -2
	v_cmp_gt_i64_e32 vcc, 0, v[4:5]
	v_ashrrev_i32_e32 v7, 31, v5
	s_mov_b32 s2, 0
	v_cndmask_b32_e64 v6, v3, 0, vcc
	v_not_b32_e32 v7, v7
	s_brev_b32 s3, 1
	v_xor_b32_e32 v5, v6, v5
	v_xor_b32_e32 v4, v7, v4
	v_cmp_ne_u64_e32 vcc, s[2:3], v[4:5]
	s_mov_b32 s4, s20
	s_nop 0
	v_cndmask_b32_e32 v5, v3, v5, vcc
	v_cndmask_b32_e32 v4, -1, v4, vcc
	v_mov_b32_e32 v3, 1
	s_branch .LBB146_36
.LBB146_35:                             ;   in Loop: Header=BB146_36 Depth=1
	s_or_b64 exec, exec, s[2:3]
	s_add_i32 s4, s4, 8
	s_add_i32 s22, s22, -8
	s_cmp_lt_u32 s4, s21
	v_add_u32_e32 v1, 0x1000, v1
	s_cbranch_scc0 .LBB146_38
.LBB146_36:                             ; =>This Inner Loop Header: Depth=1
	s_and_saveexec_b64 s[2:3], s[0:1]
	s_cbranch_execz .LBB146_35
; %bb.37:                               ;   in Loop: Header=BB146_36 Depth=1
	s_min_u32 s5, s22, 8
	v_lshrrev_b64 v[6:7], s4, v[4:5]
	v_bfe_u32 v6, v6, 0, s5
	v_lshl_add_u32 v6, v6, 4, v1
	ds_add_u32 v6, v3
	s_branch .LBB146_35
.LBB146_38:
	s_and_b64 vcc, exec, s[16:17]
	s_waitcnt lgkmcnt(0)
	s_barrier
	s_cbranch_vccz .LBB146_43
; %bb.39:
	s_movk_i32 s0, 0x100
	v_cmp_gt_u32_e32 vcc, s0, v0
	v_lshlrev_b32_e32 v1, 4, v0
	s_waitcnt vmcnt(0)
	v_mov_b32_e32 v5, 0
	v_mov_b32_e32 v4, v0
	s_mov_b32 s2, s20
	s_branch .LBB146_41
.LBB146_40:                             ;   in Loop: Header=BB146_41 Depth=1
	s_or_b64 exec, exec, s[0:1]
	s_add_i32 s2, s2, 8
	v_add_u32_e32 v4, 0x100, v4
	s_cmp_lt_u32 s2, s21
	v_add_u32_e32 v1, 0x1000, v1
	s_cbranch_scc0 .LBB146_43
.LBB146_41:                             ; =>This Inner Loop Header: Depth=1
	s_and_saveexec_b64 s[0:1], vcc
	s_cbranch_execz .LBB146_40
; %bb.42:                               ;   in Loop: Header=BB146_41 Depth=1
	ds_read2_b32 v[6:7], v1 offset1:1
	ds_read2_b32 v[8:9], v1 offset0:2 offset1:3
	v_lshl_add_u64 v[10:11], v[4:5], 3, s[14:15]
	s_waitcnt lgkmcnt(1)
	v_add_u32_e32 v3, v7, v6
	s_waitcnt lgkmcnt(0)
	v_add3_u32 v6, v3, v8, v9
	v_mov_b32_e32 v7, v5
	global_atomic_add_x2 v[10:11], v[6:7], off
	s_branch .LBB146_40
.LBB146_43:
	s_mov_b64 s[0:1], 0
.LBB146_44:
	s_and_b64 vcc, exec, s[0:1]
	s_cbranch_vccz .LBB146_68
; %bb.45:
	v_mov_b32_e32 v3, 0
	s_waitcnt vmcnt(0)
	v_lshl_add_u64 v[6:7], s[12:13], 0, v[2:3]
	v_add_co_u32_e32 v14, vcc, 0x2000, v6
	s_cmp_eq_u32 s20, 0
	s_nop 0
	v_addc_co_u32_e32 v15, vcc, 0, v7, vcc
	v_add_co_u32_e32 v16, vcc, 0x4000, v6
	s_cselect_b64 s[0:1], -1, 0
	s_nop 0
	v_addc_co_u32_e32 v17, vcc, 0, v7, vcc
	v_add_co_u32_e32 v18, vcc, 0x6000, v6
	s_cmp_eq_u32 s21, 64
	s_nop 0
	v_addc_co_u32_e32 v19, vcc, 0, v7, vcc
	v_add_co_u32_e32 v20, vcc, 0x8000, v6
	s_cselect_b64 s[2:3], -1, 0
	s_nop 0
	v_addc_co_u32_e32 v21, vcc, 0, v7, vcc
	global_load_dwordx2 v[12:13], v[14:15], off
	global_load_dwordx2 v[10:11], v[16:17], off
	;; [unrolled: 1-line block ×4, first 2 shown]
	v_add_co_u32_e32 v16, vcc, 0xa000, v6
	s_and_b64 s[2:3], s[0:1], s[2:3]
	s_nop 0
	v_addc_co_u32_e32 v17, vcc, 0, v7, vcc
	global_load_dwordx2 v[14:15], v2, s[12:13]
	global_load_dwordx2 v[6:7], v[16:17], off
	s_mov_b64 s[0:1], -1
	s_and_b64 vcc, exec, s[2:3]
	v_lshlrev_b32_e32 v1, 2, v0
	s_cbranch_vccnz .LBB146_65
; %bb.46:
	s_cmp_gt_u32 s21, s20
	s_cselect_b64 s[0:1], -1, 0
	s_and_b64 vcc, exec, s[0:1]
	ds_write2st64_b32 v1, v3, v3 offset1:16
	ds_write2st64_b32 v1, v3, v3 offset0:32 offset1:48
	ds_write2st64_b32 v1, v3, v3 offset0:64 offset1:80
	;; [unrolled: 1-line block ×3, first 2 shown]
	s_waitcnt lgkmcnt(0)
	s_barrier
	s_cbranch_vccz .LBB146_59
; %bb.47:
	v_bfrev_b32_e32 v18, -2
	s_waitcnt vmcnt(1)
	v_cmp_gt_i64_e32 vcc, 0, v[14:15]
	v_ashrrev_i32_e32 v17, 31, v15
	s_mov_b32 s2, 0
	v_cndmask_b32_e64 v16, v18, 0, vcc
	v_not_b32_e32 v19, v17
	v_and_b32_e32 v3, 3, v0
	s_brev_b32 s3, 1
	v_xor_b32_e32 v17, v16, v15
	v_xor_b32_e32 v16, v19, v14
	v_cmp_ne_u64_e32 vcc, s[2:3], v[16:17]
	v_lshlrev_b32_e32 v3, 2, v3
	s_sub_i32 s2, s21, s20
	v_cndmask_b32_e32 v17, v18, v17, vcc
	v_cndmask_b32_e32 v16, -1, v16, vcc
	v_mov_b32_e32 v18, 1
	s_mov_b32 s3, s2
	v_mov_b32_e32 v19, v3
	s_mov_b32 s4, s20
.LBB146_48:                             ; =>This Inner Loop Header: Depth=1
	s_min_u32 s5, s3, 8
	v_lshrrev_b64 v[20:21], s4, v[16:17]
	v_bfe_u32 v20, v20, 0, s5
	v_lshl_add_u32 v20, v20, 4, v19
	ds_add_u32 v20, v18
	s_add_i32 s4, s4, 8
	s_add_i32 s3, s3, -8
	s_cmp_ge_u32 s4, s21
	v_add_u32_e32 v19, 0x1000, v19
	s_cbranch_scc0 .LBB146_48
; %bb.49:
	v_bfrev_b32_e32 v18, -2
	v_cmp_gt_i64_e32 vcc, 0, v[12:13]
	v_ashrrev_i32_e32 v17, 31, v13
	s_mov_b32 s4, 0
	v_cndmask_b32_e64 v16, v18, 0, vcc
	v_not_b32_e32 v19, v17
	s_brev_b32 s5, 1
	v_xor_b32_e32 v17, v16, v13
	v_xor_b32_e32 v16, v19, v12
	v_cmp_ne_u64_e32 vcc, s[4:5], v[16:17]
	s_mov_b32 s3, s2
	v_mov_b32_e32 v19, v3
	v_cndmask_b32_e32 v17, v18, v17, vcc
	v_cndmask_b32_e32 v16, -1, v16, vcc
	v_mov_b32_e32 v18, 1
	s_mov_b32 s4, s20
.LBB146_50:                             ; =>This Inner Loop Header: Depth=1
	s_min_u32 s5, s3, 8
	v_lshrrev_b64 v[20:21], s4, v[16:17]
	v_bfe_u32 v20, v20, 0, s5
	v_lshl_add_u32 v20, v20, 4, v19
	ds_add_u32 v20, v18
	s_add_i32 s4, s4, 8
	s_add_i32 s3, s3, -8
	s_cmp_lt_u32 s4, s21
	v_add_u32_e32 v19, 0x1000, v19
	s_cbranch_scc1 .LBB146_50
; %bb.51:
	v_bfrev_b32_e32 v18, -2
	v_cmp_gt_i64_e32 vcc, 0, v[10:11]
	v_ashrrev_i32_e32 v17, 31, v11
	s_mov_b32 s4, 0
	v_cndmask_b32_e64 v16, v18, 0, vcc
	v_not_b32_e32 v19, v17
	s_brev_b32 s5, 1
	v_xor_b32_e32 v17, v16, v11
	v_xor_b32_e32 v16, v19, v10
	v_cmp_ne_u64_e32 vcc, s[4:5], v[16:17]
	s_mov_b32 s3, s2
	v_mov_b32_e32 v19, v3
	v_cndmask_b32_e32 v17, v18, v17, vcc
	v_cndmask_b32_e32 v16, -1, v16, vcc
	v_mov_b32_e32 v18, 1
	s_mov_b32 s4, s20
.LBB146_52:                             ; =>This Inner Loop Header: Depth=1
	s_min_u32 s5, s3, 8
	v_lshrrev_b64 v[20:21], s4, v[16:17]
	v_bfe_u32 v20, v20, 0, s5
	v_lshl_add_u32 v20, v20, 4, v19
	ds_add_u32 v20, v18
	s_add_i32 s4, s4, 8
	s_add_i32 s3, s3, -8
	s_cmp_lt_u32 s4, s21
	v_add_u32_e32 v19, 0x1000, v19
	s_cbranch_scc1 .LBB146_52
	;; [unrolled: 28-line block ×4, first 2 shown]
; %bb.57:
	v_bfrev_b32_e32 v18, -2
	s_waitcnt vmcnt(0)
	v_cmp_gt_i64_e32 vcc, 0, v[6:7]
	v_ashrrev_i32_e32 v17, 31, v7
	s_mov_b32 s4, 0
	v_cndmask_b32_e64 v16, v18, 0, vcc
	v_not_b32_e32 v19, v17
	s_brev_b32 s5, 1
	v_xor_b32_e32 v17, v16, v7
	v_xor_b32_e32 v16, v19, v6
	v_cmp_ne_u64_e32 vcc, s[4:5], v[16:17]
	s_mov_b32 s3, s20
	s_nop 0
	v_cndmask_b32_e32 v17, v18, v17, vcc
	v_cndmask_b32_e32 v16, -1, v16, vcc
	v_mov_b32_e32 v18, 1
.LBB146_58:                             ; =>This Inner Loop Header: Depth=1
	s_min_u32 s4, s2, 8
	v_lshrrev_b64 v[20:21], s3, v[16:17]
	v_bfe_u32 v19, v20, 0, s4
	v_lshl_add_u32 v19, v19, 4, v3
	ds_add_u32 v19, v18
	s_add_i32 s3, s3, 8
	s_add_i32 s2, s2, -8
	s_cmp_lt_u32 s3, s21
	v_add_u32_e32 v3, 0x1000, v3
	s_cbranch_scc1 .LBB146_58
.LBB146_59:
	s_and_b64 vcc, exec, s[0:1]
	s_waitcnt lgkmcnt(0)
	s_barrier
	s_cbranch_vccz .LBB146_64
; %bb.60:
	s_movk_i32 s0, 0x100
	v_cmp_gt_u32_e32 vcc, s0, v0
	v_lshlrev_b32_e32 v3, 4, v0
	v_mov_b32_e32 v17, 0
	v_mov_b32_e32 v16, v0
	s_branch .LBB146_62
.LBB146_61:                             ;   in Loop: Header=BB146_62 Depth=1
	s_or_b64 exec, exec, s[0:1]
	s_add_i32 s20, s20, 8
	v_add_u32_e32 v16, 0x100, v16
	s_cmp_ge_u32 s20, s21
	v_add_u32_e32 v3, 0x1000, v3
	s_cbranch_scc1 .LBB146_64
.LBB146_62:                             ; =>This Inner Loop Header: Depth=1
	s_and_saveexec_b64 s[0:1], vcc
	s_cbranch_execz .LBB146_61
; %bb.63:                               ;   in Loop: Header=BB146_62 Depth=1
	ds_read2_b32 v[18:19], v3 offset1:1
	ds_read2_b32 v[20:21], v3 offset0:2 offset1:3
	v_lshl_add_u64 v[22:23], v[16:17], 3, s[14:15]
	s_waitcnt lgkmcnt(1)
	v_add_u32_e32 v18, v19, v18
	s_waitcnt lgkmcnt(0)
	v_add3_u32 v18, v18, v20, v21
	v_mov_b32_e32 v19, v17
	global_atomic_add_x2 v[22:23], v[18:19], off
	s_branch .LBB146_61
.LBB146_64:
	s_mov_b64 s[0:1], 0
.LBB146_65:
	s_and_b64 vcc, exec, s[0:1]
	s_cbranch_vccz .LBB146_68
; %bb.66:
	s_waitcnt vmcnt(1)
	v_ashrrev_i32_e32 v17, 31, v15
	v_not_b32_e32 v17, v17
	v_mov_b32_e32 v3, 0
	v_cmp_gt_i64_e32 vcc, 0, v[14:15]
	v_xor_b32_e32 v14, v17, v14
	v_ashrrev_i32_e32 v17, 31, v13
	ds_write2st64_b32 v1, v3, v3 offset1:16
	ds_write2st64_b32 v1, v3, v3 offset0:32 offset1:48
	ds_write2st64_b32 v1, v3, v3 offset0:64 offset1:80
	ds_write2st64_b32 v1, v3, v3 offset0:96 offset1:112
	v_bfrev_b32_e32 v1, -2
	v_not_b32_e32 v17, v17
	v_cndmask_b32_e64 v16, v1, 0, vcc
	v_cmp_gt_i64_e32 vcc, 0, v[12:13]
	v_xor_b32_e32 v12, v17, v12
	v_ashrrev_i32_e32 v17, 31, v11
	v_xor_b32_e32 v15, v16, v15
	v_cndmask_b32_e64 v16, v1, 0, vcc
	v_cmp_gt_i64_e32 vcc, 0, v[10:11]
	v_not_b32_e32 v17, v17
	v_xor_b32_e32 v13, v16, v13
	v_cndmask_b32_e64 v16, v1, 0, vcc
	v_xor_b32_e32 v10, v17, v10
	v_cmp_gt_i64_e32 vcc, 0, v[8:9]
	v_ashrrev_i32_e32 v17, 31, v9
	v_xor_b32_e32 v11, v16, v11
	v_cndmask_b32_e64 v16, v1, 0, vcc
	v_not_b32_e32 v18, v17
	v_cmp_gt_i64_e32 vcc, 0, v[4:5]
	v_xor_b32_e32 v17, v16, v9
	v_xor_b32_e32 v16, v18, v8
	v_cndmask_b32_e64 v8, v1, 0, vcc
	v_ashrrev_i32_e32 v9, 31, v5
	s_mov_b32 s0, 0
	v_not_b32_e32 v18, v9
	v_xor_b32_e32 v9, v8, v5
	s_waitcnt vmcnt(0)
	v_cmp_gt_i64_e32 vcc, 0, v[6:7]
	v_ashrrev_i32_e32 v5, 31, v7
	s_brev_b32 s1, 1
	v_xor_b32_e32 v8, v18, v4
	v_cndmask_b32_e64 v4, v1, 0, vcc
	v_not_b32_e32 v18, v5
	v_cmp_ne_u64_e32 vcc, s[0:1], v[14:15]
	v_xor_b32_e32 v5, v4, v7
	v_xor_b32_e32 v4, v18, v6
	v_and_b32_e32 v6, 3, v0
	v_cndmask_b32_e32 v14, -1, v14, vcc
	v_cndmask_b32_e32 v7, v1, v15, vcc
	v_lshlrev_b32_e32 v15, 4, v14
	v_lshlrev_b32_e32 v6, 2, v6
	s_movk_i32 s2, 0xff0
	v_and_or_b32 v15, v15, s2, v6
	v_mov_b32_e32 v18, 1
	s_waitcnt lgkmcnt(0)
	s_barrier
	ds_add_u32 v15, v18
	v_bfe_u32 v15, v14, 8, 8
	v_lshl_or_b32 v15, v15, 4, v6
	ds_add_u32 v15, v18 offset:4096
	v_bfe_u32 v15, v14, 16, 8
	v_lshl_or_b32 v15, v15, 4, v6
	ds_add_u32 v15, v18 offset:8192
	v_lshrrev_b32_e32 v15, 24, v14
	v_alignbit_b32 v14, v7, v14, 30
	v_lshl_or_b32 v15, v15, 4, v6
	v_and_b32_e32 v14, 0x3fc, v14
	ds_add_u32 v15, v18 offset:12288
	v_lshl_or_b32 v14, v14, 2, v6
	ds_add_u32 v14, v18 offset:16384
	v_bfe_u32 v14, v7, 8, 8
	v_lshl_or_b32 v14, v14, 4, v6
	ds_add_u32 v14, v18 offset:20480
	v_bfe_u32 v14, v7, 16, 8
	v_lshl_or_b32 v14, v14, 4, v6
	v_lshrrev_b32_e32 v7, 24, v7
	v_cmp_ne_u64_e32 vcc, s[0:1], v[12:13]
	ds_add_u32 v14, v18 offset:24576
	v_lshl_or_b32 v7, v7, 4, v6
	v_cndmask_b32_e32 v12, -1, v12, vcc
	ds_add_u32 v7, v18 offset:28672
	v_cndmask_b32_e32 v7, v1, v13, vcc
	v_lshlrev_b32_e32 v13, 4, v12
	v_and_or_b32 v13, v13, s2, v6
	ds_add_u32 v13, v18
	v_bfe_u32 v13, v12, 8, 8
	v_lshl_or_b32 v13, v13, 4, v6
	ds_add_u32 v13, v18 offset:4096
	v_bfe_u32 v13, v12, 16, 8
	v_lshl_or_b32 v13, v13, 4, v6
	ds_add_u32 v13, v18 offset:8192
	v_lshrrev_b32_e32 v13, 24, v12
	v_alignbit_b32 v12, v7, v12, 30
	v_lshl_or_b32 v13, v13, 4, v6
	v_and_b32_e32 v12, 0x3fc, v12
	ds_add_u32 v13, v18 offset:12288
	v_lshl_or_b32 v12, v12, 2, v6
	ds_add_u32 v12, v18 offset:16384
	v_bfe_u32 v12, v7, 8, 8
	v_lshl_or_b32 v12, v12, 4, v6
	ds_add_u32 v12, v18 offset:20480
	v_bfe_u32 v12, v7, 16, 8
	v_lshl_or_b32 v12, v12, 4, v6
	v_lshrrev_b32_e32 v7, 24, v7
	v_cmp_ne_u64_e32 vcc, s[0:1], v[10:11]
	ds_add_u32 v12, v18 offset:24576
	v_lshl_or_b32 v7, v7, 4, v6
	v_cndmask_b32_e32 v10, -1, v10, vcc
	ds_add_u32 v7, v18 offset:28672
	v_cndmask_b32_e32 v7, v1, v11, vcc
	v_lshlrev_b32_e32 v11, 4, v10
	v_and_or_b32 v11, v11, s2, v6
	ds_add_u32 v11, v18
	v_bfe_u32 v11, v10, 8, 8
	v_lshl_or_b32 v11, v11, 4, v6
	ds_add_u32 v11, v18 offset:4096
	v_bfe_u32 v11, v10, 16, 8
	v_lshl_or_b32 v11, v11, 4, v6
	ds_add_u32 v11, v18 offset:8192
	v_lshrrev_b32_e32 v11, 24, v10
	v_alignbit_b32 v10, v7, v10, 30
	v_lshl_or_b32 v11, v11, 4, v6
	v_and_b32_e32 v10, 0x3fc, v10
	ds_add_u32 v11, v18 offset:12288
	v_lshl_or_b32 v10, v10, 2, v6
	ds_add_u32 v10, v18 offset:16384
	v_bfe_u32 v10, v7, 8, 8
	v_lshl_or_b32 v10, v10, 4, v6
	ds_add_u32 v10, v18 offset:20480
	v_bfe_u32 v10, v7, 16, 8
	v_lshl_or_b32 v10, v10, 4, v6
	v_cmp_ne_u64_e32 vcc, s[0:1], v[16:17]
	ds_add_u32 v10, v18 offset:24576
	v_lshrrev_b32_e32 v7, 24, v7
	v_cndmask_b32_e32 v10, -1, v16, vcc
	v_lshl_or_b32 v7, v7, 4, v6
	v_lshlrev_b32_e32 v11, 4, v10
	ds_add_u32 v7, v18 offset:28672
	v_and_or_b32 v11, v11, s2, v6
	ds_add_u32 v11, v18
	v_bfe_u32 v11, v10, 8, 8
	v_lshl_or_b32 v11, v11, 4, v6
	ds_add_u32 v11, v18 offset:4096
	v_bfe_u32 v11, v10, 16, 8
	v_cndmask_b32_e32 v7, v1, v17, vcc
	v_lshl_or_b32 v11, v11, 4, v6
	ds_add_u32 v11, v18 offset:8192
	v_lshrrev_b32_e32 v11, 24, v10
	v_alignbit_b32 v10, v7, v10, 30
	v_lshl_or_b32 v11, v11, 4, v6
	v_and_b32_e32 v10, 0x3fc, v10
	ds_add_u32 v11, v18 offset:12288
	v_lshl_or_b32 v10, v10, 2, v6
	ds_add_u32 v10, v18 offset:16384
	v_bfe_u32 v10, v7, 8, 8
	v_lshl_or_b32 v10, v10, 4, v6
	ds_add_u32 v10, v18 offset:20480
	v_bfe_u32 v10, v7, 16, 8
	v_lshl_or_b32 v10, v10, 4, v6
	v_lshrrev_b32_e32 v7, 24, v7
	v_cmp_ne_u64_e32 vcc, s[0:1], v[8:9]
	ds_add_u32 v10, v18 offset:24576
	v_lshl_or_b32 v7, v7, 4, v6
	v_cndmask_b32_e32 v8, -1, v8, vcc
	ds_add_u32 v7, v18 offset:28672
	v_cndmask_b32_e32 v7, v1, v9, vcc
	v_lshlrev_b32_e32 v9, 4, v8
	v_and_or_b32 v9, v9, s2, v6
	ds_add_u32 v9, v18
	v_bfe_u32 v9, v8, 8, 8
	v_lshl_or_b32 v9, v9, 4, v6
	ds_add_u32 v9, v18 offset:4096
	v_bfe_u32 v9, v8, 16, 8
	v_lshl_or_b32 v9, v9, 4, v6
	ds_add_u32 v9, v18 offset:8192
	v_lshrrev_b32_e32 v9, 24, v8
	v_alignbit_b32 v8, v7, v8, 30
	v_lshl_or_b32 v9, v9, 4, v6
	v_and_b32_e32 v8, 0x3fc, v8
	ds_add_u32 v9, v18 offset:12288
	v_lshl_or_b32 v8, v8, 2, v6
	ds_add_u32 v8, v18 offset:16384
	v_bfe_u32 v8, v7, 8, 8
	v_lshl_or_b32 v8, v8, 4, v6
	ds_add_u32 v8, v18 offset:20480
	v_bfe_u32 v8, v7, 16, 8
	v_cmp_ne_u64_e32 vcc, s[0:1], v[4:5]
	v_lshl_or_b32 v8, v8, 4, v6
	v_lshrrev_b32_e32 v7, 24, v7
	v_cndmask_b32_e32 v4, -1, v4, vcc
	ds_add_u32 v8, v18 offset:24576
	v_lshl_or_b32 v7, v7, 4, v6
	v_cndmask_b32_e32 v1, v1, v5, vcc
	v_lshlrev_b32_e32 v5, 4, v4
	ds_add_u32 v7, v18 offset:28672
	v_and_or_b32 v5, v5, s2, v6
	ds_add_u32 v5, v18
	v_bfe_u32 v5, v4, 8, 8
	v_lshl_or_b32 v5, v5, 4, v6
	ds_add_u32 v5, v18 offset:4096
	v_bfe_u32 v5, v4, 16, 8
	v_lshl_or_b32 v5, v5, 4, v6
	ds_add_u32 v5, v18 offset:8192
	v_lshrrev_b32_e32 v5, 24, v4
	v_alignbit_b32 v4, v1, v4, 30
	v_lshl_or_b32 v5, v5, 4, v6
	v_and_b32_e32 v4, 0x3fc, v4
	ds_add_u32 v5, v18 offset:12288
	v_lshl_or_b32 v4, v4, 2, v6
	ds_add_u32 v4, v18 offset:16384
	v_bfe_u32 v4, v1, 8, 8
	v_lshl_or_b32 v4, v4, 4, v6
	ds_add_u32 v4, v18 offset:20480
	v_bfe_u32 v4, v1, 16, 8
	v_lshl_or_b32 v4, v4, 4, v6
	v_lshrrev_b32_e32 v1, 24, v1
	ds_add_u32 v4, v18 offset:24576
	v_lshl_or_b32 v1, v1, 4, v6
	ds_add_u32 v1, v18 offset:28672
	s_movk_i32 s0, 0x100
	v_cmp_gt_u32_e32 vcc, s0, v0
	s_waitcnt lgkmcnt(0)
	s_barrier
	s_and_saveexec_b64 s[0:1], vcc
	s_cbranch_execz .LBB146_68
; %bb.67:
	v_lshlrev_b32_e32 v12, 4, v0
	ds_read2_b32 v[0:1], v12 offset1:1
	ds_read2_b32 v[4:5], v12 offset0:2 offset1:3
	v_mov_b32_e32 v7, v3
	v_add_u32_e32 v8, 0x1000, v12
	v_add_u32_e32 v9, 0x1008, v12
	s_waitcnt lgkmcnt(1)
	v_add_u32_e32 v0, v1, v0
	s_waitcnt lgkmcnt(0)
	v_add3_u32 v6, v0, v4, v5
	global_atomic_add_x2 v2, v[6:7], s[14:15]
	ds_read2_b32 v[0:1], v8 offset1:1
	ds_read2_b32 v[4:5], v9 offset1:1
	v_add_u32_e32 v8, 0x2000, v12
	v_add_u32_e32 v9, 0x2008, v12
	s_movk_i32 s1, 0x2000
	s_waitcnt lgkmcnt(1)
	v_add_u32_e32 v0, v1, v0
	s_waitcnt lgkmcnt(0)
	v_add3_u32 v6, v0, v4, v5
	global_atomic_add_x2 v2, v[6:7], s[14:15] offset:2048
	ds_read2_b32 v[0:1], v8 offset1:1
	ds_read2_b32 v[4:5], v9 offset1:1
	v_lshl_add_u64 v[6:7], s[14:15], 0, v[2:3]
	v_add_u32_e32 v8, 0x3008, v12
	s_movk_i32 s0, 0x1000
	s_waitcnt lgkmcnt(1)
	v_add_u32_e32 v0, v1, v0
	s_waitcnt lgkmcnt(0)
	v_add3_u32 v2, v0, v4, v5
	v_add_co_u32_e32 v0, vcc, s1, v6
	s_nop 1
	v_addc_co_u32_e32 v1, vcc, 0, v7, vcc
	global_atomic_add_x2 v[0:1], v[2:3], off offset:-4096
	v_add_u32_e32 v2, 0x3000, v12
	ds_read2_b32 v[4:5], v2 offset1:1
	ds_read2_b32 v[8:9], v8 offset1:1
	v_add_co_u32_e32 v10, vcc, s0, v6
	s_movk_i32 s0, 0x3000
	s_waitcnt lgkmcnt(1)
	v_add_u32_e32 v2, v5, v4
	v_addc_co_u32_e32 v11, vcc, 0, v7, vcc
	s_waitcnt lgkmcnt(0)
	v_add3_u32 v2, v2, v8, v9
	global_atomic_add_x2 v[10:11], v[2:3], off offset:2048
	v_or_b32_e32 v2, 0x4000, v12
	v_or_b32_e32 v8, 0x4008, v12
	ds_read2_b32 v[4:5], v2 offset1:1
	ds_read2_b32 v[8:9], v8 offset1:1
	s_waitcnt lgkmcnt(1)
	v_add_u32_e32 v2, v5, v4
	s_waitcnt lgkmcnt(0)
	v_add3_u32 v2, v2, v8, v9
	global_atomic_add_x2 v[0:1], v[2:3], off
	v_add_u32_e32 v2, 0x5000, v12
	v_add_u32_e32 v8, 0x5008, v12
	ds_read2_b32 v[4:5], v2 offset1:1
	ds_read2_b32 v[8:9], v8 offset1:1
	s_waitcnt lgkmcnt(1)
	v_add_u32_e32 v2, v5, v4
	s_waitcnt lgkmcnt(0)
	v_add3_u32 v2, v2, v8, v9
	global_atomic_add_x2 v[0:1], v[2:3], off offset:2048
	v_add_u32_e32 v0, 0x6000, v12
	v_add_u32_e32 v2, 0x6008, v12
	ds_read2_b32 v[0:1], v0 offset1:1
	ds_read2_b32 v[4:5], v2 offset1:1
	s_waitcnt lgkmcnt(1)
	v_add_u32_e32 v0, v1, v0
	s_waitcnt lgkmcnt(0)
	v_add3_u32 v2, v0, v4, v5
	v_add_co_u32_e32 v0, vcc, s0, v6
	v_add_u32_e32 v6, 0x7008, v12
	s_nop 0
	v_addc_co_u32_e32 v1, vcc, 0, v7, vcc
	global_atomic_add_x2 v[0:1], v[2:3], off
	v_add_u32_e32 v2, 0x7000, v12
	ds_read2_b32 v[4:5], v2 offset1:1
	ds_read2_b32 v[6:7], v6 offset1:1
	s_waitcnt lgkmcnt(1)
	v_add_u32_e32 v2, v5, v4
	s_waitcnt lgkmcnt(0)
	v_add3_u32 v2, v2, v6, v7
	global_atomic_add_x2 v[0:1], v[2:3], off offset:2048
.LBB146_68:
	s_endpgm
	.section	.rodata,"a",@progbits
	.p2align	6, 0x0
	.amdhsa_kernel _ZN7rocprim17ROCPRIM_304000_NS6detail26onesweep_histograms_kernelINS1_34wrapped_radix_sort_onesweep_configINS0_14default_configEdN2at4cuda3cub6detail10OpaqueTypeILi8EEEEELb1EPKdmNS0_19identity_decomposerEEEvT1_PT2_SG_SG_T3_jj
		.amdhsa_group_segment_fixed_size 32768
		.amdhsa_private_segment_fixed_size 0
		.amdhsa_kernarg_size 44
		.amdhsa_user_sgpr_count 2
		.amdhsa_user_sgpr_dispatch_ptr 0
		.amdhsa_user_sgpr_queue_ptr 0
		.amdhsa_user_sgpr_kernarg_segment_ptr 1
		.amdhsa_user_sgpr_dispatch_id 0
		.amdhsa_user_sgpr_kernarg_preload_length 0
		.amdhsa_user_sgpr_kernarg_preload_offset 0
		.amdhsa_user_sgpr_private_segment_size 0
		.amdhsa_uses_dynamic_stack 0
		.amdhsa_enable_private_segment 0
		.amdhsa_system_sgpr_workgroup_id_x 1
		.amdhsa_system_sgpr_workgroup_id_y 0
		.amdhsa_system_sgpr_workgroup_id_z 0
		.amdhsa_system_sgpr_workgroup_info 0
		.amdhsa_system_vgpr_workitem_id 0
		.amdhsa_next_free_vgpr 24
		.amdhsa_next_free_sgpr 26
		.amdhsa_accum_offset 24
		.amdhsa_reserve_vcc 1
		.amdhsa_float_round_mode_32 0
		.amdhsa_float_round_mode_16_64 0
		.amdhsa_float_denorm_mode_32 3
		.amdhsa_float_denorm_mode_16_64 3
		.amdhsa_dx10_clamp 1
		.amdhsa_ieee_mode 1
		.amdhsa_fp16_overflow 0
		.amdhsa_tg_split 0
		.amdhsa_exception_fp_ieee_invalid_op 0
		.amdhsa_exception_fp_denorm_src 0
		.amdhsa_exception_fp_ieee_div_zero 0
		.amdhsa_exception_fp_ieee_overflow 0
		.amdhsa_exception_fp_ieee_underflow 0
		.amdhsa_exception_fp_ieee_inexact 0
		.amdhsa_exception_int_div_zero 0
	.end_amdhsa_kernel
	.section	.text._ZN7rocprim17ROCPRIM_304000_NS6detail26onesweep_histograms_kernelINS1_34wrapped_radix_sort_onesweep_configINS0_14default_configEdN2at4cuda3cub6detail10OpaqueTypeILi8EEEEELb1EPKdmNS0_19identity_decomposerEEEvT1_PT2_SG_SG_T3_jj,"axG",@progbits,_ZN7rocprim17ROCPRIM_304000_NS6detail26onesweep_histograms_kernelINS1_34wrapped_radix_sort_onesweep_configINS0_14default_configEdN2at4cuda3cub6detail10OpaqueTypeILi8EEEEELb1EPKdmNS0_19identity_decomposerEEEvT1_PT2_SG_SG_T3_jj,comdat
.Lfunc_end146:
	.size	_ZN7rocprim17ROCPRIM_304000_NS6detail26onesweep_histograms_kernelINS1_34wrapped_radix_sort_onesweep_configINS0_14default_configEdN2at4cuda3cub6detail10OpaqueTypeILi8EEEEELb1EPKdmNS0_19identity_decomposerEEEvT1_PT2_SG_SG_T3_jj, .Lfunc_end146-_ZN7rocprim17ROCPRIM_304000_NS6detail26onesweep_histograms_kernelINS1_34wrapped_radix_sort_onesweep_configINS0_14default_configEdN2at4cuda3cub6detail10OpaqueTypeILi8EEEEELb1EPKdmNS0_19identity_decomposerEEEvT1_PT2_SG_SG_T3_jj
                                        ; -- End function
	.set _ZN7rocprim17ROCPRIM_304000_NS6detail26onesweep_histograms_kernelINS1_34wrapped_radix_sort_onesweep_configINS0_14default_configEdN2at4cuda3cub6detail10OpaqueTypeILi8EEEEELb1EPKdmNS0_19identity_decomposerEEEvT1_PT2_SG_SG_T3_jj.num_vgpr, 24
	.set _ZN7rocprim17ROCPRIM_304000_NS6detail26onesweep_histograms_kernelINS1_34wrapped_radix_sort_onesweep_configINS0_14default_configEdN2at4cuda3cub6detail10OpaqueTypeILi8EEEEELb1EPKdmNS0_19identity_decomposerEEEvT1_PT2_SG_SG_T3_jj.num_agpr, 0
	.set _ZN7rocprim17ROCPRIM_304000_NS6detail26onesweep_histograms_kernelINS1_34wrapped_radix_sort_onesweep_configINS0_14default_configEdN2at4cuda3cub6detail10OpaqueTypeILi8EEEEELb1EPKdmNS0_19identity_decomposerEEEvT1_PT2_SG_SG_T3_jj.numbered_sgpr, 26
	.set _ZN7rocprim17ROCPRIM_304000_NS6detail26onesweep_histograms_kernelINS1_34wrapped_radix_sort_onesweep_configINS0_14default_configEdN2at4cuda3cub6detail10OpaqueTypeILi8EEEEELb1EPKdmNS0_19identity_decomposerEEEvT1_PT2_SG_SG_T3_jj.num_named_barrier, 0
	.set _ZN7rocprim17ROCPRIM_304000_NS6detail26onesweep_histograms_kernelINS1_34wrapped_radix_sort_onesweep_configINS0_14default_configEdN2at4cuda3cub6detail10OpaqueTypeILi8EEEEELb1EPKdmNS0_19identity_decomposerEEEvT1_PT2_SG_SG_T3_jj.private_seg_size, 0
	.set _ZN7rocprim17ROCPRIM_304000_NS6detail26onesweep_histograms_kernelINS1_34wrapped_radix_sort_onesweep_configINS0_14default_configEdN2at4cuda3cub6detail10OpaqueTypeILi8EEEEELb1EPKdmNS0_19identity_decomposerEEEvT1_PT2_SG_SG_T3_jj.uses_vcc, 1
	.set _ZN7rocprim17ROCPRIM_304000_NS6detail26onesweep_histograms_kernelINS1_34wrapped_radix_sort_onesweep_configINS0_14default_configEdN2at4cuda3cub6detail10OpaqueTypeILi8EEEEELb1EPKdmNS0_19identity_decomposerEEEvT1_PT2_SG_SG_T3_jj.uses_flat_scratch, 0
	.set _ZN7rocprim17ROCPRIM_304000_NS6detail26onesweep_histograms_kernelINS1_34wrapped_radix_sort_onesweep_configINS0_14default_configEdN2at4cuda3cub6detail10OpaqueTypeILi8EEEEELb1EPKdmNS0_19identity_decomposerEEEvT1_PT2_SG_SG_T3_jj.has_dyn_sized_stack, 0
	.set _ZN7rocprim17ROCPRIM_304000_NS6detail26onesweep_histograms_kernelINS1_34wrapped_radix_sort_onesweep_configINS0_14default_configEdN2at4cuda3cub6detail10OpaqueTypeILi8EEEEELb1EPKdmNS0_19identity_decomposerEEEvT1_PT2_SG_SG_T3_jj.has_recursion, 0
	.set _ZN7rocprim17ROCPRIM_304000_NS6detail26onesweep_histograms_kernelINS1_34wrapped_radix_sort_onesweep_configINS0_14default_configEdN2at4cuda3cub6detail10OpaqueTypeILi8EEEEELb1EPKdmNS0_19identity_decomposerEEEvT1_PT2_SG_SG_T3_jj.has_indirect_call, 0
	.section	.AMDGPU.csdata,"",@progbits
; Kernel info:
; codeLenInByte = 4672
; TotalNumSgprs: 32
; NumVgprs: 24
; NumAgprs: 0
; TotalNumVgprs: 24
; ScratchSize: 0
; MemoryBound: 0
; FloatMode: 240
; IeeeMode: 1
; LDSByteSize: 32768 bytes/workgroup (compile time only)
; SGPRBlocks: 3
; VGPRBlocks: 2
; NumSGPRsForWavesPerEU: 32
; NumVGPRsForWavesPerEU: 24
; AccumOffset: 24
; Occupancy: 8
; WaveLimiterHint : 1
; COMPUTE_PGM_RSRC2:SCRATCH_EN: 0
; COMPUTE_PGM_RSRC2:USER_SGPR: 2
; COMPUTE_PGM_RSRC2:TRAP_HANDLER: 0
; COMPUTE_PGM_RSRC2:TGID_X_EN: 1
; COMPUTE_PGM_RSRC2:TGID_Y_EN: 0
; COMPUTE_PGM_RSRC2:TGID_Z_EN: 0
; COMPUTE_PGM_RSRC2:TIDIG_COMP_CNT: 0
; COMPUTE_PGM_RSRC3_GFX90A:ACCUM_OFFSET: 5
; COMPUTE_PGM_RSRC3_GFX90A:TG_SPLIT: 0
	.section	.text._ZN7rocprim17ROCPRIM_304000_NS6detail31onesweep_scan_histograms_kernelINS1_34wrapped_radix_sort_onesweep_configINS0_14default_configEdN2at4cuda3cub6detail10OpaqueTypeILi8EEEEEmEEvPT0_,"axG",@progbits,_ZN7rocprim17ROCPRIM_304000_NS6detail31onesweep_scan_histograms_kernelINS1_34wrapped_radix_sort_onesweep_configINS0_14default_configEdN2at4cuda3cub6detail10OpaqueTypeILi8EEEEEmEEvPT0_,comdat
	.protected	_ZN7rocprim17ROCPRIM_304000_NS6detail31onesweep_scan_histograms_kernelINS1_34wrapped_radix_sort_onesweep_configINS0_14default_configEdN2at4cuda3cub6detail10OpaqueTypeILi8EEEEEmEEvPT0_ ; -- Begin function _ZN7rocprim17ROCPRIM_304000_NS6detail31onesweep_scan_histograms_kernelINS1_34wrapped_radix_sort_onesweep_configINS0_14default_configEdN2at4cuda3cub6detail10OpaqueTypeILi8EEEEEmEEvPT0_
	.globl	_ZN7rocprim17ROCPRIM_304000_NS6detail31onesweep_scan_histograms_kernelINS1_34wrapped_radix_sort_onesweep_configINS0_14default_configEdN2at4cuda3cub6detail10OpaqueTypeILi8EEEEEmEEvPT0_
	.p2align	8
	.type	_ZN7rocprim17ROCPRIM_304000_NS6detail31onesweep_scan_histograms_kernelINS1_34wrapped_radix_sort_onesweep_configINS0_14default_configEdN2at4cuda3cub6detail10OpaqueTypeILi8EEEEEmEEvPT0_,@function
_ZN7rocprim17ROCPRIM_304000_NS6detail31onesweep_scan_histograms_kernelINS1_34wrapped_radix_sort_onesweep_configINS0_14default_configEdN2at4cuda3cub6detail10OpaqueTypeILi8EEEEEmEEvPT0_: ; @_ZN7rocprim17ROCPRIM_304000_NS6detail31onesweep_scan_histograms_kernelINS1_34wrapped_radix_sort_onesweep_configINS0_14default_configEdN2at4cuda3cub6detail10OpaqueTypeILi8EEEEEmEEvPT0_
; %bb.0:
	s_load_dwordx2 s[0:1], s[0:1], 0x0
	s_lshl_b32 s2, s2, 8
	s_mov_b32 s3, 0
	s_lshl_b64 s[2:3], s[2:3], 3
	v_lshlrev_b32_e32 v8, 3, v0
	s_waitcnt lgkmcnt(0)
	s_add_u32 s14, s0, s2
	s_movk_i32 s0, 0x100
	s_addc_u32 s15, s1, s3
	v_cmp_gt_u32_e32 vcc, s0, v0
                                        ; implicit-def: $vgpr2_vgpr3
	s_and_saveexec_b64 s[0:1], vcc
	s_cbranch_execz .LBB147_2
; %bb.1:
	global_load_dwordx2 v[2:3], v8, s[14:15]
.LBB147_2:
	s_or_b64 exec, exec, s[0:1]
	v_mbcnt_lo_u32_b32 v1, -1, 0
	v_mov_b32_e32 v6, 0
	v_mbcnt_hi_u32_b32 v9, -1, v1
	s_waitcnt vmcnt(0)
	v_mov_b32_dpp v4, v2 row_shr:1 row_mask:0xf bank_mask:0xf
	v_mov_b32_e32 v5, v6
	v_and_b32_e32 v1, 15, v9
	v_mov_b32_dpp v7, v3 row_shr:1 row_mask:0xf bank_mask:0xf
	v_lshl_add_u64 v[4:5], v[2:3], 0, v[4:5]
	v_lshl_add_u64 v[6:7], v[6:7], 0, v[4:5]
	v_cmp_eq_u32_e64 s[4:5], 0, v1
	v_cmp_lt_u32_e64 s[6:7], 1, v1
	v_cmp_lt_u32_e64 s[2:3], 3, v1
	v_cndmask_b32_e64 v10, v4, v2, s[4:5]
	v_cndmask_b32_e64 v5, v7, v3, s[4:5]
	v_cndmask_b32_e64 v4, v6, v2, s[4:5]
	v_mov_b32_dpp v6, v10 row_shr:2 row_mask:0xf bank_mask:0xf
	v_mov_b32_dpp v7, v5 row_shr:2 row_mask:0xf bank_mask:0xf
	v_lshl_add_u64 v[6:7], v[6:7], 0, v[4:5]
	v_cndmask_b32_e64 v10, v10, v6, s[6:7]
	v_cndmask_b32_e64 v5, v5, v7, s[6:7]
	v_cndmask_b32_e64 v4, v4, v6, s[6:7]
	v_mov_b32_dpp v6, v10 row_shr:4 row_mask:0xf bank_mask:0xf
	v_mov_b32_dpp v7, v5 row_shr:4 row_mask:0xf bank_mask:0xf
	v_lshl_add_u64 v[6:7], v[6:7], 0, v[4:5]
	;; [unrolled: 6-line block ×3, first 2 shown]
	v_cmp_lt_u32_e64 s[8:9], 7, v1
	v_cmp_eq_u32_e64 s[0:1], 0, v9
	v_cmp_ne_u32_e64 s[12:13], 0, v9
	v_cndmask_b32_e64 v1, v10, v6, s[8:9]
	v_cndmask_b32_e64 v5, v5, v7, s[8:9]
	v_cndmask_b32_e64 v4, v4, v6, s[8:9]
	v_mov_b32_dpp v6, v1 row_bcast:15 row_mask:0xf bank_mask:0xf
	v_mov_b32_dpp v7, v5 row_bcast:15 row_mask:0xf bank_mask:0xf
	v_and_b32_e32 v10, 16, v9
	v_lshl_add_u64 v[6:7], v[6:7], 0, v[4:5]
	v_cmp_eq_u32_e64 s[10:11], 0, v10
	s_nop 1
	v_cndmask_b32_e64 v10, v7, v5, s[10:11]
	v_cndmask_b32_e64 v1, v6, v1, s[10:11]
	s_nop 0
	v_mov_b32_dpp v10, v10 row_bcast:31 row_mask:0xf bank_mask:0xf
	v_mov_b32_dpp v1, v1 row_bcast:31 row_mask:0xf bank_mask:0xf
	s_and_saveexec_b64 s[16:17], s[12:13]
; %bb.3:
	v_cndmask_b32_e64 v3, v7, v5, s[10:11]
	v_cndmask_b32_e64 v2, v6, v4, s[10:11]
	v_cmp_lt_u32_e64 s[10:11], 31, v9
	s_nop 1
	v_cndmask_b32_e64 v5, 0, v10, s[10:11]
	v_cndmask_b32_e64 v4, 0, v1, s[10:11]
	v_lshl_add_u64 v[2:3], v[4:5], 0, v[2:3]
; %bb.4:
	s_or_b64 exec, exec, s[16:17]
	v_and_b32_e32 v1, 63, v0
	v_lshrrev_b32_e32 v4, 6, v0
	v_cmp_eq_u32_e64 s[10:11], 63, v1
	s_and_saveexec_b64 s[12:13], s[10:11]
; %bb.5:
	v_lshlrev_b32_e32 v1, 3, v4
	ds_write_b64 v1, v[2:3]
; %bb.6:
	s_or_b64 exec, exec, s[12:13]
	v_cmp_gt_u32_e64 s[10:11], 16, v0
	s_waitcnt lgkmcnt(0)
	s_barrier
	s_and_saveexec_b64 s[12:13], s[10:11]
	s_cbranch_execz .LBB147_8
; %bb.7:
	ds_read_b64 v[6:7], v8
	v_mov_b32_e32 v10, 0
	v_mov_b32_e32 v13, v10
	s_waitcnt lgkmcnt(0)
	v_mov_b32_dpp v12, v6 row_shr:1 row_mask:0xf bank_mask:0xf
	v_mov_b32_dpp v11, v7 row_shr:1 row_mask:0xf bank_mask:0xf
	v_lshl_add_u64 v[12:13], v[6:7], 0, v[12:13]
	v_lshl_add_u64 v[14:15], v[10:11], 0, v[12:13]
	v_cndmask_b32_e64 v1, v12, v6, s[4:5]
	v_cndmask_b32_e64 v15, v15, v7, s[4:5]
	;; [unrolled: 1-line block ×3, first 2 shown]
	v_mov_b32_dpp v6, v1 row_shr:2 row_mask:0xf bank_mask:0xf
	v_mov_b32_e32 v7, v10
	v_mov_b32_dpp v11, v15 row_shr:2 row_mask:0xf bank_mask:0xf
	v_lshl_add_u64 v[6:7], v[14:15], 0, v[6:7]
	v_lshl_add_u64 v[12:13], v[6:7], 0, v[10:11]
	v_cndmask_b32_e64 v1, v1, v6, s[6:7]
	v_cndmask_b32_e64 v7, v15, v13, s[6:7]
	;; [unrolled: 1-line block ×3, first 2 shown]
	v_mov_b32_dpp v12, v1 row_shr:4 row_mask:0xf bank_mask:0xf
	v_mov_b32_e32 v13, v10
	v_mov_b32_dpp v11, v7 row_shr:4 row_mask:0xf bank_mask:0xf
	v_lshl_add_u64 v[12:13], v[6:7], 0, v[12:13]
	v_lshl_add_u64 v[10:11], v[12:13], 0, v[10:11]
	v_cndmask_b32_e64 v7, v7, v11, s[2:3]
	v_cndmask_b32_e64 v1, v1, v12, s[2:3]
	;; [unrolled: 1-line block ×3, first 2 shown]
	v_mov_b32_dpp v5, v7 row_shr:8 row_mask:0xf bank_mask:0xf
	v_mov_b32_dpp v1, v1 row_shr:8 row_mask:0xf bank_mask:0xf
	v_cndmask_b32_e64 v10, 0, v1, s[8:9]
	v_cndmask_b32_e64 v11, 0, v5, s[8:9]
	v_lshl_add_u64 v[6:7], v[10:11], 0, v[6:7]
	ds_write_b64 v8, v[6:7]
.LBB147_8:
	s_or_b64 exec, exec, s[12:13]
	v_cmp_lt_u32_e64 s[2:3], 63, v0
	v_mov_b64_e32 v[0:1], 0
	s_waitcnt lgkmcnt(0)
	s_barrier
	s_and_saveexec_b64 s[4:5], s[2:3]
; %bb.9:
	v_lshl_add_u32 v0, v4, 3, -8
	ds_read_b64 v[0:1], v0
; %bb.10:
	s_or_b64 exec, exec, s[4:5]
	v_add_u32_e32 v4, -1, v9
	v_and_b32_e32 v5, 64, v9
	v_cmp_lt_i32_e64 s[2:3], v4, v5
	s_waitcnt lgkmcnt(0)
	v_lshl_add_u64 v[2:3], v[0:1], 0, v[2:3]
	v_cndmask_b32_e64 v4, v4, v9, s[2:3]
	v_lshlrev_b32_e32 v4, 2, v4
	ds_bpermute_b32 v2, v4, v2
	ds_bpermute_b32 v3, v4, v3
	s_and_saveexec_b64 s[2:3], vcc
	s_cbranch_execz .LBB147_12
; %bb.11:
	s_waitcnt lgkmcnt(0)
	v_cndmask_b32_e64 v1, v3, v1, s[0:1]
	v_cndmask_b32_e64 v0, v2, v0, s[0:1]
	global_store_dwordx2 v8, v[0:1], s[14:15]
.LBB147_12:
	s_endpgm
	.section	.rodata,"a",@progbits
	.p2align	6, 0x0
	.amdhsa_kernel _ZN7rocprim17ROCPRIM_304000_NS6detail31onesweep_scan_histograms_kernelINS1_34wrapped_radix_sort_onesweep_configINS0_14default_configEdN2at4cuda3cub6detail10OpaqueTypeILi8EEEEEmEEvPT0_
		.amdhsa_group_segment_fixed_size 128
		.amdhsa_private_segment_fixed_size 0
		.amdhsa_kernarg_size 8
		.amdhsa_user_sgpr_count 2
		.amdhsa_user_sgpr_dispatch_ptr 0
		.amdhsa_user_sgpr_queue_ptr 0
		.amdhsa_user_sgpr_kernarg_segment_ptr 1
		.amdhsa_user_sgpr_dispatch_id 0
		.amdhsa_user_sgpr_kernarg_preload_length 0
		.amdhsa_user_sgpr_kernarg_preload_offset 0
		.amdhsa_user_sgpr_private_segment_size 0
		.amdhsa_uses_dynamic_stack 0
		.amdhsa_enable_private_segment 0
		.amdhsa_system_sgpr_workgroup_id_x 1
		.amdhsa_system_sgpr_workgroup_id_y 0
		.amdhsa_system_sgpr_workgroup_id_z 0
		.amdhsa_system_sgpr_workgroup_info 0
		.amdhsa_system_vgpr_workitem_id 0
		.amdhsa_next_free_vgpr 16
		.amdhsa_next_free_sgpr 18
		.amdhsa_accum_offset 16
		.amdhsa_reserve_vcc 1
		.amdhsa_float_round_mode_32 0
		.amdhsa_float_round_mode_16_64 0
		.amdhsa_float_denorm_mode_32 3
		.amdhsa_float_denorm_mode_16_64 3
		.amdhsa_dx10_clamp 1
		.amdhsa_ieee_mode 1
		.amdhsa_fp16_overflow 0
		.amdhsa_tg_split 0
		.amdhsa_exception_fp_ieee_invalid_op 0
		.amdhsa_exception_fp_denorm_src 0
		.amdhsa_exception_fp_ieee_div_zero 0
		.amdhsa_exception_fp_ieee_overflow 0
		.amdhsa_exception_fp_ieee_underflow 0
		.amdhsa_exception_fp_ieee_inexact 0
		.amdhsa_exception_int_div_zero 0
	.end_amdhsa_kernel
	.section	.text._ZN7rocprim17ROCPRIM_304000_NS6detail31onesweep_scan_histograms_kernelINS1_34wrapped_radix_sort_onesweep_configINS0_14default_configEdN2at4cuda3cub6detail10OpaqueTypeILi8EEEEEmEEvPT0_,"axG",@progbits,_ZN7rocprim17ROCPRIM_304000_NS6detail31onesweep_scan_histograms_kernelINS1_34wrapped_radix_sort_onesweep_configINS0_14default_configEdN2at4cuda3cub6detail10OpaqueTypeILi8EEEEEmEEvPT0_,comdat
.Lfunc_end147:
	.size	_ZN7rocprim17ROCPRIM_304000_NS6detail31onesweep_scan_histograms_kernelINS1_34wrapped_radix_sort_onesweep_configINS0_14default_configEdN2at4cuda3cub6detail10OpaqueTypeILi8EEEEEmEEvPT0_, .Lfunc_end147-_ZN7rocprim17ROCPRIM_304000_NS6detail31onesweep_scan_histograms_kernelINS1_34wrapped_radix_sort_onesweep_configINS0_14default_configEdN2at4cuda3cub6detail10OpaqueTypeILi8EEEEEmEEvPT0_
                                        ; -- End function
	.set _ZN7rocprim17ROCPRIM_304000_NS6detail31onesweep_scan_histograms_kernelINS1_34wrapped_radix_sort_onesweep_configINS0_14default_configEdN2at4cuda3cub6detail10OpaqueTypeILi8EEEEEmEEvPT0_.num_vgpr, 16
	.set _ZN7rocprim17ROCPRIM_304000_NS6detail31onesweep_scan_histograms_kernelINS1_34wrapped_radix_sort_onesweep_configINS0_14default_configEdN2at4cuda3cub6detail10OpaqueTypeILi8EEEEEmEEvPT0_.num_agpr, 0
	.set _ZN7rocprim17ROCPRIM_304000_NS6detail31onesweep_scan_histograms_kernelINS1_34wrapped_radix_sort_onesweep_configINS0_14default_configEdN2at4cuda3cub6detail10OpaqueTypeILi8EEEEEmEEvPT0_.numbered_sgpr, 18
	.set _ZN7rocprim17ROCPRIM_304000_NS6detail31onesweep_scan_histograms_kernelINS1_34wrapped_radix_sort_onesweep_configINS0_14default_configEdN2at4cuda3cub6detail10OpaqueTypeILi8EEEEEmEEvPT0_.num_named_barrier, 0
	.set _ZN7rocprim17ROCPRIM_304000_NS6detail31onesweep_scan_histograms_kernelINS1_34wrapped_radix_sort_onesweep_configINS0_14default_configEdN2at4cuda3cub6detail10OpaqueTypeILi8EEEEEmEEvPT0_.private_seg_size, 0
	.set _ZN7rocprim17ROCPRIM_304000_NS6detail31onesweep_scan_histograms_kernelINS1_34wrapped_radix_sort_onesweep_configINS0_14default_configEdN2at4cuda3cub6detail10OpaqueTypeILi8EEEEEmEEvPT0_.uses_vcc, 1
	.set _ZN7rocprim17ROCPRIM_304000_NS6detail31onesweep_scan_histograms_kernelINS1_34wrapped_radix_sort_onesweep_configINS0_14default_configEdN2at4cuda3cub6detail10OpaqueTypeILi8EEEEEmEEvPT0_.uses_flat_scratch, 0
	.set _ZN7rocprim17ROCPRIM_304000_NS6detail31onesweep_scan_histograms_kernelINS1_34wrapped_radix_sort_onesweep_configINS0_14default_configEdN2at4cuda3cub6detail10OpaqueTypeILi8EEEEEmEEvPT0_.has_dyn_sized_stack, 0
	.set _ZN7rocprim17ROCPRIM_304000_NS6detail31onesweep_scan_histograms_kernelINS1_34wrapped_radix_sort_onesweep_configINS0_14default_configEdN2at4cuda3cub6detail10OpaqueTypeILi8EEEEEmEEvPT0_.has_recursion, 0
	.set _ZN7rocprim17ROCPRIM_304000_NS6detail31onesweep_scan_histograms_kernelINS1_34wrapped_radix_sort_onesweep_configINS0_14default_configEdN2at4cuda3cub6detail10OpaqueTypeILi8EEEEEmEEvPT0_.has_indirect_call, 0
	.section	.AMDGPU.csdata,"",@progbits
; Kernel info:
; codeLenInByte = 928
; TotalNumSgprs: 24
; NumVgprs: 16
; NumAgprs: 0
; TotalNumVgprs: 16
; ScratchSize: 0
; MemoryBound: 0
; FloatMode: 240
; IeeeMode: 1
; LDSByteSize: 128 bytes/workgroup (compile time only)
; SGPRBlocks: 2
; VGPRBlocks: 1
; NumSGPRsForWavesPerEU: 24
; NumVGPRsForWavesPerEU: 16
; AccumOffset: 16
; Occupancy: 8
; WaveLimiterHint : 0
; COMPUTE_PGM_RSRC2:SCRATCH_EN: 0
; COMPUTE_PGM_RSRC2:USER_SGPR: 2
; COMPUTE_PGM_RSRC2:TRAP_HANDLER: 0
; COMPUTE_PGM_RSRC2:TGID_X_EN: 1
; COMPUTE_PGM_RSRC2:TGID_Y_EN: 0
; COMPUTE_PGM_RSRC2:TGID_Z_EN: 0
; COMPUTE_PGM_RSRC2:TIDIG_COMP_CNT: 0
; COMPUTE_PGM_RSRC3_GFX90A:ACCUM_OFFSET: 3
; COMPUTE_PGM_RSRC3_GFX90A:TG_SPLIT: 0
	.section	.text._ZN7rocprim17ROCPRIM_304000_NS6detail16transform_kernelINS1_24wrapped_transform_configINS0_14default_configEdEEdPKdPdNS0_8identityIdEEEEvT1_mT2_T3_,"axG",@progbits,_ZN7rocprim17ROCPRIM_304000_NS6detail16transform_kernelINS1_24wrapped_transform_configINS0_14default_configEdEEdPKdPdNS0_8identityIdEEEEvT1_mT2_T3_,comdat
	.protected	_ZN7rocprim17ROCPRIM_304000_NS6detail16transform_kernelINS1_24wrapped_transform_configINS0_14default_configEdEEdPKdPdNS0_8identityIdEEEEvT1_mT2_T3_ ; -- Begin function _ZN7rocprim17ROCPRIM_304000_NS6detail16transform_kernelINS1_24wrapped_transform_configINS0_14default_configEdEEdPKdPdNS0_8identityIdEEEEvT1_mT2_T3_
	.globl	_ZN7rocprim17ROCPRIM_304000_NS6detail16transform_kernelINS1_24wrapped_transform_configINS0_14default_configEdEEdPKdPdNS0_8identityIdEEEEvT1_mT2_T3_
	.p2align	8
	.type	_ZN7rocprim17ROCPRIM_304000_NS6detail16transform_kernelINS1_24wrapped_transform_configINS0_14default_configEdEEdPKdPdNS0_8identityIdEEEEvT1_mT2_T3_,@function
_ZN7rocprim17ROCPRIM_304000_NS6detail16transform_kernelINS1_24wrapped_transform_configINS0_14default_configEdEEdPKdPdNS0_8identityIdEEEEvT1_mT2_T3_: ; @_ZN7rocprim17ROCPRIM_304000_NS6detail16transform_kernelINS1_24wrapped_transform_configINS0_14default_configEdEEdPKdPdNS0_8identityIdEEEEvT1_mT2_T3_
; %bb.0:
	s_load_dword s3, s[0:1], 0x20
	s_load_dwordx4 s[4:7], s[0:1], 0x0
	s_lshl_b32 s8, s2, 7
	s_waitcnt lgkmcnt(0)
	s_add_i32 s3, s3, -1
	s_cmp_lg_u32 s2, s3
	s_cselect_b64 s[2:3], -1, 0
	s_sub_i32 s6, s6, s8
	v_cmp_gt_u32_e32 vcc, s6, v0
	s_or_b64 s[2:3], vcc, s[2:3]
	s_and_saveexec_b64 s[6:7], s[2:3]
	s_cbranch_execz .LBB148_2
; %bb.1:
	s_load_dwordx2 s[0:1], s[0:1], 0x10
	s_mov_b32 s9, 0
	s_lshl_b64 s[2:3], s[8:9], 3
	v_lshlrev_b32_e32 v2, 3, v0
	s_waitcnt lgkmcnt(0)
	s_add_u32 s0, s0, s2
	s_addc_u32 s1, s1, s3
	s_add_u32 s2, s4, s2
	s_addc_u32 s3, s5, s3
	global_load_dwordx2 v[0:1], v2, s[2:3]
	s_waitcnt vmcnt(0)
	global_store_dwordx2 v2, v[0:1], s[0:1]
.LBB148_2:
	s_endpgm
	.section	.rodata,"a",@progbits
	.p2align	6, 0x0
	.amdhsa_kernel _ZN7rocprim17ROCPRIM_304000_NS6detail16transform_kernelINS1_24wrapped_transform_configINS0_14default_configEdEEdPKdPdNS0_8identityIdEEEEvT1_mT2_T3_
		.amdhsa_group_segment_fixed_size 0
		.amdhsa_private_segment_fixed_size 0
		.amdhsa_kernarg_size 288
		.amdhsa_user_sgpr_count 2
		.amdhsa_user_sgpr_dispatch_ptr 0
		.amdhsa_user_sgpr_queue_ptr 0
		.amdhsa_user_sgpr_kernarg_segment_ptr 1
		.amdhsa_user_sgpr_dispatch_id 0
		.amdhsa_user_sgpr_kernarg_preload_length 0
		.amdhsa_user_sgpr_kernarg_preload_offset 0
		.amdhsa_user_sgpr_private_segment_size 0
		.amdhsa_uses_dynamic_stack 0
		.amdhsa_enable_private_segment 0
		.amdhsa_system_sgpr_workgroup_id_x 1
		.amdhsa_system_sgpr_workgroup_id_y 0
		.amdhsa_system_sgpr_workgroup_id_z 0
		.amdhsa_system_sgpr_workgroup_info 0
		.amdhsa_system_vgpr_workitem_id 0
		.amdhsa_next_free_vgpr 3
		.amdhsa_next_free_sgpr 10
		.amdhsa_accum_offset 4
		.amdhsa_reserve_vcc 1
		.amdhsa_float_round_mode_32 0
		.amdhsa_float_round_mode_16_64 0
		.amdhsa_float_denorm_mode_32 3
		.amdhsa_float_denorm_mode_16_64 3
		.amdhsa_dx10_clamp 1
		.amdhsa_ieee_mode 1
		.amdhsa_fp16_overflow 0
		.amdhsa_tg_split 0
		.amdhsa_exception_fp_ieee_invalid_op 0
		.amdhsa_exception_fp_denorm_src 0
		.amdhsa_exception_fp_ieee_div_zero 0
		.amdhsa_exception_fp_ieee_overflow 0
		.amdhsa_exception_fp_ieee_underflow 0
		.amdhsa_exception_fp_ieee_inexact 0
		.amdhsa_exception_int_div_zero 0
	.end_amdhsa_kernel
	.section	.text._ZN7rocprim17ROCPRIM_304000_NS6detail16transform_kernelINS1_24wrapped_transform_configINS0_14default_configEdEEdPKdPdNS0_8identityIdEEEEvT1_mT2_T3_,"axG",@progbits,_ZN7rocprim17ROCPRIM_304000_NS6detail16transform_kernelINS1_24wrapped_transform_configINS0_14default_configEdEEdPKdPdNS0_8identityIdEEEEvT1_mT2_T3_,comdat
.Lfunc_end148:
	.size	_ZN7rocprim17ROCPRIM_304000_NS6detail16transform_kernelINS1_24wrapped_transform_configINS0_14default_configEdEEdPKdPdNS0_8identityIdEEEEvT1_mT2_T3_, .Lfunc_end148-_ZN7rocprim17ROCPRIM_304000_NS6detail16transform_kernelINS1_24wrapped_transform_configINS0_14default_configEdEEdPKdPdNS0_8identityIdEEEEvT1_mT2_T3_
                                        ; -- End function
	.set _ZN7rocprim17ROCPRIM_304000_NS6detail16transform_kernelINS1_24wrapped_transform_configINS0_14default_configEdEEdPKdPdNS0_8identityIdEEEEvT1_mT2_T3_.num_vgpr, 3
	.set _ZN7rocprim17ROCPRIM_304000_NS6detail16transform_kernelINS1_24wrapped_transform_configINS0_14default_configEdEEdPKdPdNS0_8identityIdEEEEvT1_mT2_T3_.num_agpr, 0
	.set _ZN7rocprim17ROCPRIM_304000_NS6detail16transform_kernelINS1_24wrapped_transform_configINS0_14default_configEdEEdPKdPdNS0_8identityIdEEEEvT1_mT2_T3_.numbered_sgpr, 10
	.set _ZN7rocprim17ROCPRIM_304000_NS6detail16transform_kernelINS1_24wrapped_transform_configINS0_14default_configEdEEdPKdPdNS0_8identityIdEEEEvT1_mT2_T3_.num_named_barrier, 0
	.set _ZN7rocprim17ROCPRIM_304000_NS6detail16transform_kernelINS1_24wrapped_transform_configINS0_14default_configEdEEdPKdPdNS0_8identityIdEEEEvT1_mT2_T3_.private_seg_size, 0
	.set _ZN7rocprim17ROCPRIM_304000_NS6detail16transform_kernelINS1_24wrapped_transform_configINS0_14default_configEdEEdPKdPdNS0_8identityIdEEEEvT1_mT2_T3_.uses_vcc, 1
	.set _ZN7rocprim17ROCPRIM_304000_NS6detail16transform_kernelINS1_24wrapped_transform_configINS0_14default_configEdEEdPKdPdNS0_8identityIdEEEEvT1_mT2_T3_.uses_flat_scratch, 0
	.set _ZN7rocprim17ROCPRIM_304000_NS6detail16transform_kernelINS1_24wrapped_transform_configINS0_14default_configEdEEdPKdPdNS0_8identityIdEEEEvT1_mT2_T3_.has_dyn_sized_stack, 0
	.set _ZN7rocprim17ROCPRIM_304000_NS6detail16transform_kernelINS1_24wrapped_transform_configINS0_14default_configEdEEdPKdPdNS0_8identityIdEEEEvT1_mT2_T3_.has_recursion, 0
	.set _ZN7rocprim17ROCPRIM_304000_NS6detail16transform_kernelINS1_24wrapped_transform_configINS0_14default_configEdEEdPKdPdNS0_8identityIdEEEEvT1_mT2_T3_.has_indirect_call, 0
	.section	.AMDGPU.csdata,"",@progbits
; Kernel info:
; codeLenInByte = 120
; TotalNumSgprs: 16
; NumVgprs: 3
; NumAgprs: 0
; TotalNumVgprs: 3
; ScratchSize: 0
; MemoryBound: 0
; FloatMode: 240
; IeeeMode: 1
; LDSByteSize: 0 bytes/workgroup (compile time only)
; SGPRBlocks: 1
; VGPRBlocks: 0
; NumSGPRsForWavesPerEU: 16
; NumVGPRsForWavesPerEU: 3
; AccumOffset: 4
; Occupancy: 8
; WaveLimiterHint : 0
; COMPUTE_PGM_RSRC2:SCRATCH_EN: 0
; COMPUTE_PGM_RSRC2:USER_SGPR: 2
; COMPUTE_PGM_RSRC2:TRAP_HANDLER: 0
; COMPUTE_PGM_RSRC2:TGID_X_EN: 1
; COMPUTE_PGM_RSRC2:TGID_Y_EN: 0
; COMPUTE_PGM_RSRC2:TGID_Z_EN: 0
; COMPUTE_PGM_RSRC2:TIDIG_COMP_CNT: 0
; COMPUTE_PGM_RSRC3_GFX90A:ACCUM_OFFSET: 0
; COMPUTE_PGM_RSRC3_GFX90A:TG_SPLIT: 0
	.section	.text._ZN7rocprim17ROCPRIM_304000_NS6detail25onesweep_iteration_kernelINS1_34wrapped_radix_sort_onesweep_configINS0_14default_configEdN2at4cuda3cub6detail10OpaqueTypeILi8EEEEELb1EPKdPdPKSA_PSA_mNS0_19identity_decomposerEEEvT1_T2_T3_T4_jPT5_SO_PNS1_23onesweep_lookback_stateET6_jjj,"axG",@progbits,_ZN7rocprim17ROCPRIM_304000_NS6detail25onesweep_iteration_kernelINS1_34wrapped_radix_sort_onesweep_configINS0_14default_configEdN2at4cuda3cub6detail10OpaqueTypeILi8EEEEELb1EPKdPdPKSA_PSA_mNS0_19identity_decomposerEEEvT1_T2_T3_T4_jPT5_SO_PNS1_23onesweep_lookback_stateET6_jjj,comdat
	.protected	_ZN7rocprim17ROCPRIM_304000_NS6detail25onesweep_iteration_kernelINS1_34wrapped_radix_sort_onesweep_configINS0_14default_configEdN2at4cuda3cub6detail10OpaqueTypeILi8EEEEELb1EPKdPdPKSA_PSA_mNS0_19identity_decomposerEEEvT1_T2_T3_T4_jPT5_SO_PNS1_23onesweep_lookback_stateET6_jjj ; -- Begin function _ZN7rocprim17ROCPRIM_304000_NS6detail25onesweep_iteration_kernelINS1_34wrapped_radix_sort_onesweep_configINS0_14default_configEdN2at4cuda3cub6detail10OpaqueTypeILi8EEEEELb1EPKdPdPKSA_PSA_mNS0_19identity_decomposerEEEvT1_T2_T3_T4_jPT5_SO_PNS1_23onesweep_lookback_stateET6_jjj
	.globl	_ZN7rocprim17ROCPRIM_304000_NS6detail25onesweep_iteration_kernelINS1_34wrapped_radix_sort_onesweep_configINS0_14default_configEdN2at4cuda3cub6detail10OpaqueTypeILi8EEEEELb1EPKdPdPKSA_PSA_mNS0_19identity_decomposerEEEvT1_T2_T3_T4_jPT5_SO_PNS1_23onesweep_lookback_stateET6_jjj
	.p2align	8
	.type	_ZN7rocprim17ROCPRIM_304000_NS6detail25onesweep_iteration_kernelINS1_34wrapped_radix_sort_onesweep_configINS0_14default_configEdN2at4cuda3cub6detail10OpaqueTypeILi8EEEEELb1EPKdPdPKSA_PSA_mNS0_19identity_decomposerEEEvT1_T2_T3_T4_jPT5_SO_PNS1_23onesweep_lookback_stateET6_jjj,@function
_ZN7rocprim17ROCPRIM_304000_NS6detail25onesweep_iteration_kernelINS1_34wrapped_radix_sort_onesweep_configINS0_14default_configEdN2at4cuda3cub6detail10OpaqueTypeILi8EEEEELb1EPKdPdPKSA_PSA_mNS0_19identity_decomposerEEEvT1_T2_T3_T4_jPT5_SO_PNS1_23onesweep_lookback_stateET6_jjj: ; @_ZN7rocprim17ROCPRIM_304000_NS6detail25onesweep_iteration_kernelINS1_34wrapped_radix_sort_onesweep_configINS0_14default_configEdN2at4cuda3cub6detail10OpaqueTypeILi8EEEEELb1EPKdPdPKSA_PSA_mNS0_19identity_decomposerEEEvT1_T2_T3_T4_jPT5_SO_PNS1_23onesweep_lookback_stateET6_jjj
; %bb.0:
	s_load_dwordx4 s[48:51], s[0:1], 0x44
	s_load_dwordx8 s[36:43], s[0:1], 0x0
	s_load_dwordx4 s[44:47], s[0:1], 0x28
	s_load_dwordx2 s[30:31], s[0:1], 0x38
	s_mov_b64 s[4:5], -1
	s_waitcnt lgkmcnt(0)
	s_cmp_ge_u32 s2, s50
	s_mul_i32 s34, s2, 0x1800
	v_mbcnt_lo_u32_b32 v1, -1, 0
	s_cbranch_scc0 .LBB149_96
; %bb.1:
	s_load_dword s3, s[0:1], 0x20
	s_mul_i32 s4, s50, 0xffffe800
	s_mov_b32 s35, 0
	s_lshl_b64 s[50:51], s[34:35], 3
	v_mbcnt_hi_u32_b32 v7, -1, v1
	s_waitcnt lgkmcnt(0)
	s_add_i32 s35, s4, s3
	s_add_u32 s4, s36, s50
	v_and_b32_e32 v2, 0x3c0, v0
	s_addc_u32 s5, s37, s51
	v_mul_u32_u24_e32 v6, 6, v2
	v_mov_b32_e32 v3, 0
	v_lshlrev_b32_e32 v2, 3, v7
	v_lshl_add_u64 v[8:9], s[4:5], 0, v[2:3]
	v_lshlrev_b32_e32 v4, 3, v6
	v_mov_b32_e32 v5, v3
	v_or_b32_e32 v3, v7, v6
	v_lshl_add_u64 v[20:21], v[8:9], 0, v[4:5]
	v_cmp_gt_u32_e32 vcc, s35, v3
	v_mov_b64_e32 v[14:15], -1
	v_mov_b64_e32 v[8:9], -1
	s_and_saveexec_b64 s[4:5], vcc
	s_cbranch_execz .LBB149_3
; %bb.2:
	global_load_dwordx2 v[8:9], v[20:21], off
.LBB149_3:
	s_or_b64 exec, exec, s[4:5]
	v_add_u32_e32 v5, 64, v3
	v_cmp_gt_u32_e64 s[26:27], s35, v5
	s_and_saveexec_b64 s[4:5], s[26:27]
	s_cbranch_execz .LBB149_5
; %bb.4:
	global_load_dwordx2 v[14:15], v[20:21], off offset:512
.LBB149_5:
	s_or_b64 exec, exec, s[4:5]
	v_add_u32_e32 v5, 0x80, v3
	v_cmp_gt_u32_e64 s[4:5], s35, v5
	v_mov_b64_e32 v[18:19], -1
	v_mov_b64_e32 v[16:17], -1
	s_and_saveexec_b64 s[6:7], s[4:5]
	s_cbranch_execz .LBB149_7
; %bb.6:
	global_load_dwordx2 v[16:17], v[20:21], off offset:1024
.LBB149_7:
	s_or_b64 exec, exec, s[6:7]
	v_add_u32_e32 v5, 0xc0, v3
	v_cmp_gt_u32_e64 s[6:7], s35, v5
	s_and_saveexec_b64 s[8:9], s[6:7]
	s_cbranch_execz .LBB149_9
; %bb.8:
	global_load_dwordx2 v[18:19], v[20:21], off offset:1536
.LBB149_9:
	s_or_b64 exec, exec, s[8:9]
	v_add_u32_e32 v5, 0x100, v3
	v_cmp_gt_u32_e64 s[8:9], s35, v5
	v_mov_b64_e32 v[10:11], -1
	v_mov_b64_e32 v[12:13], -1
	s_and_saveexec_b64 s[10:11], s[8:9]
	s_cbranch_execz .LBB149_11
; %bb.10:
	global_load_dwordx2 v[12:13], v[20:21], off offset:2048
.LBB149_11:
	s_or_b64 exec, exec, s[10:11]
	v_add_u32_e32 v3, 0x140, v3
	v_and_b32_e32 v6, 0x3ff, v0
	v_cmp_gt_u32_e64 s[10:11], s35, v3
	s_and_saveexec_b64 s[12:13], s[10:11]
	s_cbranch_execz .LBB149_13
; %bb.12:
	global_load_dwordx2 v[10:11], v[20:21], off offset:2560
.LBB149_13:
	s_or_b64 exec, exec, s[12:13]
	s_load_dword s12, s[0:1], 0x5c
	s_load_dword s3, s[0:1], 0x50
	s_add_u32 s13, s0, 0x50
	s_addc_u32 s14, s1, 0
	v_mov_b32_e32 v21, 0
	s_waitcnt lgkmcnt(0)
	s_lshr_b32 s15, s12, 16
	s_cmp_lt_u32 s2, s3
	s_cselect_b32 s12, 12, 18
	s_add_u32 s12, s13, s12
	s_addc_u32 s13, s14, 0
	global_load_ushort v5, v21, s[12:13]
	v_bfrev_b32_e32 v25, -2
	s_waitcnt vmcnt(1)
	v_ashrrev_i32_e32 v20, 31, v9
	v_cmp_gt_i64_e64 s[12:13], 0, v[8:9]
	s_mov_b32 s24, 0
	v_not_b32_e32 v20, v20
	v_cndmask_b32_e64 v27, v25, 0, s[12:13]
	s_brev_b32 s25, 1
	v_xor_b32_e32 v9, v27, v9
	v_xor_b32_e32 v8, v20, v8
	v_cmp_ne_u64_e64 s[12:13], s[24:25], v[8:9]
	v_bfe_u32 v23, v0, 10, 10
	v_bfe_u32 v24, v0, 20, 10
	v_cndmask_b32_e64 v35, v25, v9, s[12:13]
	v_cndmask_b32_e64 v34, -1, v8, s[12:13]
	v_lshrrev_b64 v[34:35], s48, v[34:35]
	s_lshl_b32 s12, -1, s49
	v_bitop3_b32 v36, v34, s12, v34 bitop3:0x30
	v_mad_u32_u24 v24, v24, s15, v23
	v_and_b32_e32 v20, 1, v36
	v_lshlrev_b32_e32 v23, 30, v36
	v_mov_b32_e32 v22, v21
	v_mov_b32_e32 v28, v21
	s_not_b32 s33, s12
	v_lshlrev_b32_e32 v27, 29, v36
	v_lshlrev_b32_e32 v29, 28, v36
	v_lshl_add_u64 v[34:35], v[20:21], 0, -1
	v_cmp_ne_u32_e64 s[12:13], 0, v20
	v_not_b32_e32 v20, v23
	v_mov_b32_e32 v26, v21
	v_mov_b32_e32 v30, v21
	v_lshlrev_b32_e32 v31, 27, v36
	v_cmp_gt_i64_e64 s[14:15], 0, v[22:23]
	v_not_b32_e32 v22, v27
	v_cmp_gt_i64_e64 s[18:19], 0, v[28:29]
	v_xor_b32_e32 v28, s13, v35
	v_ashrrev_i32_e32 v20, 31, v20
	v_cmp_gt_i64_e64 s[16:17], 0, v[26:27]
	v_not_b32_e32 v23, v29
	v_cmp_gt_i64_e64 s[20:21], 0, v[30:31]
	v_xor_b32_e32 v29, s12, v34
	v_ashrrev_i32_e32 v22, 31, v22
	v_and_b32_e32 v28, exec_hi, v28
	v_xor_b32_e32 v30, s15, v20
	v_mov_b32_e32 v32, v21
	v_lshlrev_b32_e32 v33, 26, v36
	v_not_b32_e32 v26, v31
	v_ashrrev_i32_e32 v23, 31, v23
	v_and_b32_e32 v29, exec_lo, v29
	v_xor_b32_e32 v20, s14, v20
	v_xor_b32_e32 v31, s17, v22
	v_and_b32_e32 v28, v28, v30
	v_cmp_gt_i64_e64 s[22:23], 0, v[32:33]
	v_ashrrev_i32_e32 v26, 31, v26
	v_xor_b32_e32 v22, s16, v22
	v_xor_b32_e32 v32, s19, v23
	v_and_b32_e32 v20, v29, v20
	v_and_b32_e32 v28, v28, v31
	v_not_b32_e32 v27, v33
	v_xor_b32_e32 v23, s18, v23
	v_xor_b32_e32 v33, s21, v26
	v_and_b32_e32 v20, v20, v22
	v_and_b32_e32 v22, v28, v32
	v_and_b32_e32 v20, v20, v23
	v_and_b32_e32 v28, v22, v33
	v_ashrrev_i32_e32 v27, 31, v27
	v_xor_b32_e32 v26, s20, v26
	v_xor_b32_e32 v34, s23, v27
	;; [unrolled: 1-line block ×3, first 2 shown]
	v_and_b32_e32 v20, v20, v26
	v_and_b32_e32 v20, v20, v27
	s_movk_i32 s28, 0x44
	v_mul_lo_u32 v37, v36, s28
	v_mul_u32_u24_e32 v3, 20, v6
	ds_write2_b32 v3, v21, v21 offset0:16 offset1:17
	ds_write2_b32 v3, v21, v21 offset0:18 offset1:19
	ds_write_b32 v3, v21 offset:80
	s_waitcnt lgkmcnt(0)
	s_barrier
	s_waitcnt vmcnt(0)
	; wave barrier
	v_mad_u64_u32 v[22:23], s[12:13], v24, v5, v[6:7]
	v_lshrrev_b32_e32 v31, 6, v22
	v_lshlrev_b32_e32 v23, 25, v36
	v_mov_b32_e32 v22, v21
	v_cmp_gt_i64_e64 s[12:13], 0, v[22:23]
	v_not_b32_e32 v22, v23
	v_ashrrev_i32_e32 v22, 31, v22
	v_and_b32_e32 v5, v28, v34
	v_xor_b32_e32 v23, s13, v22
	v_xor_b32_e32 v22, s12, v22
	v_and_b32_e32 v5, v5, v23
	v_and_b32_e32 v20, v20, v22
	v_lshlrev_b32_e32 v23, 24, v36
	v_mov_b32_e32 v22, v21
	v_cmp_gt_i64_e64 s[12:13], 0, v[22:23]
	v_not_b32_e32 v22, v23
	v_ashrrev_i32_e32 v22, 31, v22
	v_xor_b32_e32 v23, s13, v22
	v_xor_b32_e32 v22, s12, v22
	v_and_b32_e32 v22, v20, v22
	v_and_b32_e32 v23, v5, v23
	v_mbcnt_lo_u32_b32 v5, v22, 0
	v_mbcnt_hi_u32_b32 v5, v23, v5
	v_cmp_eq_u32_e64 s[12:13], 0, v5
	v_cmp_ne_u64_e64 s[14:15], 0, v[22:23]
	v_lshl_add_u32 v24, v31, 2, v37
	s_and_b64 s[14:15], s[14:15], s[12:13]
	s_and_saveexec_b64 s[12:13], s[14:15]
; %bb.14:
	v_bcnt_u32_b32 v20, v22, 0
	v_bcnt_u32_b32 v20, v23, v20
	ds_write_b32 v24, v20 offset:64
; %bb.15:
	s_or_b64 exec, exec, s[12:13]
	v_cmp_gt_i64_e64 s[12:13], 0, v[14:15]
	v_ashrrev_i32_e32 v22, 31, v15
	v_not_b32_e32 v22, v22
	v_cndmask_b32_e64 v20, v25, 0, s[12:13]
	v_xor_b32_e32 v15, v20, v15
	v_xor_b32_e32 v14, v22, v14
	v_cmp_ne_u64_e64 s[12:13], s[24:25], v[14:15]
	; wave barrier
	s_nop 1
	v_cndmask_b32_e64 v23, v25, v15, s[12:13]
	v_cndmask_b32_e64 v22, -1, v14, s[12:13]
	v_lshrrev_b64 v[22:23], s48, v[22:23]
	v_and_b32_e32 v27, s33, v22
	v_mul_lo_u32 v20, v27, s28
	v_lshl_add_u32 v26, v31, 2, v20
	v_and_b32_e32 v20, 1, v27
	v_lshl_add_u64 v[22:23], v[20:21], 0, -1
	v_cmp_ne_u32_e64 s[12:13], 0, v20
	ds_read_b32 v25, v26 offset:64
	s_nop 0
	v_xor_b32_e32 v22, s12, v22
	v_xor_b32_e32 v20, s13, v23
	v_and_b32_e32 v28, exec_lo, v22
	v_lshlrev_b32_e32 v23, 30, v27
	v_mov_b32_e32 v22, v21
	v_cmp_gt_i64_e64 s[12:13], 0, v[22:23]
	v_not_b32_e32 v22, v23
	v_ashrrev_i32_e32 v22, 31, v22
	v_and_b32_e32 v20, exec_hi, v20
	v_xor_b32_e32 v23, s13, v22
	v_xor_b32_e32 v22, s12, v22
	v_and_b32_e32 v20, v20, v23
	v_and_b32_e32 v28, v28, v22
	v_lshlrev_b32_e32 v23, 29, v27
	v_mov_b32_e32 v22, v21
	v_cmp_gt_i64_e64 s[12:13], 0, v[22:23]
	v_not_b32_e32 v22, v23
	v_ashrrev_i32_e32 v22, 31, v22
	v_xor_b32_e32 v23, s13, v22
	v_xor_b32_e32 v22, s12, v22
	v_and_b32_e32 v20, v20, v23
	v_and_b32_e32 v28, v28, v22
	v_lshlrev_b32_e32 v23, 28, v27
	v_mov_b32_e32 v22, v21
	v_cmp_gt_i64_e64 s[12:13], 0, v[22:23]
	v_not_b32_e32 v22, v23
	v_ashrrev_i32_e32 v22, 31, v22
	;; [unrolled: 9-line block ×5, first 2 shown]
	v_xor_b32_e32 v23, s13, v22
	v_xor_b32_e32 v22, s12, v22
	v_and_b32_e32 v20, v20, v23
	v_lshlrev_b32_e32 v23, 24, v27
	v_and_b32_e32 v28, v28, v22
	v_mov_b32_e32 v22, v21
	v_not_b32_e32 v21, v23
	v_cmp_gt_i64_e64 s[12:13], 0, v[22:23]
	v_ashrrev_i32_e32 v21, 31, v21
	; wave barrier
	s_nop 0
	v_xor_b32_e32 v22, s13, v21
	v_xor_b32_e32 v23, s12, v21
	v_and_b32_e32 v21, v20, v22
	v_and_b32_e32 v20, v28, v23
	v_mbcnt_lo_u32_b32 v22, v20, 0
	v_mbcnt_hi_u32_b32 v27, v21, v22
	v_cmp_eq_u32_e64 s[12:13], 0, v27
	v_cmp_ne_u64_e64 s[14:15], 0, v[20:21]
	s_and_b64 s[14:15], s[14:15], s[12:13]
	s_and_saveexec_b64 s[12:13], s[14:15]
	s_cbranch_execz .LBB149_17
; %bb.16:
	v_bcnt_u32_b32 v20, v20, 0
	v_bcnt_u32_b32 v20, v21, v20
	s_waitcnt lgkmcnt(0)
	v_add_u32_e32 v20, v25, v20
	ds_write_b32 v26, v20 offset:64
.LBB149_17:
	s_or_b64 exec, exec, s[12:13]
	v_bfrev_b32_e32 v32, -2
	v_cmp_gt_i64_e64 s[12:13], 0, v[16:17]
	v_ashrrev_i32_e32 v21, 31, v17
	s_mov_b32 s16, 0
	v_cndmask_b32_e64 v20, v32, 0, s[12:13]
	v_not_b32_e32 v21, v21
	s_brev_b32 s17, 1
	v_xor_b32_e32 v17, v20, v17
	v_xor_b32_e32 v16, v21, v16
	v_cmp_ne_u64_e64 s[12:13], s[16:17], v[16:17]
	s_movk_i32 s18, 0x44
	s_nop 0
	v_cndmask_b32_e64 v21, v32, v17, s[12:13]
	v_cndmask_b32_e64 v20, -1, v16, s[12:13]
	v_lshrrev_b64 v[20:21], s48, v[20:21]
	v_and_b32_e32 v30, s33, v20
	v_mul_lo_u32 v20, v30, s18
	v_lshl_add_u32 v29, v31, 2, v20
	v_and_b32_e32 v20, 1, v30
	v_mov_b32_e32 v21, 0
	v_lshl_add_u64 v[22:23], v[20:21], 0, -1
	v_cmp_ne_u32_e64 s[12:13], 0, v20
	; wave barrier
	ds_read_b32 v28, v29 offset:64
	s_nop 0
	v_xor_b32_e32 v22, s12, v22
	v_xor_b32_e32 v20, s13, v23
	v_and_b32_e32 v33, exec_lo, v22
	v_lshlrev_b32_e32 v23, 30, v30
	v_mov_b32_e32 v22, v21
	v_cmp_gt_i64_e64 s[12:13], 0, v[22:23]
	v_not_b32_e32 v22, v23
	v_ashrrev_i32_e32 v22, 31, v22
	v_and_b32_e32 v20, exec_hi, v20
	v_xor_b32_e32 v23, s13, v22
	v_xor_b32_e32 v22, s12, v22
	v_and_b32_e32 v20, v20, v23
	v_and_b32_e32 v33, v33, v22
	v_lshlrev_b32_e32 v23, 29, v30
	v_mov_b32_e32 v22, v21
	v_cmp_gt_i64_e64 s[12:13], 0, v[22:23]
	v_not_b32_e32 v22, v23
	v_ashrrev_i32_e32 v22, 31, v22
	v_xor_b32_e32 v23, s13, v22
	v_xor_b32_e32 v22, s12, v22
	v_and_b32_e32 v20, v20, v23
	v_and_b32_e32 v33, v33, v22
	v_lshlrev_b32_e32 v23, 28, v30
	v_mov_b32_e32 v22, v21
	v_cmp_gt_i64_e64 s[12:13], 0, v[22:23]
	v_not_b32_e32 v22, v23
	v_ashrrev_i32_e32 v22, 31, v22
	v_xor_b32_e32 v23, s13, v22
	v_xor_b32_e32 v22, s12, v22
	v_and_b32_e32 v20, v20, v23
	v_and_b32_e32 v33, v33, v22
	v_lshlrev_b32_e32 v23, 27, v30
	v_mov_b32_e32 v22, v21
	v_cmp_gt_i64_e64 s[12:13], 0, v[22:23]
	v_not_b32_e32 v22, v23
	v_ashrrev_i32_e32 v22, 31, v22
	v_xor_b32_e32 v23, s13, v22
	v_xor_b32_e32 v22, s12, v22
	v_and_b32_e32 v20, v20, v23
	v_and_b32_e32 v33, v33, v22
	v_lshlrev_b32_e32 v23, 26, v30
	v_mov_b32_e32 v22, v21
	v_cmp_gt_i64_e64 s[12:13], 0, v[22:23]
	v_not_b32_e32 v22, v23
	v_ashrrev_i32_e32 v22, 31, v22
	v_xor_b32_e32 v23, s13, v22
	v_xor_b32_e32 v22, s12, v22
	v_and_b32_e32 v20, v20, v23
	v_and_b32_e32 v33, v33, v22
	v_lshlrev_b32_e32 v23, 25, v30
	v_mov_b32_e32 v22, v21
	v_cmp_gt_i64_e64 s[12:13], 0, v[22:23]
	v_not_b32_e32 v22, v23
	v_ashrrev_i32_e32 v22, 31, v22
	v_xor_b32_e32 v23, s13, v22
	v_xor_b32_e32 v22, s12, v22
	v_and_b32_e32 v20, v20, v23
	v_and_b32_e32 v33, v33, v22
	v_lshlrev_b32_e32 v23, 24, v30
	v_mov_b32_e32 v22, v21
	v_cmp_gt_i64_e64 s[12:13], 0, v[22:23]
	v_not_b32_e32 v22, v23
	v_ashrrev_i32_e32 v22, 31, v22
	v_xor_b32_e32 v23, s13, v22
	v_xor_b32_e32 v22, s12, v22
	v_and_b32_e32 v22, v33, v22
	v_and_b32_e32 v23, v20, v23
	v_mbcnt_lo_u32_b32 v20, v22, 0
	v_mbcnt_hi_u32_b32 v30, v23, v20
	v_cmp_eq_u32_e64 s[12:13], 0, v30
	v_cmp_ne_u64_e64 s[14:15], 0, v[22:23]
	s_and_b64 s[14:15], s[14:15], s[12:13]
	; wave barrier
	s_and_saveexec_b64 s[12:13], s[14:15]
	s_cbranch_execz .LBB149_19
; %bb.18:
	v_bcnt_u32_b32 v20, v22, 0
	v_bcnt_u32_b32 v20, v23, v20
	s_waitcnt lgkmcnt(0)
	v_add_u32_e32 v20, v28, v20
	ds_write_b32 v29, v20 offset:64
.LBB149_19:
	s_or_b64 exec, exec, s[12:13]
	v_cmp_gt_i64_e64 s[12:13], 0, v[18:19]
	v_ashrrev_i32_e32 v22, 31, v19
	v_not_b32_e32 v22, v22
	v_cndmask_b32_e64 v20, v32, 0, s[12:13]
	v_xor_b32_e32 v19, v20, v19
	v_xor_b32_e32 v18, v22, v18
	v_cmp_ne_u64_e64 s[12:13], s[16:17], v[18:19]
	; wave barrier
	s_nop 1
	v_cndmask_b32_e64 v23, v32, v19, s[12:13]
	v_cndmask_b32_e64 v22, -1, v18, s[12:13]
	v_lshrrev_b64 v[22:23], s48, v[22:23]
	v_and_b32_e32 v33, s33, v22
	v_mul_lo_u32 v20, v33, s18
	v_lshl_add_u32 v32, v31, 2, v20
	v_and_b32_e32 v20, 1, v33
	v_lshl_add_u64 v[22:23], v[20:21], 0, -1
	v_cmp_ne_u32_e64 s[12:13], 0, v20
	ds_read_b32 v34, v32 offset:64
	s_nop 0
	v_xor_b32_e32 v22, s12, v22
	v_xor_b32_e32 v20, s13, v23
	v_and_b32_e32 v35, exec_lo, v22
	v_lshlrev_b32_e32 v23, 30, v33
	v_mov_b32_e32 v22, v21
	v_cmp_gt_i64_e64 s[12:13], 0, v[22:23]
	v_not_b32_e32 v22, v23
	v_ashrrev_i32_e32 v22, 31, v22
	v_and_b32_e32 v20, exec_hi, v20
	v_xor_b32_e32 v23, s13, v22
	v_xor_b32_e32 v22, s12, v22
	v_and_b32_e32 v20, v20, v23
	v_and_b32_e32 v35, v35, v22
	v_lshlrev_b32_e32 v23, 29, v33
	v_mov_b32_e32 v22, v21
	v_cmp_gt_i64_e64 s[12:13], 0, v[22:23]
	v_not_b32_e32 v22, v23
	v_ashrrev_i32_e32 v22, 31, v22
	v_xor_b32_e32 v23, s13, v22
	v_xor_b32_e32 v22, s12, v22
	v_and_b32_e32 v20, v20, v23
	v_and_b32_e32 v35, v35, v22
	v_lshlrev_b32_e32 v23, 28, v33
	v_mov_b32_e32 v22, v21
	v_cmp_gt_i64_e64 s[12:13], 0, v[22:23]
	v_not_b32_e32 v22, v23
	v_ashrrev_i32_e32 v22, 31, v22
	;; [unrolled: 9-line block ×5, first 2 shown]
	v_xor_b32_e32 v23, s13, v22
	v_xor_b32_e32 v22, s12, v22
	v_and_b32_e32 v20, v20, v23
	v_lshlrev_b32_e32 v23, 24, v33
	v_and_b32_e32 v35, v35, v22
	v_mov_b32_e32 v22, v21
	v_not_b32_e32 v21, v23
	v_cmp_gt_i64_e64 s[12:13], 0, v[22:23]
	v_ashrrev_i32_e32 v21, 31, v21
	; wave barrier
	s_nop 0
	v_xor_b32_e32 v22, s13, v21
	v_xor_b32_e32 v23, s12, v21
	v_and_b32_e32 v21, v20, v22
	v_and_b32_e32 v20, v35, v23
	v_mbcnt_lo_u32_b32 v22, v20, 0
	v_mbcnt_hi_u32_b32 v35, v21, v22
	v_cmp_eq_u32_e64 s[12:13], 0, v35
	v_cmp_ne_u64_e64 s[14:15], 0, v[20:21]
	s_and_b64 s[14:15], s[14:15], s[12:13]
	s_and_saveexec_b64 s[12:13], s[14:15]
	s_cbranch_execz .LBB149_21
; %bb.20:
	v_bcnt_u32_b32 v20, v20, 0
	v_bcnt_u32_b32 v20, v21, v20
	s_waitcnt lgkmcnt(0)
	v_add_u32_e32 v20, v34, v20
	ds_write_b32 v32, v20 offset:64
.LBB149_21:
	s_or_b64 exec, exec, s[12:13]
	v_bfrev_b32_e32 v38, -2
	v_cmp_gt_i64_e64 s[12:13], 0, v[12:13]
	v_ashrrev_i32_e32 v21, 31, v13
	v_not_b32_e32 v22, v21
	v_cndmask_b32_e64 v20, v38, 0, s[12:13]
	v_xor_b32_e32 v21, v20, v13
	v_xor_b32_e32 v20, v22, v12
	v_cmp_ne_u64_e64 s[12:13], s[16:17], v[20:21]
	; wave barrier
	s_nop 1
	v_cndmask_b32_e64 v13, v38, v21, s[12:13]
	v_cndmask_b32_e64 v12, -1, v20, s[12:13]
	v_lshrrev_b64 v[12:13], s48, v[12:13]
	v_and_b32_e32 v37, s33, v12
	v_mul_lo_u32 v12, v37, s18
	v_lshl_add_u32 v33, v31, 2, v12
	v_and_b32_e32 v12, 1, v37
	v_mov_b32_e32 v13, 0
	v_lshl_add_u64 v[22:23], v[12:13], 0, -1
	v_cmp_ne_u32_e64 s[12:13], 0, v12
	ds_read_b32 v36, v33 offset:64
	s_nop 0
	v_xor_b32_e32 v22, s12, v22
	v_xor_b32_e32 v12, s13, v23
	v_and_b32_e32 v39, exec_lo, v22
	v_lshlrev_b32_e32 v23, 30, v37
	v_mov_b32_e32 v22, v13
	v_cmp_gt_i64_e64 s[12:13], 0, v[22:23]
	v_not_b32_e32 v22, v23
	v_ashrrev_i32_e32 v22, 31, v22
	v_and_b32_e32 v12, exec_hi, v12
	v_xor_b32_e32 v23, s13, v22
	v_xor_b32_e32 v22, s12, v22
	v_and_b32_e32 v12, v12, v23
	v_and_b32_e32 v39, v39, v22
	v_lshlrev_b32_e32 v23, 29, v37
	v_mov_b32_e32 v22, v13
	v_cmp_gt_i64_e64 s[12:13], 0, v[22:23]
	v_not_b32_e32 v22, v23
	v_ashrrev_i32_e32 v22, 31, v22
	v_xor_b32_e32 v23, s13, v22
	v_xor_b32_e32 v22, s12, v22
	v_and_b32_e32 v12, v12, v23
	v_and_b32_e32 v39, v39, v22
	v_lshlrev_b32_e32 v23, 28, v37
	v_mov_b32_e32 v22, v13
	v_cmp_gt_i64_e64 s[12:13], 0, v[22:23]
	v_not_b32_e32 v22, v23
	v_ashrrev_i32_e32 v22, 31, v22
	;; [unrolled: 9-line block ×6, first 2 shown]
	v_xor_b32_e32 v23, s13, v22
	v_xor_b32_e32 v22, s12, v22
	v_and_b32_e32 v22, v39, v22
	v_and_b32_e32 v23, v12, v23
	v_mbcnt_lo_u32_b32 v12, v22, 0
	v_mbcnt_hi_u32_b32 v37, v23, v12
	v_cmp_eq_u32_e64 s[12:13], 0, v37
	v_cmp_ne_u64_e64 s[14:15], 0, v[22:23]
	s_and_b64 s[14:15], s[14:15], s[12:13]
	; wave barrier
	s_and_saveexec_b64 s[12:13], s[14:15]
	s_cbranch_execz .LBB149_23
; %bb.22:
	v_bcnt_u32_b32 v12, v22, 0
	v_bcnt_u32_b32 v12, v23, v12
	s_waitcnt lgkmcnt(0)
	v_add_u32_e32 v12, v36, v12
	ds_write_b32 v33, v12 offset:64
.LBB149_23:
	s_or_b64 exec, exec, s[12:13]
	v_cmp_gt_i64_e64 s[12:13], 0, v[10:11]
	v_ashrrev_i32_e32 v22, 31, v11
	v_not_b32_e32 v22, v22
	v_cndmask_b32_e64 v12, v38, 0, s[12:13]
	v_xor_b32_e32 v23, v12, v11
	v_xor_b32_e32 v22, v22, v10
	v_cmp_ne_u64_e64 s[12:13], s[16:17], v[22:23]
	; wave barrier
	s_nop 1
	v_cndmask_b32_e64 v11, v38, v23, s[12:13]
	v_cndmask_b32_e64 v10, -1, v22, s[12:13]
	v_lshrrev_b64 v[10:11], s48, v[10:11]
	v_and_b32_e32 v39, s33, v10
	v_mul_lo_u32 v10, v39, s18
	v_and_b32_e32 v12, 1, v39
	v_lshl_add_u32 v38, v31, 2, v10
	v_lshl_add_u64 v[10:11], v[12:13], 0, -1
	v_cmp_ne_u32_e64 s[12:13], 0, v12
	ds_read_b32 v31, v38 offset:64
	s_nop 0
	v_xor_b32_e32 v11, s13, v11
	v_xor_b32_e32 v10, s12, v10
	v_and_b32_e32 v12, exec_hi, v11
	v_and_b32_e32 v40, exec_lo, v10
	v_lshlrev_b32_e32 v11, 30, v39
	v_mov_b32_e32 v10, v13
	v_cmp_gt_i64_e64 s[12:13], 0, v[10:11]
	v_not_b32_e32 v10, v11
	v_ashrrev_i32_e32 v10, 31, v10
	v_xor_b32_e32 v11, s13, v10
	v_xor_b32_e32 v10, s12, v10
	v_and_b32_e32 v12, v12, v11
	v_and_b32_e32 v40, v40, v10
	v_lshlrev_b32_e32 v11, 29, v39
	v_mov_b32_e32 v10, v13
	v_cmp_gt_i64_e64 s[12:13], 0, v[10:11]
	v_not_b32_e32 v10, v11
	v_ashrrev_i32_e32 v10, 31, v10
	v_xor_b32_e32 v11, s13, v10
	v_xor_b32_e32 v10, s12, v10
	v_and_b32_e32 v12, v12, v11
	v_and_b32_e32 v40, v40, v10
	;; [unrolled: 9-line block ×7, first 2 shown]
	v_mbcnt_lo_u32_b32 v12, v10, 0
	v_mbcnt_hi_u32_b32 v39, v11, v12
	v_cmp_eq_u32_e64 s[12:13], 0, v39
	v_cmp_ne_u64_e64 s[14:15], 0, v[10:11]
	s_and_b64 s[14:15], s[14:15], s[12:13]
	; wave barrier
	s_and_saveexec_b64 s[12:13], s[14:15]
	s_cbranch_execz .LBB149_25
; %bb.24:
	v_bcnt_u32_b32 v10, v10, 0
	v_bcnt_u32_b32 v10, v11, v10
	s_waitcnt lgkmcnt(0)
	v_add_u32_e32 v10, v31, v10
	ds_write_b32 v38, v10 offset:64
.LBB149_25:
	s_or_b64 exec, exec, s[12:13]
	; wave barrier
	s_waitcnt lgkmcnt(0)
	s_barrier
	ds_read2_b32 v[12:13], v3 offset0:16 offset1:17
	ds_read2_b32 v[10:11], v3 offset0:18 offset1:19
	ds_read_b32 v40, v3 offset:80
	v_cmp_lt_u32_e64 s[20:21], 31, v7
	s_waitcnt lgkmcnt(1)
	v_add3_u32 v41, v13, v12, v10
	s_waitcnt lgkmcnt(0)
	v_add3_u32 v40, v41, v11, v40
	v_and_b32_e32 v41, 15, v7
	v_cmp_eq_u32_e64 s[12:13], 0, v41
	v_mov_b32_dpp v42, v40 row_shr:1 row_mask:0xf bank_mask:0xf
	v_cmp_lt_u32_e64 s[14:15], 1, v41
	v_cndmask_b32_e64 v42, v42, 0, s[12:13]
	v_add_u32_e32 v40, v42, v40
	v_cmp_lt_u32_e64 s[16:17], 3, v41
	v_cmp_lt_u32_e64 s[18:19], 7, v41
	v_mov_b32_dpp v42, v40 row_shr:2 row_mask:0xf bank_mask:0xf
	v_cndmask_b32_e64 v42, 0, v42, s[14:15]
	v_add_u32_e32 v40, v40, v42
	s_nop 1
	v_mov_b32_dpp v42, v40 row_shr:4 row_mask:0xf bank_mask:0xf
	v_cndmask_b32_e64 v42, 0, v42, s[16:17]
	v_add_u32_e32 v40, v40, v42
	s_nop 1
	v_mov_b32_dpp v42, v40 row_shr:8 row_mask:0xf bank_mask:0xf
	v_cndmask_b32_e64 v41, 0, v42, s[18:19]
	v_add_u32_e32 v40, v40, v41
	v_bfe_i32 v42, v7, 4, 1
	s_nop 0
	v_mov_b32_dpp v41, v40 row_bcast:15 row_mask:0xf bank_mask:0xf
	v_and_b32_e32 v41, v42, v41
	v_add_u32_e32 v40, v40, v41
	v_and_b32_e32 v42, 63, v6
	s_nop 0
	v_mov_b32_dpp v41, v40 row_bcast:31 row_mask:0xf bank_mask:0xf
	v_cndmask_b32_e64 v41, 0, v41, s[20:21]
	v_add_u32_e32 v40, v40, v41
	v_lshrrev_b32_e32 v41, 6, v6
	v_cmp_eq_u32_e64 s[20:21], 63, v42
	s_and_saveexec_b64 s[22:23], s[20:21]
; %bb.26:
	v_lshlrev_b32_e32 v42, 2, v41
	ds_write_b32 v42, v40
; %bb.27:
	s_or_b64 exec, exec, s[22:23]
	v_cmp_gt_u32_e64 s[20:21], 16, v6
	s_waitcnt lgkmcnt(0)
	s_barrier
	s_and_saveexec_b64 s[22:23], s[20:21]
	s_cbranch_execz .LBB149_29
; %bb.28:
	v_lshlrev_b32_e32 v42, 2, v6
	ds_read_b32 v43, v42
	s_waitcnt lgkmcnt(0)
	s_nop 0
	v_mov_b32_dpp v44, v43 row_shr:1 row_mask:0xf bank_mask:0xf
	v_cndmask_b32_e64 v44, v44, 0, s[12:13]
	v_add_u32_e32 v43, v44, v43
	s_nop 1
	v_mov_b32_dpp v44, v43 row_shr:2 row_mask:0xf bank_mask:0xf
	v_cndmask_b32_e64 v44, 0, v44, s[14:15]
	v_add_u32_e32 v43, v43, v44
	;; [unrolled: 4-line block ×4, first 2 shown]
	ds_write_b32 v42, v43
.LBB149_29:
	s_or_b64 exec, exec, s[22:23]
	v_cmp_lt_u32_e64 s[12:13], 63, v6
	v_mov_b32_e32 v42, 0
	s_waitcnt lgkmcnt(0)
	s_barrier
	s_and_saveexec_b64 s[14:15], s[12:13]
; %bb.30:
	v_lshl_add_u32 v41, v41, 2, -4
	ds_read_b32 v42, v41
; %bb.31:
	s_or_b64 exec, exec, s[14:15]
	v_add_u32_e32 v41, -1, v7
	v_and_b32_e32 v43, 64, v7
	v_cmp_lt_i32_e64 s[12:13], v41, v43
	s_waitcnt lgkmcnt(0)
	v_add_u32_e32 v40, v42, v40
	s_movk_i32 s16, 0x100
	v_cndmask_b32_e64 v41, v41, v7, s[12:13]
	v_lshlrev_b32_e32 v41, 2, v41
	ds_bpermute_b32 v40, v41, v40
	v_cmp_eq_u32_e64 s[12:13], 0, v7
	v_cmp_gt_u32_e64 s[14:15], s16, v6
	s_waitcnt lgkmcnt(0)
	v_cndmask_b32_e64 v7, v40, v42, s[12:13]
	v_cmp_ne_u32_e64 s[12:13], 0, v6
	s_nop 1
	v_cndmask_b32_e64 v7, 0, v7, s[12:13]
	v_add_u32_e32 v12, v7, v12
	v_add_u32_e32 v13, v12, v13
	;; [unrolled: 1-line block ×4, first 2 shown]
	ds_write2_b32 v3, v7, v12 offset0:16 offset1:17
	ds_write2_b32 v3, v13, v10 offset0:18 offset1:19
	ds_write_b32 v3, v11 offset:80
	s_waitcnt lgkmcnt(0)
	s_barrier
	ds_read_b32 v13, v24 offset:64
	ds_read_b32 v40, v26 offset:64
	;; [unrolled: 1-line block ×6, first 2 shown]
	s_movk_i32 s12, 0xff
	v_cmp_lt_u32_e64 s[12:13], s12, v6
	v_mov_b64_e32 v[10:11], 0
                                        ; implicit-def: $vgpr12
	s_and_saveexec_b64 s[18:19], s[14:15]
	s_cbranch_execz .LBB149_35
; %bb.32:
	v_mul_u32_u24_e32 v10, 0x44, v6
	ds_read_b32 v10, v10 offset:64
	v_add_u32_e32 v12, 1, v6
	v_cmp_ne_u32_e64 s[16:17], s16, v12
	v_mov_b32_e32 v11, 0x1800
	s_and_saveexec_b64 s[20:21], s[16:17]
; %bb.33:
	v_mul_u32_u24_e32 v11, 0x44, v12
	ds_read_b32 v11, v11 offset:64
; %bb.34:
	s_or_b64 exec, exec, s[20:21]
	s_waitcnt lgkmcnt(0)
	v_sub_u32_e32 v12, v11, v10
	v_mov_b32_e32 v11, 0
.LBB149_35:
	s_or_b64 exec, exec, s[18:19]
	v_lshlrev_b32_e32 v5, 3, v5
	s_waitcnt lgkmcnt(5)
	v_lshl_add_u32 v13, v13, 3, v5
	s_waitcnt lgkmcnt(0)
	s_barrier
	ds_write_b64 v13, v[8:9] offset:2048
	v_lshlrev_b32_e32 v5, 3, v40
	v_lshlrev_b32_e32 v8, 3, v27
	v_lshlrev_b32_e32 v9, 3, v25
	v_add3_u32 v32, v5, v8, v9
	v_lshlrev_b32_e32 v5, 3, v26
	v_lshlrev_b32_e32 v8, 3, v30
	v_lshlrev_b32_e32 v9, 3, v28
	v_add3_u32 v33, v5, v8, v9
	;; [unrolled: 4-line block ×4, first 2 shown]
	v_lshlrev_b32_e32 v3, 3, v3
	v_lshlrev_b32_e32 v5, 3, v39
	;; [unrolled: 1-line block ×3, first 2 shown]
	ds_write_b64 v32, v[14:15] offset:2048
	v_add3_u32 v36, v3, v5, v7
	v_mov_b32_e32 v15, 0
	v_lshlrev_b32_e32 v8, 3, v6
	ds_write_b64 v33, v[16:17] offset:2048
	ds_write_b64 v34, v[18:19] offset:2048
	;; [unrolled: 1-line block ×4, first 2 shown]
	s_waitcnt lgkmcnt(0)
	s_barrier
	s_and_saveexec_b64 s[16:17], s[14:15]
	s_cbranch_execz .LBB149_45
; %bb.36:
	v_lshl_add_u32 v14, s2, 8, v6
	v_lshl_add_u64 v[16:17], v[14:15], 2, s[30:31]
	v_or_b32_e32 v3, 2.0, v12
	global_store_dword v[16:17], v3, off sc1
	s_mov_b64 s[18:19], 0
	s_brev_b32 s24, -4
	s_mov_b32 s25, s2
	v_mov_b32_e32 v3, 0
                                        ; implicit-def: $sgpr14_sgpr15
	s_branch .LBB149_39
.LBB149_37:                             ;   in Loop: Header=BB149_39 Depth=1
	s_or_b64 exec, exec, s[22:23]
.LBB149_38:                             ;   in Loop: Header=BB149_39 Depth=1
	s_or_b64 exec, exec, s[20:21]
	v_and_b32_e32 v7, 0x3fffffff, v5
	v_add_u32_e32 v3, v7, v3
	v_cmp_gt_i32_e64 s[14:15], -2.0, v5
	s_and_b64 s[20:21], exec, s[14:15]
	s_or_b64 s[18:19], s[20:21], s[18:19]
	s_andn2_b64 exec, exec, s[18:19]
	s_cbranch_execz .LBB149_44
.LBB149_39:                             ; =>This Loop Header: Depth=1
                                        ;     Child Loop BB149_42 Depth 2
	s_or_b64 s[14:15], s[14:15], exec
	s_cmp_eq_u32 s25, 0
	s_cbranch_scc1 .LBB149_43
; %bb.40:                               ;   in Loop: Header=BB149_39 Depth=1
	s_add_i32 s25, s25, -1
	v_lshl_or_b32 v14, s25, 8, v6
	v_lshl_add_u64 v[18:19], v[14:15], 2, s[30:31]
	global_load_dword v5, v[18:19], off sc1
	s_waitcnt vmcnt(0)
	v_cmp_gt_u32_e64 s[14:15], 2.0, v5
	s_and_saveexec_b64 s[20:21], s[14:15]
	s_cbranch_execz .LBB149_38
; %bb.41:                               ;   in Loop: Header=BB149_39 Depth=1
	s_mov_b64 s[22:23], 0
.LBB149_42:                             ;   Parent Loop BB149_39 Depth=1
                                        ; =>  This Inner Loop Header: Depth=2
	global_load_dword v5, v[18:19], off sc1
	s_waitcnt vmcnt(0)
	v_cmp_lt_u32_e64 s[14:15], s24, v5
	s_or_b64 s[22:23], s[14:15], s[22:23]
	s_andn2_b64 exec, exec, s[22:23]
	s_cbranch_execnz .LBB149_42
	s_branch .LBB149_37
.LBB149_43:                             ;   in Loop: Header=BB149_39 Depth=1
                                        ; implicit-def: $sgpr25
	s_and_b64 s[20:21], exec, s[14:15]
	s_or_b64 s[18:19], s[20:21], s[18:19]
	s_andn2_b64 exec, exec, s[18:19]
	s_cbranch_execnz .LBB149_39
.LBB149_44:
	s_or_b64 exec, exec, s[18:19]
	v_add_u32_e32 v5, v3, v12
	v_or_b32_e32 v5, 0x80000000, v5
	global_store_dword v[16:17], v5, off sc1
	global_load_dwordx2 v[14:15], v8, s[44:45]
	v_sub_co_u32_e64 v16, s[14:15], v3, v10
	s_nop 1
	v_subb_co_u32_e64 v17, s[14:15], 0, v11, s[14:15]
	s_waitcnt vmcnt(0)
	v_lshl_add_u64 v[14:15], v[16:17], 0, v[14:15]
	ds_write_b64 v8, v[14:15]
.LBB149_45:
	s_or_b64 exec, exec, s[16:17]
	v_cmp_gt_u32_e64 s[14:15], s35, v6
	s_waitcnt lgkmcnt(0)
	s_barrier
	s_and_saveexec_b64 s[18:19], s[14:15]
	s_cbranch_execz .LBB149_47
; %bb.46:
	ds_read_b64 v[14:15], v8 offset:2048
	s_mov_b32 s16, 0
	s_brev_b32 s17, 1
	v_bfrev_b32_e32 v3, -2
	v_mov_b32_e32 v9, 0
	s_waitcnt lgkmcnt(0)
	v_cmp_ne_u64_e64 s[16:17], s[16:17], v[14:15]
	s_nop 1
	v_cndmask_b32_e64 v17, v3, v15, s[16:17]
	v_cndmask_b32_e64 v16, -1, v14, s[16:17]
	v_lshrrev_b64 v[16:17], s48, v[16:17]
	v_and_b32_e32 v5, s33, v16
	v_lshlrev_b32_e32 v5, 3, v5
	ds_read_b64 v[16:17], v5
	v_cmp_gt_i64_e64 s[16:17], 0, v[14:15]
	v_ashrrev_i32_e32 v5, 31, v15
	v_not_b32_e32 v5, v5
	v_cndmask_b32_e64 v3, v3, 0, s[16:17]
	s_waitcnt lgkmcnt(0)
	v_lshl_add_u64 v[16:17], v[16:17], 3, s[38:39]
	v_xor_b32_e32 v15, v3, v15
	v_xor_b32_e32 v14, v5, v14
	v_lshl_add_u64 v[16:17], v[16:17], 0, v[8:9]
	global_store_dwordx2 v[16:17], v[14:15], off
.LBB149_47:
	s_or_b64 exec, exec, s[18:19]
	v_or_b32_e32 v3, 0x400, v6
	v_cmp_gt_u32_e64 s[16:17], s35, v3
	v_lshlrev_b32_e32 v14, 3, v3
	s_and_saveexec_b64 s[20:21], s[16:17]
	s_cbranch_execz .LBB149_49
; %bb.48:
	ds_read_b64 v[16:17], v8 offset:10240
	s_mov_b32 s18, 0
	s_brev_b32 s19, 1
	v_bfrev_b32_e32 v3, -2
	v_mov_b32_e32 v15, 0
	s_waitcnt lgkmcnt(0)
	v_cmp_ne_u64_e64 s[18:19], s[18:19], v[16:17]
	s_nop 1
	v_cndmask_b32_e64 v19, v3, v17, s[18:19]
	v_cndmask_b32_e64 v18, -1, v16, s[18:19]
	v_lshrrev_b64 v[18:19], s48, v[18:19]
	v_and_b32_e32 v5, s33, v18
	v_lshlrev_b32_e32 v5, 3, v5
	ds_read_b64 v[18:19], v5
	v_cmp_gt_i64_e64 s[18:19], 0, v[16:17]
	v_ashrrev_i32_e32 v5, 31, v17
	v_not_b32_e32 v5, v5
	v_cndmask_b32_e64 v3, v3, 0, s[18:19]
	s_waitcnt lgkmcnt(0)
	v_lshl_add_u64 v[18:19], v[18:19], 3, s[38:39]
	v_xor_b32_e32 v17, v3, v17
	v_xor_b32_e32 v16, v5, v16
	v_lshl_add_u64 v[18:19], v[18:19], 0, v[14:15]
	global_store_dwordx2 v[18:19], v[16:17], off
.LBB149_49:
	s_or_b64 exec, exec, s[20:21]
	v_or_b32_e32 v3, 0x800, v6
	v_cmp_gt_u32_e64 s[18:19], s35, v3
	v_lshlrev_b32_e32 v16, 3, v3
	;; [unrolled: 32-line block ×5, first 2 shown]
	s_and_saveexec_b64 s[52:53], s[24:25]
	s_cbranch_execz .LBB149_57
; %bb.56:
	ds_read_b64 v[22:23], v8 offset:43008
	s_mov_b32 s28, 0
	s_brev_b32 s29, 1
	v_bfrev_b32_e32 v3, -2
	v_mov_b32_e32 v7, 0
	s_waitcnt lgkmcnt(0)
	v_cmp_ne_u64_e64 s[28:29], s[28:29], v[22:23]
	s_nop 1
	v_cndmask_b32_e64 v25, v3, v23, s[28:29]
	v_cndmask_b32_e64 v24, -1, v22, s[28:29]
	v_lshrrev_b64 v[24:25], s48, v[24:25]
	v_and_b32_e32 v5, s33, v24
	v_lshlrev_b32_e32 v5, 3, v5
	ds_read_b64 v[24:25], v5
	v_cmp_gt_i64_e64 s[28:29], 0, v[22:23]
	v_ashrrev_i32_e32 v5, 31, v23
	v_not_b32_e32 v5, v5
	v_cndmask_b32_e64 v3, v3, 0, s[28:29]
	s_waitcnt lgkmcnt(0)
	v_lshl_add_u64 v[24:25], v[24:25], 3, s[38:39]
	v_xor_b32_e32 v23, v3, v23
	v_xor_b32_e32 v22, v5, v22
	v_lshl_add_u64 v[24:25], v[24:25], 0, v[6:7]
	global_store_dwordx2 v[24:25], v[22:23], off
.LBB149_57:
	s_or_b64 exec, exec, s[52:53]
	s_add_u32 s28, s40, s50
	s_addc_u32 s29, s41, s51
	v_mov_b32_e32 v3, 0
	v_lshl_add_u64 v[22:23], s[28:29], 0, v[2:3]
	v_mov_b32_e32 v5, v3
	v_lshl_add_u64 v[30:31], v[22:23], 0, v[4:5]
                                        ; implicit-def: $vgpr2_vgpr3
	s_and_saveexec_b64 s[28:29], vcc
	s_xor_b64 s[28:29], exec, s[28:29]
	s_cbranch_execz .LBB149_63
; %bb.58:
	global_load_dwordx2 v[2:3], v[30:31], off
	s_or_b64 exec, exec, s[28:29]
                                        ; implicit-def: $vgpr4_vgpr5
	s_and_saveexec_b64 s[28:29], s[26:27]
	s_cbranch_execnz .LBB149_64
.LBB149_59:
	s_or_b64 exec, exec, s[28:29]
                                        ; implicit-def: $vgpr22_vgpr23
	s_and_saveexec_b64 s[26:27], s[4:5]
	s_cbranch_execz .LBB149_65
.LBB149_60:
	global_load_dwordx2 v[22:23], v[30:31], off offset:1024
	s_or_b64 exec, exec, s[26:27]
                                        ; implicit-def: $vgpr24_vgpr25
	s_and_saveexec_b64 s[4:5], s[6:7]
	s_cbranch_execnz .LBB149_66
.LBB149_61:
	s_or_b64 exec, exec, s[4:5]
                                        ; implicit-def: $vgpr26_vgpr27
	s_and_saveexec_b64 s[4:5], s[8:9]
	s_cbranch_execz .LBB149_67
.LBB149_62:
	global_load_dwordx2 v[26:27], v[30:31], off offset:2048
	s_or_b64 exec, exec, s[4:5]
                                        ; implicit-def: $vgpr28_vgpr29
	s_and_saveexec_b64 s[4:5], s[10:11]
	s_cbranch_execnz .LBB149_68
	s_branch .LBB149_69
.LBB149_63:
	s_or_b64 exec, exec, s[28:29]
                                        ; implicit-def: $vgpr4_vgpr5
	s_and_saveexec_b64 s[28:29], s[26:27]
	s_cbranch_execz .LBB149_59
.LBB149_64:
	global_load_dwordx2 v[4:5], v[30:31], off offset:512
	s_or_b64 exec, exec, s[28:29]
                                        ; implicit-def: $vgpr22_vgpr23
	s_and_saveexec_b64 s[26:27], s[4:5]
	s_cbranch_execnz .LBB149_60
.LBB149_65:
	s_or_b64 exec, exec, s[26:27]
                                        ; implicit-def: $vgpr24_vgpr25
	s_and_saveexec_b64 s[4:5], s[6:7]
	s_cbranch_execz .LBB149_61
.LBB149_66:
	global_load_dwordx2 v[24:25], v[30:31], off offset:1536
	s_or_b64 exec, exec, s[4:5]
                                        ; implicit-def: $vgpr26_vgpr27
	s_and_saveexec_b64 s[4:5], s[8:9]
	s_cbranch_execnz .LBB149_62
.LBB149_67:
	s_or_b64 exec, exec, s[4:5]
                                        ; implicit-def: $vgpr28_vgpr29
	s_and_saveexec_b64 s[4:5], s[10:11]
	s_cbranch_execz .LBB149_69
.LBB149_68:
	global_load_dwordx2 v[28:29], v[30:31], off offset:2560
.LBB149_69:
	s_or_b64 exec, exec, s[4:5]
	v_mov_b32_e32 v7, 0
	v_mov_b32_e32 v9, 0
	s_and_saveexec_b64 s[4:5], s[14:15]
	s_cbranch_execz .LBB149_71
; %bb.70:
	ds_read_b64 v[30:31], v8 offset:2048
	s_mov_b32 s6, 0
	s_brev_b32 s7, 1
	v_bfrev_b32_e32 v9, -2
	s_waitcnt lgkmcnt(0)
	v_cmp_ne_u64_e32 vcc, s[6:7], v[30:31]
	s_nop 1
	v_cndmask_b32_e32 v31, v9, v31, vcc
	v_cndmask_b32_e32 v30, -1, v30, vcc
	v_lshrrev_b64 v[30:31], s48, v[30:31]
	v_and_b32_e32 v9, s33, v30
.LBB149_71:
	s_or_b64 exec, exec, s[4:5]
	s_and_saveexec_b64 s[4:5], s[16:17]
	s_cbranch_execz .LBB149_73
; %bb.72:
	ds_read_b64 v[30:31], v8 offset:10240
	s_mov_b32 s6, 0
	s_brev_b32 s7, 1
	v_bfrev_b32_e32 v7, -2
	s_waitcnt lgkmcnt(0)
	v_cmp_ne_u64_e32 vcc, s[6:7], v[30:31]
	s_nop 1
	v_cndmask_b32_e32 v31, v7, v31, vcc
	v_cndmask_b32_e32 v30, -1, v30, vcc
	v_lshrrev_b64 v[30:31], s48, v[30:31]
	v_and_b32_e32 v7, s33, v30
.LBB149_73:
	s_or_b64 exec, exec, s[4:5]
	v_mov_b32_e32 v19, 0
	v_mov_b32_e32 v17, 0
	s_and_saveexec_b64 s[4:5], s[18:19]
	s_cbranch_execz .LBB149_75
; %bb.74:
	ds_read_b64 v[30:31], v8 offset:18432
	s_mov_b32 s6, 0
	s_brev_b32 s7, 1
	v_bfrev_b32_e32 v15, -2
	s_waitcnt lgkmcnt(0)
	v_cmp_ne_u64_e32 vcc, s[6:7], v[30:31]
	s_nop 1
	v_cndmask_b32_e32 v31, v15, v31, vcc
	v_cndmask_b32_e32 v30, -1, v30, vcc
	v_lshrrev_b64 v[30:31], s48, v[30:31]
	v_and_b32_e32 v17, s33, v30
.LBB149_75:
	s_or_b64 exec, exec, s[4:5]
	s_and_saveexec_b64 s[4:5], s[20:21]
	s_cbranch_execz .LBB149_77
; %bb.76:
	ds_read_b64 v[30:31], v8 offset:26624
	s_mov_b32 s6, 0
	s_brev_b32 s7, 1
	v_bfrev_b32_e32 v15, -2
	s_waitcnt lgkmcnt(0)
	v_cmp_ne_u64_e32 vcc, s[6:7], v[30:31]
	s_nop 1
	v_cndmask_b32_e32 v31, v15, v31, vcc
	v_cndmask_b32_e32 v30, -1, v30, vcc
	v_lshrrev_b64 v[30:31], s48, v[30:31]
	v_and_b32_e32 v19, s33, v30
.LBB149_77:
	;; [unrolled: 34-line block ×3, first 2 shown]
	s_or_b64 exec, exec, s[4:5]
	s_barrier
	s_waitcnt vmcnt(0)
	ds_write_b64 v13, v[2:3] offset:2048
	ds_write_b64 v32, v[4:5] offset:2048
	;; [unrolled: 1-line block ×6, first 2 shown]
	s_waitcnt lgkmcnt(0)
	s_barrier
	s_and_saveexec_b64 s[4:5], s[14:15]
	s_cbranch_execz .LBB149_87
; %bb.82:
	v_lshlrev_b32_e32 v2, 3, v9
	ds_read_b64 v[2:3], v2
	ds_read_b64 v[4:5], v8 offset:2048
	v_mov_b32_e32 v9, 0
	s_waitcnt lgkmcnt(1)
	v_lshl_add_u64 v[2:3], v[2:3], 3, s[42:43]
	v_lshl_add_u64 v[2:3], v[2:3], 0, v[8:9]
	s_waitcnt lgkmcnt(0)
	global_store_dwordx2 v[2:3], v[4:5], off
	s_or_b64 exec, exec, s[4:5]
	s_and_saveexec_b64 s[4:5], s[16:17]
	s_cbranch_execnz .LBB149_88
.LBB149_83:
	s_or_b64 exec, exec, s[4:5]
	s_and_saveexec_b64 s[4:5], s[18:19]
	s_cbranch_execz .LBB149_89
.LBB149_84:
	v_lshlrev_b32_e32 v2, 3, v17
	ds_read_b64 v[2:3], v2
	ds_read_b64 v[4:5], v8 offset:18432
	v_mov_b32_e32 v17, 0
	s_waitcnt lgkmcnt(1)
	v_lshl_add_u64 v[2:3], v[2:3], 3, s[42:43]
	v_lshl_add_u64 v[2:3], v[2:3], 0, v[16:17]
	s_waitcnt lgkmcnt(0)
	global_store_dwordx2 v[2:3], v[4:5], off
	s_or_b64 exec, exec, s[4:5]
	s_and_saveexec_b64 s[4:5], s[20:21]
	s_cbranch_execnz .LBB149_90
.LBB149_85:
	s_or_b64 exec, exec, s[4:5]
	s_and_saveexec_b64 s[4:5], s[22:23]
	s_cbranch_execz .LBB149_91
.LBB149_86:
	v_lshlrev_b32_e32 v2, 3, v21
	ds_read_b64 v[2:3], v2
	ds_read_b64 v[4:5], v8 offset:34816
	v_mov_b32_e32 v21, 0
	s_waitcnt lgkmcnt(1)
	v_lshl_add_u64 v[2:3], v[2:3], 3, s[42:43]
	v_lshl_add_u64 v[2:3], v[2:3], 0, v[20:21]
	s_waitcnt lgkmcnt(0)
	global_store_dwordx2 v[2:3], v[4:5], off
	s_or_b64 exec, exec, s[4:5]
	s_and_saveexec_b64 s[4:5], s[24:25]
	s_cbranch_execnz .LBB149_92
	s_branch .LBB149_93
.LBB149_87:
	s_or_b64 exec, exec, s[4:5]
	s_and_saveexec_b64 s[4:5], s[16:17]
	s_cbranch_execz .LBB149_83
.LBB149_88:
	v_lshlrev_b32_e32 v2, 3, v7
	ds_read_b64 v[2:3], v2
	ds_read_b64 v[4:5], v8 offset:10240
	v_mov_b32_e32 v15, 0
	s_waitcnt lgkmcnt(1)
	v_lshl_add_u64 v[2:3], v[2:3], 3, s[42:43]
	v_lshl_add_u64 v[2:3], v[2:3], 0, v[14:15]
	s_waitcnt lgkmcnt(0)
	global_store_dwordx2 v[2:3], v[4:5], off
	s_or_b64 exec, exec, s[4:5]
	s_and_saveexec_b64 s[4:5], s[18:19]
	s_cbranch_execnz .LBB149_84
.LBB149_89:
	s_or_b64 exec, exec, s[4:5]
	s_and_saveexec_b64 s[4:5], s[20:21]
	s_cbranch_execz .LBB149_85
.LBB149_90:
	v_lshlrev_b32_e32 v2, 3, v19
	ds_read_b64 v[2:3], v2
	ds_read_b64 v[4:5], v8 offset:26624
	v_mov_b32_e32 v19, 0
	s_waitcnt lgkmcnt(1)
	v_lshl_add_u64 v[2:3], v[2:3], 3, s[42:43]
	v_lshl_add_u64 v[2:3], v[2:3], 0, v[18:19]
	s_waitcnt lgkmcnt(0)
	global_store_dwordx2 v[2:3], v[4:5], off
	s_or_b64 exec, exec, s[4:5]
	s_and_saveexec_b64 s[4:5], s[22:23]
	s_cbranch_execnz .LBB149_86
.LBB149_91:
	s_or_b64 exec, exec, s[4:5]
	s_and_saveexec_b64 s[4:5], s[24:25]
	s_cbranch_execz .LBB149_93
.LBB149_92:
	v_lshlrev_b32_e32 v2, 3, v30
	ds_read_b64 v[2:3], v2
	ds_read_b64 v[4:5], v8 offset:43008
	v_mov_b32_e32 v7, 0
	s_waitcnt lgkmcnt(1)
	v_lshl_add_u64 v[2:3], v[2:3], 3, s[42:43]
	v_lshl_add_u64 v[2:3], v[2:3], 0, v[6:7]
	s_waitcnt lgkmcnt(0)
	global_store_dwordx2 v[2:3], v[4:5], off
.LBB149_93:
	s_or_b64 exec, exec, s[4:5]
	s_add_i32 s3, s3, -1
	s_cmp_eq_u32 s2, s3
	s_cselect_b64 s[4:5], -1, 0
	s_xor_b64 s[6:7], s[12:13], -1
	s_and_b64 s[6:7], s[6:7], s[4:5]
	s_and_saveexec_b64 s[4:5], s[6:7]
	s_cbranch_execz .LBB149_95
; %bb.94:
	ds_read_b64 v[2:3], v8
	v_mov_b32_e32 v13, 0
	v_lshl_add_u64 v[4:5], v[10:11], 0, v[12:13]
	s_waitcnt lgkmcnt(0)
	v_lshl_add_u64 v[2:3], v[4:5], 0, v[2:3]
	global_store_dwordx2 v8, v[2:3], s[46:47]
.LBB149_95:
	s_or_b64 exec, exec, s[4:5]
	s_mov_b64 s[4:5], 0
.LBB149_96:
	s_and_b64 vcc, exec, s[4:5]
	s_cbranch_vccz .LBB149_131
; %bb.97:
	s_mov_b32 s35, 0
	s_lshl_b64 s[10:11], s[34:35], 3
	s_add_u32 s4, s36, s10
	v_mbcnt_hi_u32_b32 v3, -1, v1
	v_mov_b32_e32 v7, 0
	s_addc_u32 s5, s37, s11
	v_and_b32_e32 v1, 0x3c0, v0
	v_lshlrev_b32_e32 v8, 3, v3
	v_mov_b32_e32 v9, v7
	v_mul_u32_u24_e32 v1, 6, v1
	v_lshl_add_u64 v[4:5], s[4:5], 0, v[8:9]
	s_load_dword s3, s[0:1], 0x50
	s_load_dword s4, s[0:1], 0x5c
	v_lshlrev_b32_e32 v10, 3, v1
	v_mov_b32_e32 v11, v7
	v_lshl_add_u64 v[20:21], v[4:5], 0, v[10:11]
	global_load_dwordx2 v[24:25], v[20:21], off
	s_add_u32 s0, s0, 0x50
	s_addc_u32 s1, s1, 0
	s_waitcnt lgkmcnt(0)
	s_lshr_b32 s4, s4, 16
	s_cmp_lt_u32 s2, s3
	s_cselect_b32 s5, 12, 18
	s_add_u32 s0, s0, s5
	s_addc_u32 s1, s1, 0
	global_load_ushort v6, v7, s[0:1]
	v_and_b32_e32 v2, 0x3ff, v0
	v_mul_u32_u24_e32 v9, 20, v2
	ds_write2_b32 v9, v7, v7 offset0:16 offset1:17
	ds_write2_b32 v9, v7, v7 offset0:18 offset1:19
	ds_write_b32 v9, v7 offset:80
	global_load_dwordx2 v[4:5], v[20:21], off offset:512
	global_load_dwordx2 v[18:19], v[20:21], off offset:1024
	;; [unrolled: 1-line block ×5, first 2 shown]
	v_bfe_u32 v1, v0, 10, 10
	v_bfe_u32 v0, v0, 20, 10
	v_bfrev_b32_e32 v23, -2
	v_mad_u32_u24 v11, v0, s4, v1
	s_brev_b32 s13, 1
	s_mov_b32 s12, s35
	s_lshl_b32 s4, -1, s49
	v_mov_b32_e32 v28, v7
	v_mov_b32_e32 v30, v7
	s_not_b32 s14, s4
	v_mov_b32_e32 v32, v7
	v_mov_b32_e32 v34, v7
	s_movk_i32 s15, 0x44
	s_waitcnt lgkmcnt(0)
	s_barrier
	s_waitcnt vmcnt(6)
	; wave barrier
	v_cmp_gt_i64_e32 vcc, 0, v[24:25]
	v_ashrrev_i32_e32 v1, 31, v25
	s_nop 0
	v_cndmask_b32_e64 v0, v23, 0, vcc
	v_not_b32_e32 v20, v1
	v_xor_b32_e32 v1, v0, v25
	v_xor_b32_e32 v0, v20, v24
	v_cmp_ne_u64_e32 vcc, s[12:13], v[0:1]
	s_waitcnt vmcnt(5)
	v_mad_u64_u32 v[24:25], s[0:1], v11, v6, v[2:3]
	v_cndmask_b32_e32 v21, v23, v1, vcc
	v_cndmask_b32_e32 v20, -1, v0, vcc
	v_lshrrev_b64 v[20:21], s48, v[20:21]
	v_bitop3_b32 v22, v20, s4, v20 bitop3:0x30
	v_and_b32_e32 v6, 1, v22
	v_lshlrev_b32_e32 v29, 30, v22
	v_lshlrev_b32_e32 v31, 29, v22
	v_lshl_add_u64 v[20:21], v[6:7], 0, -1
	v_cmp_ne_u32_e32 vcc, 0, v6
	v_not_b32_e32 v6, v29
	v_lshrrev_b32_e32 v27, 6, v24
	v_cmp_gt_i64_e64 s[0:1], 0, v[28:29]
	v_not_b32_e32 v24, v31
	v_xor_b32_e32 v21, vcc_hi, v21
	v_ashrrev_i32_e32 v6, 31, v6
	v_lshlrev_b32_e32 v33, 28, v22
	v_cmp_gt_i64_e64 s[4:5], 0, v[30:31]
	v_xor_b32_e32 v20, vcc_lo, v20
	v_ashrrev_i32_e32 v24, 31, v24
	v_and_b32_e32 v21, exec_hi, v21
	v_xor_b32_e32 v26, s1, v6
	v_lshlrev_b32_e32 v35, 27, v22
	v_not_b32_e32 v25, v33
	v_and_b32_e32 v20, exec_lo, v20
	v_xor_b32_e32 v6, s0, v6
	v_xor_b32_e32 v28, s5, v24
	v_and_b32_e32 v21, v21, v26
	v_cmp_gt_i64_e64 s[6:7], 0, v[32:33]
	v_ashrrev_i32_e32 v25, 31, v25
	v_xor_b32_e32 v24, s4, v24
	v_and_b32_e32 v6, v20, v6
	v_and_b32_e32 v20, v21, v28
	v_not_b32_e32 v21, v35
	v_cmp_gt_i64_e64 s[8:9], 0, v[34:35]
	v_xor_b32_e32 v29, s7, v25
	v_xor_b32_e32 v25, s6, v25
	v_and_b32_e32 v6, v6, v24
	v_ashrrev_i32_e32 v21, 31, v21
	v_and_b32_e32 v20, v20, v29
	v_and_b32_e32 v6, v6, v25
	v_xor_b32_e32 v24, s9, v21
	v_xor_b32_e32 v21, s8, v21
	v_and_b32_e32 v24, v20, v24
	v_and_b32_e32 v6, v6, v21
	v_lshlrev_b32_e32 v21, 26, v22
	v_mov_b32_e32 v20, v7
	v_cmp_gt_i64_e32 vcc, 0, v[20:21]
	v_not_b32_e32 v20, v21
	v_ashrrev_i32_e32 v20, 31, v20
	v_xor_b32_e32 v21, vcc_hi, v20
	v_xor_b32_e32 v20, vcc_lo, v20
	v_and_b32_e32 v24, v24, v21
	v_and_b32_e32 v6, v6, v20
	v_lshlrev_b32_e32 v21, 25, v22
	v_mov_b32_e32 v20, v7
	v_cmp_gt_i64_e32 vcc, 0, v[20:21]
	v_not_b32_e32 v20, v21
	v_ashrrev_i32_e32 v20, 31, v20
	v_xor_b32_e32 v21, vcc_hi, v20
	v_xor_b32_e32 v20, vcc_lo, v20
	;; [unrolled: 9-line block ×3, first 2 shown]
	v_and_b32_e32 v20, v6, v20
	v_and_b32_e32 v21, v24, v21
	v_mbcnt_lo_u32_b32 v6, v20, 0
	v_mul_lo_u32 v11, v22, s15
	v_mbcnt_hi_u32_b32 v22, v21, v6
	v_cmp_eq_u32_e32 vcc, 0, v22
	v_cmp_ne_u64_e64 s[0:1], 0, v[20:21]
	v_lshl_add_u32 v11, v27, 2, v11
	s_and_b64 s[4:5], s[0:1], vcc
	s_and_saveexec_b64 s[0:1], s[4:5]
; %bb.98:
	v_bcnt_u32_b32 v6, v20, 0
	v_bcnt_u32_b32 v6, v21, v6
	ds_write_b32 v11, v6 offset:64
; %bb.99:
	s_or_b64 exec, exec, s[0:1]
	s_waitcnt vmcnt(4)
	v_cmp_gt_i64_e32 vcc, 0, v[4:5]
	v_ashrrev_i32_e32 v20, 31, v5
	v_not_b32_e32 v20, v20
	v_cndmask_b32_e64 v6, v23, 0, vcc
	v_xor_b32_e32 v5, v6, v5
	v_xor_b32_e32 v4, v20, v4
	v_cmp_ne_u64_e32 vcc, s[12:13], v[4:5]
	; wave barrier
	s_nop 1
	v_cndmask_b32_e32 v21, v23, v5, vcc
	v_cndmask_b32_e32 v20, -1, v4, vcc
	v_lshrrev_b64 v[20:21], s48, v[20:21]
	v_and_b32_e32 v25, s14, v20
	v_mul_lo_u32 v6, v25, s15
	v_lshl_add_u32 v24, v27, 2, v6
	v_and_b32_e32 v6, 1, v25
	v_lshl_add_u64 v[20:21], v[6:7], 0, -1
	v_cmp_ne_u32_e32 vcc, 0, v6
	ds_read_b32 v23, v24 offset:64
	s_nop 0
	v_xor_b32_e32 v20, vcc_lo, v20
	v_xor_b32_e32 v6, vcc_hi, v21
	v_and_b32_e32 v26, exec_lo, v20
	v_lshlrev_b32_e32 v21, 30, v25
	v_mov_b32_e32 v20, v7
	v_cmp_gt_i64_e32 vcc, 0, v[20:21]
	v_not_b32_e32 v20, v21
	v_ashrrev_i32_e32 v20, 31, v20
	v_and_b32_e32 v6, exec_hi, v6
	v_xor_b32_e32 v21, vcc_hi, v20
	v_xor_b32_e32 v20, vcc_lo, v20
	v_and_b32_e32 v6, v6, v21
	v_and_b32_e32 v26, v26, v20
	v_lshlrev_b32_e32 v21, 29, v25
	v_mov_b32_e32 v20, v7
	v_cmp_gt_i64_e32 vcc, 0, v[20:21]
	v_not_b32_e32 v20, v21
	v_ashrrev_i32_e32 v20, 31, v20
	v_xor_b32_e32 v21, vcc_hi, v20
	v_xor_b32_e32 v20, vcc_lo, v20
	v_and_b32_e32 v6, v6, v21
	v_and_b32_e32 v26, v26, v20
	v_lshlrev_b32_e32 v21, 28, v25
	v_mov_b32_e32 v20, v7
	v_cmp_gt_i64_e32 vcc, 0, v[20:21]
	v_not_b32_e32 v20, v21
	v_ashrrev_i32_e32 v20, 31, v20
	;; [unrolled: 9-line block ×5, first 2 shown]
	v_xor_b32_e32 v21, vcc_hi, v20
	v_xor_b32_e32 v20, vcc_lo, v20
	v_and_b32_e32 v6, v6, v21
	v_lshlrev_b32_e32 v21, 24, v25
	v_and_b32_e32 v26, v26, v20
	v_mov_b32_e32 v20, v7
	v_not_b32_e32 v7, v21
	v_cmp_gt_i64_e32 vcc, 0, v[20:21]
	v_ashrrev_i32_e32 v7, 31, v7
	; wave barrier
	s_nop 0
	v_xor_b32_e32 v20, vcc_hi, v7
	v_xor_b32_e32 v21, vcc_lo, v7
	v_and_b32_e32 v7, v6, v20
	v_and_b32_e32 v6, v26, v21
	v_mbcnt_lo_u32_b32 v20, v6, 0
	v_mbcnt_hi_u32_b32 v25, v7, v20
	v_cmp_eq_u32_e32 vcc, 0, v25
	v_cmp_ne_u64_e64 s[0:1], 0, v[6:7]
	s_and_b64 s[4:5], s[0:1], vcc
	s_and_saveexec_b64 s[0:1], s[4:5]
	s_cbranch_execz .LBB149_101
; %bb.100:
	v_bcnt_u32_b32 v6, v6, 0
	v_bcnt_u32_b32 v6, v7, v6
	s_waitcnt lgkmcnt(0)
	v_add_u32_e32 v6, v23, v6
	ds_write_b32 v24, v6 offset:64
.LBB149_101:
	s_or_b64 exec, exec, s[0:1]
	v_bfrev_b32_e32 v30, -2
	s_waitcnt vmcnt(3)
	v_cmp_gt_i64_e32 vcc, 0, v[18:19]
	v_ashrrev_i32_e32 v7, 31, v19
	s_mov_b32 s4, 0
	v_cndmask_b32_e64 v6, v30, 0, vcc
	v_not_b32_e32 v20, v7
	s_brev_b32 s5, 1
	v_xor_b32_e32 v7, v6, v19
	v_xor_b32_e32 v6, v20, v18
	v_cmp_ne_u64_e32 vcc, s[4:5], v[6:7]
	s_movk_i32 s6, 0x44
	s_nop 0
	v_cndmask_b32_e32 v19, v30, v7, vcc
	v_cndmask_b32_e32 v18, -1, v6, vcc
	v_lshrrev_b64 v[18:19], s48, v[18:19]
	v_and_b32_e32 v29, s14, v18
	v_mul_lo_u32 v18, v29, s6
	v_lshl_add_u32 v28, v27, 2, v18
	v_and_b32_e32 v18, 1, v29
	v_mov_b32_e32 v19, 0
	v_lshl_add_u64 v[20:21], v[18:19], 0, -1
	v_cmp_ne_u32_e32 vcc, 0, v18
	; wave barrier
	ds_read_b32 v26, v28 offset:64
	s_nop 0
	v_xor_b32_e32 v20, vcc_lo, v20
	v_xor_b32_e32 v18, vcc_hi, v21
	v_and_b32_e32 v31, exec_lo, v20
	v_lshlrev_b32_e32 v21, 30, v29
	v_mov_b32_e32 v20, v19
	v_cmp_gt_i64_e32 vcc, 0, v[20:21]
	v_not_b32_e32 v20, v21
	v_ashrrev_i32_e32 v20, 31, v20
	v_and_b32_e32 v18, exec_hi, v18
	v_xor_b32_e32 v21, vcc_hi, v20
	v_xor_b32_e32 v20, vcc_lo, v20
	v_and_b32_e32 v18, v18, v21
	v_and_b32_e32 v31, v31, v20
	v_lshlrev_b32_e32 v21, 29, v29
	v_mov_b32_e32 v20, v19
	v_cmp_gt_i64_e32 vcc, 0, v[20:21]
	v_not_b32_e32 v20, v21
	v_ashrrev_i32_e32 v20, 31, v20
	v_xor_b32_e32 v21, vcc_hi, v20
	v_xor_b32_e32 v20, vcc_lo, v20
	v_and_b32_e32 v18, v18, v21
	v_and_b32_e32 v31, v31, v20
	v_lshlrev_b32_e32 v21, 28, v29
	v_mov_b32_e32 v20, v19
	v_cmp_gt_i64_e32 vcc, 0, v[20:21]
	v_not_b32_e32 v20, v21
	v_ashrrev_i32_e32 v20, 31, v20
	;; [unrolled: 9-line block ×6, first 2 shown]
	v_xor_b32_e32 v21, vcc_hi, v20
	v_xor_b32_e32 v20, vcc_lo, v20
	v_and_b32_e32 v20, v31, v20
	v_and_b32_e32 v21, v18, v21
	v_mbcnt_lo_u32_b32 v18, v20, 0
	v_mbcnt_hi_u32_b32 v29, v21, v18
	v_cmp_eq_u32_e32 vcc, 0, v29
	v_cmp_ne_u64_e64 s[0:1], 0, v[20:21]
	s_and_b64 s[8:9], s[0:1], vcc
	; wave barrier
	s_and_saveexec_b64 s[0:1], s[8:9]
	s_cbranch_execz .LBB149_103
; %bb.102:
	v_bcnt_u32_b32 v18, v20, 0
	v_bcnt_u32_b32 v18, v21, v18
	s_waitcnt lgkmcnt(0)
	v_add_u32_e32 v18, v26, v18
	ds_write_b32 v28, v18 offset:64
.LBB149_103:
	s_or_b64 exec, exec, s[0:1]
	s_waitcnt vmcnt(2)
	v_cmp_gt_i64_e32 vcc, 0, v[14:15]
	v_ashrrev_i32_e32 v20, 31, v15
	v_not_b32_e32 v20, v20
	v_cndmask_b32_e64 v18, v30, 0, vcc
	v_xor_b32_e32 v15, v18, v15
	v_xor_b32_e32 v14, v20, v14
	v_cmp_ne_u64_e32 vcc, s[4:5], v[14:15]
	; wave barrier
	s_nop 1
	v_cndmask_b32_e32 v21, v30, v15, vcc
	v_cndmask_b32_e32 v20, -1, v14, vcc
	v_lshrrev_b64 v[20:21], s48, v[20:21]
	v_and_b32_e32 v32, s14, v20
	v_mul_lo_u32 v18, v32, s6
	v_lshl_add_u32 v31, v27, 2, v18
	v_and_b32_e32 v18, 1, v32
	v_lshl_add_u64 v[20:21], v[18:19], 0, -1
	v_cmp_ne_u32_e32 vcc, 0, v18
	ds_read_b32 v30, v31 offset:64
	s_nop 0
	v_xor_b32_e32 v20, vcc_lo, v20
	v_xor_b32_e32 v18, vcc_hi, v21
	v_and_b32_e32 v33, exec_lo, v20
	v_lshlrev_b32_e32 v21, 30, v32
	v_mov_b32_e32 v20, v19
	v_cmp_gt_i64_e32 vcc, 0, v[20:21]
	v_not_b32_e32 v20, v21
	v_ashrrev_i32_e32 v20, 31, v20
	v_and_b32_e32 v18, exec_hi, v18
	v_xor_b32_e32 v21, vcc_hi, v20
	v_xor_b32_e32 v20, vcc_lo, v20
	v_and_b32_e32 v18, v18, v21
	v_and_b32_e32 v33, v33, v20
	v_lshlrev_b32_e32 v21, 29, v32
	v_mov_b32_e32 v20, v19
	v_cmp_gt_i64_e32 vcc, 0, v[20:21]
	v_not_b32_e32 v20, v21
	v_ashrrev_i32_e32 v20, 31, v20
	v_xor_b32_e32 v21, vcc_hi, v20
	v_xor_b32_e32 v20, vcc_lo, v20
	v_and_b32_e32 v18, v18, v21
	v_and_b32_e32 v33, v33, v20
	v_lshlrev_b32_e32 v21, 28, v32
	v_mov_b32_e32 v20, v19
	v_cmp_gt_i64_e32 vcc, 0, v[20:21]
	v_not_b32_e32 v20, v21
	v_ashrrev_i32_e32 v20, 31, v20
	;; [unrolled: 9-line block ×5, first 2 shown]
	v_xor_b32_e32 v21, vcc_hi, v20
	v_xor_b32_e32 v20, vcc_lo, v20
	v_and_b32_e32 v18, v18, v21
	v_lshlrev_b32_e32 v21, 24, v32
	v_and_b32_e32 v33, v33, v20
	v_mov_b32_e32 v20, v19
	v_not_b32_e32 v19, v21
	v_cmp_gt_i64_e32 vcc, 0, v[20:21]
	v_ashrrev_i32_e32 v19, 31, v19
	; wave barrier
	s_nop 0
	v_xor_b32_e32 v20, vcc_hi, v19
	v_xor_b32_e32 v21, vcc_lo, v19
	v_and_b32_e32 v19, v18, v20
	v_and_b32_e32 v18, v33, v21
	v_mbcnt_lo_u32_b32 v20, v18, 0
	v_mbcnt_hi_u32_b32 v32, v19, v20
	v_cmp_eq_u32_e32 vcc, 0, v32
	v_cmp_ne_u64_e64 s[0:1], 0, v[18:19]
	s_and_b64 s[4:5], s[0:1], vcc
	s_and_saveexec_b64 s[0:1], s[4:5]
	s_cbranch_execz .LBB149_105
; %bb.104:
	v_bcnt_u32_b32 v18, v18, 0
	v_bcnt_u32_b32 v18, v19, v18
	s_waitcnt lgkmcnt(0)
	v_add_u32_e32 v18, v30, v18
	ds_write_b32 v31, v18 offset:64
.LBB149_105:
	s_or_b64 exec, exec, s[0:1]
	v_bfrev_b32_e32 v36, -2
	s_waitcnt vmcnt(1)
	v_cmp_gt_i64_e32 vcc, 0, v[16:17]
	v_ashrrev_i32_e32 v19, 31, v17
	s_mov_b32 s4, 0
	v_cndmask_b32_e64 v18, v36, 0, vcc
	v_not_b32_e32 v20, v19
	s_brev_b32 s5, 1
	v_xor_b32_e32 v19, v18, v17
	v_xor_b32_e32 v18, v20, v16
	v_cmp_ne_u64_e32 vcc, s[4:5], v[18:19]
	; wave barrier
	s_nop 1
	v_cndmask_b32_e32 v17, v36, v19, vcc
	v_cndmask_b32_e32 v16, -1, v18, vcc
	v_lshrrev_b64 v[16:17], s48, v[16:17]
	v_and_b32_e32 v35, s14, v16
	v_mul_lo_u32 v16, v35, s6
	v_lshl_add_u32 v34, v27, 2, v16
	v_and_b32_e32 v16, 1, v35
	v_mov_b32_e32 v17, 0
	v_lshl_add_u64 v[20:21], v[16:17], 0, -1
	v_cmp_ne_u32_e32 vcc, 0, v16
	ds_read_b32 v33, v34 offset:64
	s_nop 0
	v_xor_b32_e32 v20, vcc_lo, v20
	v_xor_b32_e32 v16, vcc_hi, v21
	v_and_b32_e32 v37, exec_lo, v20
	v_lshlrev_b32_e32 v21, 30, v35
	v_mov_b32_e32 v20, v17
	v_cmp_gt_i64_e32 vcc, 0, v[20:21]
	v_not_b32_e32 v20, v21
	v_ashrrev_i32_e32 v20, 31, v20
	v_and_b32_e32 v16, exec_hi, v16
	v_xor_b32_e32 v21, vcc_hi, v20
	v_xor_b32_e32 v20, vcc_lo, v20
	v_and_b32_e32 v16, v16, v21
	v_and_b32_e32 v37, v37, v20
	v_lshlrev_b32_e32 v21, 29, v35
	v_mov_b32_e32 v20, v17
	v_cmp_gt_i64_e32 vcc, 0, v[20:21]
	v_not_b32_e32 v20, v21
	v_ashrrev_i32_e32 v20, 31, v20
	v_xor_b32_e32 v21, vcc_hi, v20
	v_xor_b32_e32 v20, vcc_lo, v20
	v_and_b32_e32 v16, v16, v21
	v_and_b32_e32 v37, v37, v20
	v_lshlrev_b32_e32 v21, 28, v35
	v_mov_b32_e32 v20, v17
	v_cmp_gt_i64_e32 vcc, 0, v[20:21]
	v_not_b32_e32 v20, v21
	v_ashrrev_i32_e32 v20, 31, v20
	;; [unrolled: 9-line block ×6, first 2 shown]
	v_xor_b32_e32 v21, vcc_hi, v20
	v_xor_b32_e32 v20, vcc_lo, v20
	v_and_b32_e32 v20, v37, v20
	v_and_b32_e32 v21, v16, v21
	v_mbcnt_lo_u32_b32 v16, v20, 0
	v_mbcnt_hi_u32_b32 v35, v21, v16
	v_cmp_eq_u32_e32 vcc, 0, v35
	v_cmp_ne_u64_e64 s[0:1], 0, v[20:21]
	s_and_b64 s[8:9], s[0:1], vcc
	; wave barrier
	s_and_saveexec_b64 s[0:1], s[8:9]
	s_cbranch_execz .LBB149_107
; %bb.106:
	v_bcnt_u32_b32 v16, v20, 0
	v_bcnt_u32_b32 v16, v21, v16
	s_waitcnt lgkmcnt(0)
	v_add_u32_e32 v16, v33, v16
	ds_write_b32 v34, v16 offset:64
.LBB149_107:
	s_or_b64 exec, exec, s[0:1]
	s_waitcnt vmcnt(0)
	v_cmp_gt_i64_e32 vcc, 0, v[12:13]
	v_ashrrev_i32_e32 v20, 31, v13
	v_not_b32_e32 v20, v20
	v_cndmask_b32_e64 v16, v36, 0, vcc
	v_xor_b32_e32 v21, v16, v13
	v_xor_b32_e32 v20, v20, v12
	v_cmp_ne_u64_e32 vcc, s[4:5], v[20:21]
	; wave barrier
	s_nop 1
	v_cndmask_b32_e32 v13, v36, v21, vcc
	v_cndmask_b32_e32 v12, -1, v20, vcc
	v_lshrrev_b64 v[12:13], s48, v[12:13]
	v_and_b32_e32 v37, s14, v12
	v_mul_lo_u32 v12, v37, s6
	v_and_b32_e32 v16, 1, v37
	v_lshl_add_u32 v36, v27, 2, v12
	v_lshl_add_u64 v[12:13], v[16:17], 0, -1
	v_cmp_ne_u32_e32 vcc, 0, v16
	ds_read_b32 v27, v36 offset:64
	s_nop 0
	v_xor_b32_e32 v13, vcc_hi, v13
	v_xor_b32_e32 v12, vcc_lo, v12
	v_and_b32_e32 v16, exec_hi, v13
	v_and_b32_e32 v38, exec_lo, v12
	v_lshlrev_b32_e32 v13, 30, v37
	v_mov_b32_e32 v12, v17
	v_cmp_gt_i64_e32 vcc, 0, v[12:13]
	v_not_b32_e32 v12, v13
	v_ashrrev_i32_e32 v12, 31, v12
	v_xor_b32_e32 v13, vcc_hi, v12
	v_xor_b32_e32 v12, vcc_lo, v12
	v_and_b32_e32 v16, v16, v13
	v_and_b32_e32 v38, v38, v12
	v_lshlrev_b32_e32 v13, 29, v37
	v_mov_b32_e32 v12, v17
	v_cmp_gt_i64_e32 vcc, 0, v[12:13]
	v_not_b32_e32 v12, v13
	v_ashrrev_i32_e32 v12, 31, v12
	v_xor_b32_e32 v13, vcc_hi, v12
	v_xor_b32_e32 v12, vcc_lo, v12
	v_and_b32_e32 v16, v16, v13
	v_and_b32_e32 v38, v38, v12
	;; [unrolled: 9-line block ×7, first 2 shown]
	v_mbcnt_lo_u32_b32 v16, v12, 0
	v_mbcnt_hi_u32_b32 v37, v13, v16
	v_cmp_eq_u32_e32 vcc, 0, v37
	v_cmp_ne_u64_e64 s[0:1], 0, v[12:13]
	s_and_b64 s[4:5], s[0:1], vcc
	; wave barrier
	s_and_saveexec_b64 s[0:1], s[4:5]
	s_cbranch_execz .LBB149_109
; %bb.108:
	v_bcnt_u32_b32 v12, v12, 0
	v_bcnt_u32_b32 v12, v13, v12
	s_waitcnt lgkmcnt(0)
	v_add_u32_e32 v12, v27, v12
	ds_write_b32 v36, v12 offset:64
.LBB149_109:
	s_or_b64 exec, exec, s[0:1]
	; wave barrier
	s_waitcnt lgkmcnt(0)
	s_barrier
	ds_read2_b32 v[16:17], v9 offset0:16 offset1:17
	ds_read2_b32 v[12:13], v9 offset0:18 offset1:19
	ds_read_b32 v38, v9 offset:80
	v_cmp_lt_u32_e64 s[8:9], 31, v3
	s_waitcnt lgkmcnt(1)
	v_add3_u32 v39, v17, v16, v12
	s_waitcnt lgkmcnt(0)
	v_add3_u32 v38, v39, v13, v38
	v_and_b32_e32 v39, 15, v3
	v_cmp_eq_u32_e32 vcc, 0, v39
	v_mov_b32_dpp v40, v38 row_shr:1 row_mask:0xf bank_mask:0xf
	v_cmp_lt_u32_e64 s[0:1], 1, v39
	v_cndmask_b32_e64 v40, v40, 0, vcc
	v_add_u32_e32 v38, v40, v38
	v_cmp_lt_u32_e64 s[6:7], 3, v39
	v_cmp_lt_u32_e64 s[4:5], 7, v39
	v_mov_b32_dpp v40, v38 row_shr:2 row_mask:0xf bank_mask:0xf
	v_cndmask_b32_e64 v40, 0, v40, s[0:1]
	v_add_u32_e32 v38, v38, v40
	s_nop 1
	v_mov_b32_dpp v40, v38 row_shr:4 row_mask:0xf bank_mask:0xf
	v_cndmask_b32_e64 v40, 0, v40, s[6:7]
	v_add_u32_e32 v38, v38, v40
	s_nop 1
	v_mov_b32_dpp v40, v38 row_shr:8 row_mask:0xf bank_mask:0xf
	v_cndmask_b32_e64 v39, 0, v40, s[4:5]
	v_add_u32_e32 v38, v38, v39
	v_bfe_i32 v40, v3, 4, 1
	s_nop 0
	v_mov_b32_dpp v39, v38 row_bcast:15 row_mask:0xf bank_mask:0xf
	v_and_b32_e32 v39, v40, v39
	v_add_u32_e32 v38, v38, v39
	v_and_b32_e32 v40, 63, v2
	s_nop 0
	v_mov_b32_dpp v39, v38 row_bcast:31 row_mask:0xf bank_mask:0xf
	v_cndmask_b32_e64 v39, 0, v39, s[8:9]
	v_add_u32_e32 v38, v38, v39
	v_lshrrev_b32_e32 v39, 6, v2
	v_cmp_eq_u32_e64 s[8:9], 63, v40
	s_and_saveexec_b64 s[12:13], s[8:9]
; %bb.110:
	v_lshlrev_b32_e32 v40, 2, v39
	ds_write_b32 v40, v38
; %bb.111:
	s_or_b64 exec, exec, s[12:13]
	v_cmp_gt_u32_e64 s[8:9], 16, v2
	s_waitcnt lgkmcnt(0)
	s_barrier
	s_and_saveexec_b64 s[12:13], s[8:9]
	s_cbranch_execz .LBB149_113
; %bb.112:
	v_lshlrev_b32_e32 v40, 2, v2
	ds_read_b32 v41, v40
	s_waitcnt lgkmcnt(0)
	s_nop 0
	v_mov_b32_dpp v42, v41 row_shr:1 row_mask:0xf bank_mask:0xf
	v_cndmask_b32_e64 v42, v42, 0, vcc
	v_add_u32_e32 v41, v42, v41
	s_nop 1
	v_mov_b32_dpp v42, v41 row_shr:2 row_mask:0xf bank_mask:0xf
	v_cndmask_b32_e64 v42, 0, v42, s[0:1]
	v_add_u32_e32 v41, v41, v42
	s_nop 1
	v_mov_b32_dpp v42, v41 row_shr:4 row_mask:0xf bank_mask:0xf
	v_cndmask_b32_e64 v42, 0, v42, s[6:7]
	;; [unrolled: 4-line block ×3, first 2 shown]
	v_add_u32_e32 v41, v41, v42
	ds_write_b32 v40, v41
.LBB149_113:
	s_or_b64 exec, exec, s[12:13]
	v_cmp_lt_u32_e32 vcc, 63, v2
	v_mov_b32_e32 v40, 0
	s_waitcnt lgkmcnt(0)
	s_barrier
	s_and_saveexec_b64 s[0:1], vcc
; %bb.114:
	v_lshl_add_u32 v39, v39, 2, -4
	ds_read_b32 v40, v39
; %bb.115:
	s_or_b64 exec, exec, s[0:1]
	v_add_u32_e32 v39, -1, v3
	v_and_b32_e32 v41, 64, v3
	v_cmp_lt_i32_e32 vcc, v39, v41
	s_waitcnt lgkmcnt(0)
	v_add_u32_e32 v38, v40, v38
	s_movk_i32 s0, 0xff
	v_cndmask_b32_e32 v39, v39, v3, vcc
	v_lshlrev_b32_e32 v39, 2, v39
	ds_bpermute_b32 v38, v39, v38
	v_cmp_eq_u32_e32 vcc, 0, v3
	s_movk_i32 s4, 0x100
	s_waitcnt lgkmcnt(0)
	v_cndmask_b32_e32 v3, v38, v40, vcc
	v_cmp_ne_u32_e32 vcc, 0, v2
	s_nop 1
	v_cndmask_b32_e32 v3, 0, v3, vcc
	v_add_u32_e32 v16, v3, v16
	v_add_u32_e32 v17, v16, v17
	;; [unrolled: 1-line block ×4, first 2 shown]
	ds_write2_b32 v9, v3, v16 offset0:16 offset1:17
	ds_write2_b32 v9, v17, v12 offset0:18 offset1:19
	ds_write_b32 v9, v13 offset:80
	s_waitcnt lgkmcnt(0)
	s_barrier
	ds_read_b32 v17, v11 offset:64
	ds_read_b32 v38, v24 offset:64
	;; [unrolled: 1-line block ×6, first 2 shown]
	v_cmp_lt_u32_e32 vcc, s0, v2
	v_cmp_gt_u32_e64 s[0:1], s4, v2
	v_mov_b64_e32 v[12:13], 0
                                        ; implicit-def: $vgpr16
	s_and_saveexec_b64 s[6:7], s[0:1]
	s_cbranch_execz .LBB149_119
; %bb.116:
	v_mul_u32_u24_e32 v12, 0x44, v2
	ds_read_b32 v12, v12 offset:64
	v_add_u32_e32 v16, 1, v2
	v_cmp_ne_u32_e64 s[4:5], s4, v16
	v_mov_b32_e32 v13, 0x1800
	s_and_saveexec_b64 s[8:9], s[4:5]
; %bb.117:
	v_mul_u32_u24_e32 v13, 0x44, v16
	ds_read_b32 v13, v13 offset:64
; %bb.118:
	s_or_b64 exec, exec, s[8:9]
	s_waitcnt lgkmcnt(0)
	v_sub_u32_e32 v16, v13, v12
	v_mov_b32_e32 v13, 0
.LBB149_119:
	s_or_b64 exec, exec, s[6:7]
	v_lshlrev_b32_e32 v22, 3, v22
	s_waitcnt lgkmcnt(5)
	v_lshl_add_u32 v17, v17, 3, v22
	s_waitcnt lgkmcnt(0)
	s_barrier
	ds_write_b64 v17, v[0:1] offset:2048
	v_lshlrev_b32_e32 v0, 3, v25
	v_lshlrev_b32_e32 v1, 3, v23
	;; [unrolled: 1-line block ×3, first 2 shown]
	v_add3_u32 v22, v0, v1, v22
	ds_write_b64 v22, v[4:5] offset:2048
	v_lshlrev_b32_e32 v0, 3, v29
	v_lshlrev_b32_e32 v1, 3, v26
	v_lshlrev_b32_e32 v4, 3, v24
	v_add3_u32 v23, v0, v1, v4
	v_lshlrev_b32_e32 v0, 3, v32
	v_lshlrev_b32_e32 v1, 3, v30
	v_lshlrev_b32_e32 v4, 3, v11
	v_add3_u32 v24, v0, v1, v4
	;; [unrolled: 4-line block ×3, first 2 shown]
	v_lshlrev_b32_e32 v0, 3, v37
	v_lshlrev_b32_e32 v1, 3, v27
	;; [unrolled: 1-line block ×3, first 2 shown]
	ds_write_b64 v23, v[6:7] offset:2048
	ds_write_b64 v24, v[14:15] offset:2048
	;; [unrolled: 1-line block ×3, first 2 shown]
	v_add3_u32 v18, v0, v1, v3
	v_mov_b32_e32 v1, 0
	v_lshlrev_b32_e32 v14, 3, v2
	ds_write_b64 v18, v[20:21] offset:2048
	s_waitcnt lgkmcnt(0)
	s_barrier
	s_and_saveexec_b64 s[4:5], s[0:1]
	s_cbranch_execz .LBB149_129
; %bb.120:
	v_lshl_add_u32 v0, s2, 8, v2
	v_lshl_add_u64 v[4:5], v[0:1], 2, s[30:31]
	v_or_b32_e32 v0, 2.0, v16
	s_mov_b64 s[6:7], 0
	s_brev_b32 s15, -4
	s_mov_b32 s16, s2
	v_mov_b32_e32 v3, 0
	global_store_dword v[4:5], v0, off sc1
                                        ; implicit-def: $sgpr0_sgpr1
	s_branch .LBB149_123
.LBB149_121:                            ;   in Loop: Header=BB149_123 Depth=1
	s_or_b64 exec, exec, s[12:13]
.LBB149_122:                            ;   in Loop: Header=BB149_123 Depth=1
	s_or_b64 exec, exec, s[8:9]
	v_and_b32_e32 v6, 0x3fffffff, v0
	v_add_u32_e32 v3, v6, v3
	v_cmp_gt_i32_e64 s[0:1], -2.0, v0
	s_and_b64 s[8:9], exec, s[0:1]
	s_or_b64 s[6:7], s[8:9], s[6:7]
	s_andn2_b64 exec, exec, s[6:7]
	s_cbranch_execz .LBB149_128
.LBB149_123:                            ; =>This Loop Header: Depth=1
                                        ;     Child Loop BB149_126 Depth 2
	s_or_b64 s[0:1], s[0:1], exec
	s_cmp_eq_u32 s16, 0
	s_cbranch_scc1 .LBB149_127
; %bb.124:                              ;   in Loop: Header=BB149_123 Depth=1
	s_add_i32 s16, s16, -1
	v_lshl_or_b32 v0, s16, 8, v2
	v_lshl_add_u64 v[6:7], v[0:1], 2, s[30:31]
	global_load_dword v0, v[6:7], off sc1
	s_waitcnt vmcnt(0)
	v_cmp_gt_u32_e64 s[0:1], 2.0, v0
	s_and_saveexec_b64 s[8:9], s[0:1]
	s_cbranch_execz .LBB149_122
; %bb.125:                              ;   in Loop: Header=BB149_123 Depth=1
	s_mov_b64 s[12:13], 0
.LBB149_126:                            ;   Parent Loop BB149_123 Depth=1
                                        ; =>  This Inner Loop Header: Depth=2
	global_load_dword v0, v[6:7], off sc1
	s_waitcnt vmcnt(0)
	v_cmp_lt_u32_e64 s[0:1], s15, v0
	s_or_b64 s[12:13], s[0:1], s[12:13]
	s_andn2_b64 exec, exec, s[12:13]
	s_cbranch_execnz .LBB149_126
	s_branch .LBB149_121
.LBB149_127:                            ;   in Loop: Header=BB149_123 Depth=1
                                        ; implicit-def: $sgpr16
	s_and_b64 s[8:9], exec, s[0:1]
	s_or_b64 s[6:7], s[8:9], s[6:7]
	s_andn2_b64 exec, exec, s[6:7]
	s_cbranch_execnz .LBB149_123
.LBB149_128:
	s_or_b64 exec, exec, s[6:7]
	v_add_u32_e32 v0, v3, v16
	v_or_b32_e32 v0, 0x80000000, v0
	global_store_dword v[4:5], v0, off sc1
	global_load_dwordx2 v[0:1], v14, s[44:45]
	v_sub_co_u32_e64 v2, s[0:1], v3, v12
	s_nop 1
	v_subb_co_u32_e64 v3, s[0:1], 0, v13, s[0:1]
	s_waitcnt vmcnt(0)
	v_lshl_add_u64 v[0:1], v[2:3], 0, v[0:1]
	ds_write_b64 v14, v[0:1]
.LBB149_129:
	s_or_b64 exec, exec, s[4:5]
	s_waitcnt lgkmcnt(0)
	s_barrier
	ds_read2st64_b64 v[0:3], v14 offset0:4 offset1:20
	s_mov_b32 s4, 0
	s_brev_b32 s5, 1
	v_bfrev_b32_e32 v19, -2
	v_mov_b32_e32 v15, 0
	s_waitcnt lgkmcnt(0)
	v_cmp_ne_u64_e64 s[0:1], s[4:5], v[0:1]
	v_ashrrev_i32_e32 v6, 31, v1
	v_not_b32_e32 v6, v6
	v_cndmask_b32_e64 v5, v19, v1, s[0:1]
	v_cndmask_b32_e64 v4, -1, v0, s[0:1]
	v_lshrrev_b64 v[4:5], s48, v[4:5]
	v_cmp_gt_i64_e64 s[0:1], 0, v[0:1]
	v_and_b32_e32 v4, s14, v4
	v_xor_b32_e32 v0, v6, v0
	v_cndmask_b32_e64 v5, v19, 0, s[0:1]
	v_xor_b32_e32 v1, v5, v1
	v_lshlrev_b32_e32 v42, 3, v4
	ds_read2st64_b64 v[4:7], v14 offset0:36 offset1:52
	v_cmp_ne_u64_e64 s[0:1], s[4:5], v[2:3]
	v_mov_b32_e32 v11, v15
	ds_read_b64 v[20:21], v42
	v_cndmask_b32_e64 v27, v19, v3, s[0:1]
	v_cndmask_b32_e64 v26, -1, v2, s[0:1]
	v_lshrrev_b64 v[26:27], s48, v[26:27]
	s_waitcnt lgkmcnt(1)
	v_cmp_ne_u64_e64 s[0:1], s[4:5], v[4:5]
	v_and_b32_e32 v9, s14, v26
	v_lshlrev_b32_e32 v43, 3, v9
	v_cndmask_b32_e64 v27, v19, v5, s[0:1]
	v_cndmask_b32_e64 v26, -1, v4, s[0:1]
	v_lshrrev_b64 v[26:27], s48, v[26:27]
	v_cmp_ne_u64_e64 s[0:1], s[4:5], v[6:7]
	v_and_b32_e32 v9, s14, v26
	v_lshlrev_b32_e32 v44, 3, v9
	v_cndmask_b32_e64 v27, v19, v7, s[0:1]
	v_cndmask_b32_e64 v26, -1, v6, s[0:1]
	v_lshrrev_b64 v[26:27], s48, v[26:27]
	v_and_b32_e32 v9, s14, v26
	s_add_u32 s0, s40, s10
	v_lshlrev_b32_e32 v45, 3, v9
	s_addc_u32 s1, s41, s11
	v_mov_b32_e32 v9, v15
	v_lshl_add_u64 v[8:9], s[0:1], 0, v[8:9]
	v_lshl_add_u64 v[8:9], v[8:9], 0, v[10:11]
	ds_read_b64 v[26:27], v43
	ds_read_b64 v[28:29], v44
	;; [unrolled: 1-line block ×3, first 2 shown]
	global_load_dwordx2 v[10:11], v[8:9], off
	global_load_dwordx2 v[32:33], v[8:9], off offset:512
	global_load_dwordx2 v[34:35], v[8:9], off offset:1024
	global_load_dwordx2 v[36:37], v[8:9], off offset:1536
	global_load_dwordx2 v[38:39], v[8:9], off offset:2048
	global_load_dwordx2 v[40:41], v[8:9], off offset:2560
	s_waitcnt lgkmcnt(3)
	v_lshl_add_u64 v[20:21], v[20:21], 3, s[38:39]
	v_lshl_add_u64 v[20:21], v[20:21], 0, v[14:15]
	global_store_dwordx2 v[20:21], v[0:1], off
	v_cmp_gt_i64_e64 s[0:1], 0, v[2:3]
	v_ashrrev_i32_e32 v1, 31, v3
	v_not_b32_e32 v8, v1
	v_cndmask_b32_e64 v0, v19, 0, s[0:1]
	v_xor_b32_e32 v1, v0, v3
	v_xor_b32_e32 v0, v8, v2
	s_waitcnt lgkmcnt(2)
	v_lshl_add_u64 v[2:3], v[26:27], 3, s[38:39]
	v_or_b32_e32 v8, 0x2000, v14
	v_mov_b32_e32 v9, v15
	v_lshl_add_u64 v[2:3], v[2:3], 0, v[8:9]
	global_store_dwordx2 v[2:3], v[0:1], off
	v_cmp_gt_i64_e64 s[0:1], 0, v[4:5]
	v_ashrrev_i32_e32 v1, 31, v5
	v_not_b32_e32 v2, v1
	v_cndmask_b32_e64 v0, v19, 0, s[0:1]
	v_xor_b32_e32 v1, v0, v5
	v_xor_b32_e32 v0, v2, v4
	s_waitcnt lgkmcnt(1)
	v_lshl_add_u64 v[2:3], v[28:29], 3, s[38:39]
	v_or_b32_e32 v20, 0x4000, v14
	v_mov_b32_e32 v21, v15
	v_lshl_add_u64 v[2:3], v[2:3], 0, v[20:21]
	global_store_dwordx2 v[2:3], v[0:1], off
	v_cmp_gt_i64_e64 s[0:1], 0, v[6:7]
	v_ashrrev_i32_e32 v1, 31, v7
	v_not_b32_e32 v1, v1
	v_cndmask_b32_e64 v0, v19, 0, s[0:1]
	v_xor_b32_e32 v5, v0, v7
	v_xor_b32_e32 v4, v1, v6
	ds_read2st64_b64 v[0:3], v14 offset0:68 offset1:84
	s_waitcnt lgkmcnt(1)
	v_lshl_add_u64 v[6:7], v[30:31], 3, s[38:39]
	v_or_b32_e32 v26, 0x6000, v14
	v_mov_b32_e32 v27, v15
	v_lshl_add_u64 v[6:7], v[6:7], 0, v[26:27]
	s_waitcnt lgkmcnt(0)
	v_cmp_ne_u64_e64 s[0:1], s[4:5], v[0:1]
	global_store_dwordx2 v[6:7], v[4:5], off
	v_ashrrev_i32_e32 v6, 31, v1
	v_cndmask_b32_e64 v5, v19, v1, s[0:1]
	v_cndmask_b32_e64 v4, -1, v0, s[0:1]
	v_lshrrev_b64 v[4:5], s48, v[4:5]
	v_and_b32_e32 v4, s14, v4
	v_cmp_gt_i64_e64 s[0:1], 0, v[0:1]
	v_not_b32_e32 v6, v6
	v_lshlrev_b32_e32 v46, 3, v4
	v_cndmask_b32_e64 v5, v19, 0, s[0:1]
	v_cmp_ne_u64_e64 s[0:1], s[4:5], v[2:3]
	v_xor_b32_e32 v1, v5, v1
	v_xor_b32_e32 v0, v6, v0
	ds_read_b64 v[4:5], v46
	v_cndmask_b32_e64 v7, v19, v3, s[0:1]
	v_cndmask_b32_e64 v6, -1, v2, s[0:1]
	v_lshrrev_b64 v[6:7], s48, v[6:7]
	v_and_b32_e32 v6, s14, v6
	v_lshlrev_b32_e32 v47, 3, v6
	ds_read_b64 v[6:7], v47
	s_waitcnt lgkmcnt(1)
	v_lshl_add_u64 v[4:5], v[4:5], 3, s[38:39]
	v_or_b32_e32 v28, 0x8000, v14
	v_mov_b32_e32 v29, v15
	v_lshl_add_u64 v[4:5], v[4:5], 0, v[28:29]
	global_store_dwordx2 v[4:5], v[0:1], off
	v_cmp_gt_i64_e64 s[0:1], 0, v[2:3]
	v_ashrrev_i32_e32 v1, 31, v3
	v_not_b32_e32 v4, v1
	v_cndmask_b32_e64 v0, v19, 0, s[0:1]
	v_xor_b32_e32 v1, v0, v3
	v_xor_b32_e32 v0, v4, v2
	s_waitcnt lgkmcnt(0)
	v_lshl_add_u64 v[2:3], v[6:7], 3, s[38:39]
	v_or_b32_e32 v30, 0xa000, v14
	v_mov_b32_e32 v31, v15
	v_lshl_add_u64 v[2:3], v[2:3], 0, v[30:31]
	global_store_dwordx2 v[2:3], v[0:1], off
	s_barrier
	s_waitcnt vmcnt(11)
	ds_write_b64 v17, v[10:11] offset:2048
	s_waitcnt vmcnt(10)
	ds_write_b64 v22, v[32:33] offset:2048
	;; [unrolled: 2-line block ×6, first 2 shown]
	s_waitcnt lgkmcnt(0)
	s_barrier
	ds_read_b64 v[4:5], v42
	ds_read2st64_b64 v[0:3], v14 offset0:4 offset1:20
	ds_read_b64 v[6:7], v43
	ds_read_b64 v[10:11], v44
	;; [unrolled: 1-line block ×3, first 2 shown]
	s_waitcnt lgkmcnt(4)
	v_lshl_add_u64 v[4:5], v[4:5], 3, s[42:43]
	v_lshl_add_u64 v[4:5], v[4:5], 0, v[14:15]
	s_waitcnt lgkmcnt(3)
	global_store_dwordx2 v[4:5], v[0:1], off
	s_waitcnt lgkmcnt(2)
	v_lshl_add_u64 v[0:1], v[6:7], 3, s[42:43]
	ds_read2st64_b64 v[4:7], v14 offset0:36 offset1:52
	v_lshl_add_u64 v[0:1], v[0:1], 0, v[8:9]
	global_store_dwordx2 v[0:1], v[2:3], off
	s_waitcnt lgkmcnt(2)
	v_lshl_add_u64 v[0:1], v[10:11], 3, s[42:43]
	v_lshl_add_u64 v[0:1], v[0:1], 0, v[20:21]
	s_waitcnt lgkmcnt(0)
	global_store_dwordx2 v[0:1], v[4:5], off
	ds_read_b64 v[4:5], v46
	v_lshl_add_u64 v[0:1], v[18:19], 3, s[42:43]
	v_lshl_add_u64 v[8:9], v[0:1], 0, v[26:27]
	ds_read2st64_b64 v[0:3], v14 offset0:68 offset1:84
	ds_read_b64 v[10:11], v47
	s_add_i32 s3, s3, -1
	s_waitcnt lgkmcnt(2)
	v_lshl_add_u64 v[4:5], v[4:5], 3, s[42:43]
	v_lshl_add_u64 v[4:5], v[4:5], 0, v[28:29]
	s_cmp_eq_u32 s2, s3
	global_store_dwordx2 v[8:9], v[6:7], off
	s_waitcnt lgkmcnt(1)
	global_store_dwordx2 v[4:5], v[0:1], off
	s_waitcnt lgkmcnt(0)
	v_lshl_add_u64 v[0:1], v[10:11], 3, s[42:43]
	s_cselect_b64 s[0:1], -1, 0
	s_xor_b64 s[2:3], vcc, -1
	v_lshl_add_u64 v[0:1], v[0:1], 0, v[30:31]
	s_and_b64 s[0:1], s[2:3], s[0:1]
	global_store_dwordx2 v[0:1], v[2:3], off
	s_and_saveexec_b64 s[2:3], s[0:1]
	s_cbranch_execz .LBB149_131
; %bb.130:
	ds_read_b64 v[0:1], v14
	v_mov_b32_e32 v17, v15
	v_lshl_add_u64 v[2:3], v[12:13], 0, v[16:17]
	s_waitcnt lgkmcnt(0)
	v_lshl_add_u64 v[0:1], v[2:3], 0, v[0:1]
	global_store_dwordx2 v14, v[0:1], s[46:47]
.LBB149_131:
	s_endpgm
	.section	.rodata,"a",@progbits
	.p2align	6, 0x0
	.amdhsa_kernel _ZN7rocprim17ROCPRIM_304000_NS6detail25onesweep_iteration_kernelINS1_34wrapped_radix_sort_onesweep_configINS0_14default_configEdN2at4cuda3cub6detail10OpaqueTypeILi8EEEEELb1EPKdPdPKSA_PSA_mNS0_19identity_decomposerEEEvT1_T2_T3_T4_jPT5_SO_PNS1_23onesweep_lookback_stateET6_jjj
		.amdhsa_group_segment_fixed_size 51200
		.amdhsa_private_segment_fixed_size 0
		.amdhsa_kernarg_size 336
		.amdhsa_user_sgpr_count 2
		.amdhsa_user_sgpr_dispatch_ptr 0
		.amdhsa_user_sgpr_queue_ptr 0
		.amdhsa_user_sgpr_kernarg_segment_ptr 1
		.amdhsa_user_sgpr_dispatch_id 0
		.amdhsa_user_sgpr_kernarg_preload_length 0
		.amdhsa_user_sgpr_kernarg_preload_offset 0
		.amdhsa_user_sgpr_private_segment_size 0
		.amdhsa_uses_dynamic_stack 0
		.amdhsa_enable_private_segment 0
		.amdhsa_system_sgpr_workgroup_id_x 1
		.amdhsa_system_sgpr_workgroup_id_y 0
		.amdhsa_system_sgpr_workgroup_id_z 0
		.amdhsa_system_sgpr_workgroup_info 0
		.amdhsa_system_vgpr_workitem_id 2
		.amdhsa_next_free_vgpr 48
		.amdhsa_next_free_sgpr 54
		.amdhsa_accum_offset 48
		.amdhsa_reserve_vcc 1
		.amdhsa_float_round_mode_32 0
		.amdhsa_float_round_mode_16_64 0
		.amdhsa_float_denorm_mode_32 3
		.amdhsa_float_denorm_mode_16_64 3
		.amdhsa_dx10_clamp 1
		.amdhsa_ieee_mode 1
		.amdhsa_fp16_overflow 0
		.amdhsa_tg_split 0
		.amdhsa_exception_fp_ieee_invalid_op 0
		.amdhsa_exception_fp_denorm_src 0
		.amdhsa_exception_fp_ieee_div_zero 0
		.amdhsa_exception_fp_ieee_overflow 0
		.amdhsa_exception_fp_ieee_underflow 0
		.amdhsa_exception_fp_ieee_inexact 0
		.amdhsa_exception_int_div_zero 0
	.end_amdhsa_kernel
	.section	.text._ZN7rocprim17ROCPRIM_304000_NS6detail25onesweep_iteration_kernelINS1_34wrapped_radix_sort_onesweep_configINS0_14default_configEdN2at4cuda3cub6detail10OpaqueTypeILi8EEEEELb1EPKdPdPKSA_PSA_mNS0_19identity_decomposerEEEvT1_T2_T3_T4_jPT5_SO_PNS1_23onesweep_lookback_stateET6_jjj,"axG",@progbits,_ZN7rocprim17ROCPRIM_304000_NS6detail25onesweep_iteration_kernelINS1_34wrapped_radix_sort_onesweep_configINS0_14default_configEdN2at4cuda3cub6detail10OpaqueTypeILi8EEEEELb1EPKdPdPKSA_PSA_mNS0_19identity_decomposerEEEvT1_T2_T3_T4_jPT5_SO_PNS1_23onesweep_lookback_stateET6_jjj,comdat
.Lfunc_end149:
	.size	_ZN7rocprim17ROCPRIM_304000_NS6detail25onesweep_iteration_kernelINS1_34wrapped_radix_sort_onesweep_configINS0_14default_configEdN2at4cuda3cub6detail10OpaqueTypeILi8EEEEELb1EPKdPdPKSA_PSA_mNS0_19identity_decomposerEEEvT1_T2_T3_T4_jPT5_SO_PNS1_23onesweep_lookback_stateET6_jjj, .Lfunc_end149-_ZN7rocprim17ROCPRIM_304000_NS6detail25onesweep_iteration_kernelINS1_34wrapped_radix_sort_onesweep_configINS0_14default_configEdN2at4cuda3cub6detail10OpaqueTypeILi8EEEEELb1EPKdPdPKSA_PSA_mNS0_19identity_decomposerEEEvT1_T2_T3_T4_jPT5_SO_PNS1_23onesweep_lookback_stateET6_jjj
                                        ; -- End function
	.set _ZN7rocprim17ROCPRIM_304000_NS6detail25onesweep_iteration_kernelINS1_34wrapped_radix_sort_onesweep_configINS0_14default_configEdN2at4cuda3cub6detail10OpaqueTypeILi8EEEEELb1EPKdPdPKSA_PSA_mNS0_19identity_decomposerEEEvT1_T2_T3_T4_jPT5_SO_PNS1_23onesweep_lookback_stateET6_jjj.num_vgpr, 48
	.set _ZN7rocprim17ROCPRIM_304000_NS6detail25onesweep_iteration_kernelINS1_34wrapped_radix_sort_onesweep_configINS0_14default_configEdN2at4cuda3cub6detail10OpaqueTypeILi8EEEEELb1EPKdPdPKSA_PSA_mNS0_19identity_decomposerEEEvT1_T2_T3_T4_jPT5_SO_PNS1_23onesweep_lookback_stateET6_jjj.num_agpr, 0
	.set _ZN7rocprim17ROCPRIM_304000_NS6detail25onesweep_iteration_kernelINS1_34wrapped_radix_sort_onesweep_configINS0_14default_configEdN2at4cuda3cub6detail10OpaqueTypeILi8EEEEELb1EPKdPdPKSA_PSA_mNS0_19identity_decomposerEEEvT1_T2_T3_T4_jPT5_SO_PNS1_23onesweep_lookback_stateET6_jjj.numbered_sgpr, 54
	.set _ZN7rocprim17ROCPRIM_304000_NS6detail25onesweep_iteration_kernelINS1_34wrapped_radix_sort_onesweep_configINS0_14default_configEdN2at4cuda3cub6detail10OpaqueTypeILi8EEEEELb1EPKdPdPKSA_PSA_mNS0_19identity_decomposerEEEvT1_T2_T3_T4_jPT5_SO_PNS1_23onesweep_lookback_stateET6_jjj.num_named_barrier, 0
	.set _ZN7rocprim17ROCPRIM_304000_NS6detail25onesweep_iteration_kernelINS1_34wrapped_radix_sort_onesweep_configINS0_14default_configEdN2at4cuda3cub6detail10OpaqueTypeILi8EEEEELb1EPKdPdPKSA_PSA_mNS0_19identity_decomposerEEEvT1_T2_T3_T4_jPT5_SO_PNS1_23onesweep_lookback_stateET6_jjj.private_seg_size, 0
	.set _ZN7rocprim17ROCPRIM_304000_NS6detail25onesweep_iteration_kernelINS1_34wrapped_radix_sort_onesweep_configINS0_14default_configEdN2at4cuda3cub6detail10OpaqueTypeILi8EEEEELb1EPKdPdPKSA_PSA_mNS0_19identity_decomposerEEEvT1_T2_T3_T4_jPT5_SO_PNS1_23onesweep_lookback_stateET6_jjj.uses_vcc, 1
	.set _ZN7rocprim17ROCPRIM_304000_NS6detail25onesweep_iteration_kernelINS1_34wrapped_radix_sort_onesweep_configINS0_14default_configEdN2at4cuda3cub6detail10OpaqueTypeILi8EEEEELb1EPKdPdPKSA_PSA_mNS0_19identity_decomposerEEEvT1_T2_T3_T4_jPT5_SO_PNS1_23onesweep_lookback_stateET6_jjj.uses_flat_scratch, 0
	.set _ZN7rocprim17ROCPRIM_304000_NS6detail25onesweep_iteration_kernelINS1_34wrapped_radix_sort_onesweep_configINS0_14default_configEdN2at4cuda3cub6detail10OpaqueTypeILi8EEEEELb1EPKdPdPKSA_PSA_mNS0_19identity_decomposerEEEvT1_T2_T3_T4_jPT5_SO_PNS1_23onesweep_lookback_stateET6_jjj.has_dyn_sized_stack, 0
	.set _ZN7rocprim17ROCPRIM_304000_NS6detail25onesweep_iteration_kernelINS1_34wrapped_radix_sort_onesweep_configINS0_14default_configEdN2at4cuda3cub6detail10OpaqueTypeILi8EEEEELb1EPKdPdPKSA_PSA_mNS0_19identity_decomposerEEEvT1_T2_T3_T4_jPT5_SO_PNS1_23onesweep_lookback_stateET6_jjj.has_recursion, 0
	.set _ZN7rocprim17ROCPRIM_304000_NS6detail25onesweep_iteration_kernelINS1_34wrapped_radix_sort_onesweep_configINS0_14default_configEdN2at4cuda3cub6detail10OpaqueTypeILi8EEEEELb1EPKdPdPKSA_PSA_mNS0_19identity_decomposerEEEvT1_T2_T3_T4_jPT5_SO_PNS1_23onesweep_lookback_stateET6_jjj.has_indirect_call, 0
	.section	.AMDGPU.csdata,"",@progbits
; Kernel info:
; codeLenInByte = 12536
; TotalNumSgprs: 60
; NumVgprs: 48
; NumAgprs: 0
; TotalNumVgprs: 48
; ScratchSize: 0
; MemoryBound: 0
; FloatMode: 240
; IeeeMode: 1
; LDSByteSize: 51200 bytes/workgroup (compile time only)
; SGPRBlocks: 7
; VGPRBlocks: 5
; NumSGPRsForWavesPerEU: 60
; NumVGPRsForWavesPerEU: 48
; AccumOffset: 48
; Occupancy: 8
; WaveLimiterHint : 1
; COMPUTE_PGM_RSRC2:SCRATCH_EN: 0
; COMPUTE_PGM_RSRC2:USER_SGPR: 2
; COMPUTE_PGM_RSRC2:TRAP_HANDLER: 0
; COMPUTE_PGM_RSRC2:TGID_X_EN: 1
; COMPUTE_PGM_RSRC2:TGID_Y_EN: 0
; COMPUTE_PGM_RSRC2:TGID_Z_EN: 0
; COMPUTE_PGM_RSRC2:TIDIG_COMP_CNT: 2
; COMPUTE_PGM_RSRC3_GFX90A:ACCUM_OFFSET: 11
; COMPUTE_PGM_RSRC3_GFX90A:TG_SPLIT: 0
	.section	.text._ZN7rocprim17ROCPRIM_304000_NS6detail25onesweep_iteration_kernelINS1_34wrapped_radix_sort_onesweep_configINS0_14default_configEdN2at4cuda3cub6detail10OpaqueTypeILi8EEEEELb1EPdSC_PSA_SD_mNS0_19identity_decomposerEEEvT1_T2_T3_T4_jPT5_SK_PNS1_23onesweep_lookback_stateET6_jjj,"axG",@progbits,_ZN7rocprim17ROCPRIM_304000_NS6detail25onesweep_iteration_kernelINS1_34wrapped_radix_sort_onesweep_configINS0_14default_configEdN2at4cuda3cub6detail10OpaqueTypeILi8EEEEELb1EPdSC_PSA_SD_mNS0_19identity_decomposerEEEvT1_T2_T3_T4_jPT5_SK_PNS1_23onesweep_lookback_stateET6_jjj,comdat
	.protected	_ZN7rocprim17ROCPRIM_304000_NS6detail25onesweep_iteration_kernelINS1_34wrapped_radix_sort_onesweep_configINS0_14default_configEdN2at4cuda3cub6detail10OpaqueTypeILi8EEEEELb1EPdSC_PSA_SD_mNS0_19identity_decomposerEEEvT1_T2_T3_T4_jPT5_SK_PNS1_23onesweep_lookback_stateET6_jjj ; -- Begin function _ZN7rocprim17ROCPRIM_304000_NS6detail25onesweep_iteration_kernelINS1_34wrapped_radix_sort_onesweep_configINS0_14default_configEdN2at4cuda3cub6detail10OpaqueTypeILi8EEEEELb1EPdSC_PSA_SD_mNS0_19identity_decomposerEEEvT1_T2_T3_T4_jPT5_SK_PNS1_23onesweep_lookback_stateET6_jjj
	.globl	_ZN7rocprim17ROCPRIM_304000_NS6detail25onesweep_iteration_kernelINS1_34wrapped_radix_sort_onesweep_configINS0_14default_configEdN2at4cuda3cub6detail10OpaqueTypeILi8EEEEELb1EPdSC_PSA_SD_mNS0_19identity_decomposerEEEvT1_T2_T3_T4_jPT5_SK_PNS1_23onesweep_lookback_stateET6_jjj
	.p2align	8
	.type	_ZN7rocprim17ROCPRIM_304000_NS6detail25onesweep_iteration_kernelINS1_34wrapped_radix_sort_onesweep_configINS0_14default_configEdN2at4cuda3cub6detail10OpaqueTypeILi8EEEEELb1EPdSC_PSA_SD_mNS0_19identity_decomposerEEEvT1_T2_T3_T4_jPT5_SK_PNS1_23onesweep_lookback_stateET6_jjj,@function
_ZN7rocprim17ROCPRIM_304000_NS6detail25onesweep_iteration_kernelINS1_34wrapped_radix_sort_onesweep_configINS0_14default_configEdN2at4cuda3cub6detail10OpaqueTypeILi8EEEEELb1EPdSC_PSA_SD_mNS0_19identity_decomposerEEEvT1_T2_T3_T4_jPT5_SK_PNS1_23onesweep_lookback_stateET6_jjj: ; @_ZN7rocprim17ROCPRIM_304000_NS6detail25onesweep_iteration_kernelINS1_34wrapped_radix_sort_onesweep_configINS0_14default_configEdN2at4cuda3cub6detail10OpaqueTypeILi8EEEEELb1EPdSC_PSA_SD_mNS0_19identity_decomposerEEEvT1_T2_T3_T4_jPT5_SK_PNS1_23onesweep_lookback_stateET6_jjj
; %bb.0:
	s_load_dwordx4 s[48:51], s[0:1], 0x44
	s_load_dwordx8 s[36:43], s[0:1], 0x0
	s_load_dwordx4 s[44:47], s[0:1], 0x28
	s_load_dwordx2 s[30:31], s[0:1], 0x38
	s_mov_b64 s[4:5], -1
	s_waitcnt lgkmcnt(0)
	s_cmp_ge_u32 s2, s50
	s_mul_i32 s34, s2, 0x1800
	v_mbcnt_lo_u32_b32 v1, -1, 0
	s_cbranch_scc0 .LBB150_96
; %bb.1:
	s_load_dword s3, s[0:1], 0x20
	s_mul_i32 s4, s50, 0xffffe800
	s_mov_b32 s35, 0
	s_lshl_b64 s[50:51], s[34:35], 3
	v_mbcnt_hi_u32_b32 v7, -1, v1
	s_waitcnt lgkmcnt(0)
	s_add_i32 s35, s4, s3
	s_add_u32 s4, s36, s50
	v_and_b32_e32 v2, 0x3c0, v0
	s_addc_u32 s5, s37, s51
	v_mul_u32_u24_e32 v6, 6, v2
	v_mov_b32_e32 v3, 0
	v_lshlrev_b32_e32 v2, 3, v7
	v_lshl_add_u64 v[8:9], s[4:5], 0, v[2:3]
	v_lshlrev_b32_e32 v4, 3, v6
	v_mov_b32_e32 v5, v3
	v_or_b32_e32 v3, v7, v6
	v_lshl_add_u64 v[20:21], v[8:9], 0, v[4:5]
	v_cmp_gt_u32_e32 vcc, s35, v3
	v_mov_b64_e32 v[14:15], -1
	v_mov_b64_e32 v[8:9], -1
	s_and_saveexec_b64 s[4:5], vcc
	s_cbranch_execz .LBB150_3
; %bb.2:
	global_load_dwordx2 v[8:9], v[20:21], off
.LBB150_3:
	s_or_b64 exec, exec, s[4:5]
	v_add_u32_e32 v5, 64, v3
	v_cmp_gt_u32_e64 s[26:27], s35, v5
	s_and_saveexec_b64 s[4:5], s[26:27]
	s_cbranch_execz .LBB150_5
; %bb.4:
	global_load_dwordx2 v[14:15], v[20:21], off offset:512
.LBB150_5:
	s_or_b64 exec, exec, s[4:5]
	v_add_u32_e32 v5, 0x80, v3
	v_cmp_gt_u32_e64 s[4:5], s35, v5
	v_mov_b64_e32 v[18:19], -1
	v_mov_b64_e32 v[16:17], -1
	s_and_saveexec_b64 s[6:7], s[4:5]
	s_cbranch_execz .LBB150_7
; %bb.6:
	global_load_dwordx2 v[16:17], v[20:21], off offset:1024
.LBB150_7:
	s_or_b64 exec, exec, s[6:7]
	v_add_u32_e32 v5, 0xc0, v3
	v_cmp_gt_u32_e64 s[6:7], s35, v5
	s_and_saveexec_b64 s[8:9], s[6:7]
	s_cbranch_execz .LBB150_9
; %bb.8:
	global_load_dwordx2 v[18:19], v[20:21], off offset:1536
.LBB150_9:
	s_or_b64 exec, exec, s[8:9]
	v_add_u32_e32 v5, 0x100, v3
	v_cmp_gt_u32_e64 s[8:9], s35, v5
	v_mov_b64_e32 v[10:11], -1
	v_mov_b64_e32 v[12:13], -1
	s_and_saveexec_b64 s[10:11], s[8:9]
	s_cbranch_execz .LBB150_11
; %bb.10:
	global_load_dwordx2 v[12:13], v[20:21], off offset:2048
.LBB150_11:
	s_or_b64 exec, exec, s[10:11]
	v_add_u32_e32 v3, 0x140, v3
	v_and_b32_e32 v6, 0x3ff, v0
	v_cmp_gt_u32_e64 s[10:11], s35, v3
	s_and_saveexec_b64 s[12:13], s[10:11]
	s_cbranch_execz .LBB150_13
; %bb.12:
	global_load_dwordx2 v[10:11], v[20:21], off offset:2560
.LBB150_13:
	s_or_b64 exec, exec, s[12:13]
	s_load_dword s12, s[0:1], 0x5c
	s_load_dword s3, s[0:1], 0x50
	s_add_u32 s13, s0, 0x50
	s_addc_u32 s14, s1, 0
	v_mov_b32_e32 v21, 0
	s_waitcnt lgkmcnt(0)
	s_lshr_b32 s15, s12, 16
	s_cmp_lt_u32 s2, s3
	s_cselect_b32 s12, 12, 18
	s_add_u32 s12, s13, s12
	s_addc_u32 s13, s14, 0
	global_load_ushort v5, v21, s[12:13]
	v_bfrev_b32_e32 v25, -2
	s_waitcnt vmcnt(1)
	v_ashrrev_i32_e32 v20, 31, v9
	v_cmp_gt_i64_e64 s[12:13], 0, v[8:9]
	s_mov_b32 s24, 0
	v_not_b32_e32 v20, v20
	v_cndmask_b32_e64 v27, v25, 0, s[12:13]
	s_brev_b32 s25, 1
	v_xor_b32_e32 v9, v27, v9
	v_xor_b32_e32 v8, v20, v8
	v_cmp_ne_u64_e64 s[12:13], s[24:25], v[8:9]
	v_bfe_u32 v23, v0, 10, 10
	v_bfe_u32 v24, v0, 20, 10
	v_cndmask_b32_e64 v35, v25, v9, s[12:13]
	v_cndmask_b32_e64 v34, -1, v8, s[12:13]
	v_lshrrev_b64 v[34:35], s48, v[34:35]
	s_lshl_b32 s12, -1, s49
	v_bitop3_b32 v36, v34, s12, v34 bitop3:0x30
	v_mad_u32_u24 v24, v24, s15, v23
	v_and_b32_e32 v20, 1, v36
	v_lshlrev_b32_e32 v23, 30, v36
	v_mov_b32_e32 v22, v21
	v_mov_b32_e32 v28, v21
	s_not_b32 s33, s12
	v_lshlrev_b32_e32 v27, 29, v36
	v_lshlrev_b32_e32 v29, 28, v36
	v_lshl_add_u64 v[34:35], v[20:21], 0, -1
	v_cmp_ne_u32_e64 s[12:13], 0, v20
	v_not_b32_e32 v20, v23
	v_mov_b32_e32 v26, v21
	v_mov_b32_e32 v30, v21
	v_lshlrev_b32_e32 v31, 27, v36
	v_cmp_gt_i64_e64 s[14:15], 0, v[22:23]
	v_not_b32_e32 v22, v27
	v_cmp_gt_i64_e64 s[18:19], 0, v[28:29]
	v_xor_b32_e32 v28, s13, v35
	v_ashrrev_i32_e32 v20, 31, v20
	v_cmp_gt_i64_e64 s[16:17], 0, v[26:27]
	v_not_b32_e32 v23, v29
	v_cmp_gt_i64_e64 s[20:21], 0, v[30:31]
	v_xor_b32_e32 v29, s12, v34
	v_ashrrev_i32_e32 v22, 31, v22
	v_and_b32_e32 v28, exec_hi, v28
	v_xor_b32_e32 v30, s15, v20
	v_mov_b32_e32 v32, v21
	v_lshlrev_b32_e32 v33, 26, v36
	v_not_b32_e32 v26, v31
	v_ashrrev_i32_e32 v23, 31, v23
	v_and_b32_e32 v29, exec_lo, v29
	v_xor_b32_e32 v20, s14, v20
	v_xor_b32_e32 v31, s17, v22
	v_and_b32_e32 v28, v28, v30
	v_cmp_gt_i64_e64 s[22:23], 0, v[32:33]
	v_ashrrev_i32_e32 v26, 31, v26
	v_xor_b32_e32 v22, s16, v22
	v_xor_b32_e32 v32, s19, v23
	v_and_b32_e32 v20, v29, v20
	v_and_b32_e32 v28, v28, v31
	v_not_b32_e32 v27, v33
	v_xor_b32_e32 v23, s18, v23
	v_xor_b32_e32 v33, s21, v26
	v_and_b32_e32 v20, v20, v22
	v_and_b32_e32 v22, v28, v32
	;; [unrolled: 1-line block ×4, first 2 shown]
	v_ashrrev_i32_e32 v27, 31, v27
	v_xor_b32_e32 v26, s20, v26
	v_xor_b32_e32 v34, s23, v27
	;; [unrolled: 1-line block ×3, first 2 shown]
	v_and_b32_e32 v20, v20, v26
	v_and_b32_e32 v20, v20, v27
	s_movk_i32 s28, 0x44
	v_mul_lo_u32 v37, v36, s28
	v_mul_u32_u24_e32 v3, 20, v6
	ds_write2_b32 v3, v21, v21 offset0:16 offset1:17
	ds_write2_b32 v3, v21, v21 offset0:18 offset1:19
	ds_write_b32 v3, v21 offset:80
	s_waitcnt lgkmcnt(0)
	s_barrier
	s_waitcnt vmcnt(0)
	; wave barrier
	v_mad_u64_u32 v[22:23], s[12:13], v24, v5, v[6:7]
	v_lshrrev_b32_e32 v31, 6, v22
	v_lshlrev_b32_e32 v23, 25, v36
	v_mov_b32_e32 v22, v21
	v_cmp_gt_i64_e64 s[12:13], 0, v[22:23]
	v_not_b32_e32 v22, v23
	v_ashrrev_i32_e32 v22, 31, v22
	v_and_b32_e32 v5, v28, v34
	v_xor_b32_e32 v23, s13, v22
	v_xor_b32_e32 v22, s12, v22
	v_and_b32_e32 v5, v5, v23
	v_and_b32_e32 v20, v20, v22
	v_lshlrev_b32_e32 v23, 24, v36
	v_mov_b32_e32 v22, v21
	v_cmp_gt_i64_e64 s[12:13], 0, v[22:23]
	v_not_b32_e32 v22, v23
	v_ashrrev_i32_e32 v22, 31, v22
	v_xor_b32_e32 v23, s13, v22
	v_xor_b32_e32 v22, s12, v22
	v_and_b32_e32 v22, v20, v22
	v_and_b32_e32 v23, v5, v23
	v_mbcnt_lo_u32_b32 v5, v22, 0
	v_mbcnt_hi_u32_b32 v5, v23, v5
	v_cmp_eq_u32_e64 s[12:13], 0, v5
	v_cmp_ne_u64_e64 s[14:15], 0, v[22:23]
	v_lshl_add_u32 v24, v31, 2, v37
	s_and_b64 s[14:15], s[14:15], s[12:13]
	s_and_saveexec_b64 s[12:13], s[14:15]
; %bb.14:
	v_bcnt_u32_b32 v20, v22, 0
	v_bcnt_u32_b32 v20, v23, v20
	ds_write_b32 v24, v20 offset:64
; %bb.15:
	s_or_b64 exec, exec, s[12:13]
	v_cmp_gt_i64_e64 s[12:13], 0, v[14:15]
	v_ashrrev_i32_e32 v22, 31, v15
	v_not_b32_e32 v22, v22
	v_cndmask_b32_e64 v20, v25, 0, s[12:13]
	v_xor_b32_e32 v15, v20, v15
	v_xor_b32_e32 v14, v22, v14
	v_cmp_ne_u64_e64 s[12:13], s[24:25], v[14:15]
	; wave barrier
	s_nop 1
	v_cndmask_b32_e64 v23, v25, v15, s[12:13]
	v_cndmask_b32_e64 v22, -1, v14, s[12:13]
	v_lshrrev_b64 v[22:23], s48, v[22:23]
	v_and_b32_e32 v27, s33, v22
	v_mul_lo_u32 v20, v27, s28
	v_lshl_add_u32 v26, v31, 2, v20
	v_and_b32_e32 v20, 1, v27
	v_lshl_add_u64 v[22:23], v[20:21], 0, -1
	v_cmp_ne_u32_e64 s[12:13], 0, v20
	ds_read_b32 v25, v26 offset:64
	s_nop 0
	v_xor_b32_e32 v22, s12, v22
	v_xor_b32_e32 v20, s13, v23
	v_and_b32_e32 v28, exec_lo, v22
	v_lshlrev_b32_e32 v23, 30, v27
	v_mov_b32_e32 v22, v21
	v_cmp_gt_i64_e64 s[12:13], 0, v[22:23]
	v_not_b32_e32 v22, v23
	v_ashrrev_i32_e32 v22, 31, v22
	v_and_b32_e32 v20, exec_hi, v20
	v_xor_b32_e32 v23, s13, v22
	v_xor_b32_e32 v22, s12, v22
	v_and_b32_e32 v20, v20, v23
	v_and_b32_e32 v28, v28, v22
	v_lshlrev_b32_e32 v23, 29, v27
	v_mov_b32_e32 v22, v21
	v_cmp_gt_i64_e64 s[12:13], 0, v[22:23]
	v_not_b32_e32 v22, v23
	v_ashrrev_i32_e32 v22, 31, v22
	v_xor_b32_e32 v23, s13, v22
	v_xor_b32_e32 v22, s12, v22
	v_and_b32_e32 v20, v20, v23
	v_and_b32_e32 v28, v28, v22
	v_lshlrev_b32_e32 v23, 28, v27
	v_mov_b32_e32 v22, v21
	v_cmp_gt_i64_e64 s[12:13], 0, v[22:23]
	v_not_b32_e32 v22, v23
	v_ashrrev_i32_e32 v22, 31, v22
	;; [unrolled: 9-line block ×5, first 2 shown]
	v_xor_b32_e32 v23, s13, v22
	v_xor_b32_e32 v22, s12, v22
	v_and_b32_e32 v20, v20, v23
	v_lshlrev_b32_e32 v23, 24, v27
	v_and_b32_e32 v28, v28, v22
	v_mov_b32_e32 v22, v21
	v_not_b32_e32 v21, v23
	v_cmp_gt_i64_e64 s[12:13], 0, v[22:23]
	v_ashrrev_i32_e32 v21, 31, v21
	; wave barrier
	s_nop 0
	v_xor_b32_e32 v22, s13, v21
	v_xor_b32_e32 v23, s12, v21
	v_and_b32_e32 v21, v20, v22
	v_and_b32_e32 v20, v28, v23
	v_mbcnt_lo_u32_b32 v22, v20, 0
	v_mbcnt_hi_u32_b32 v27, v21, v22
	v_cmp_eq_u32_e64 s[12:13], 0, v27
	v_cmp_ne_u64_e64 s[14:15], 0, v[20:21]
	s_and_b64 s[14:15], s[14:15], s[12:13]
	s_and_saveexec_b64 s[12:13], s[14:15]
	s_cbranch_execz .LBB150_17
; %bb.16:
	v_bcnt_u32_b32 v20, v20, 0
	v_bcnt_u32_b32 v20, v21, v20
	s_waitcnt lgkmcnt(0)
	v_add_u32_e32 v20, v25, v20
	ds_write_b32 v26, v20 offset:64
.LBB150_17:
	s_or_b64 exec, exec, s[12:13]
	v_bfrev_b32_e32 v32, -2
	v_cmp_gt_i64_e64 s[12:13], 0, v[16:17]
	v_ashrrev_i32_e32 v21, 31, v17
	s_mov_b32 s16, 0
	v_cndmask_b32_e64 v20, v32, 0, s[12:13]
	v_not_b32_e32 v21, v21
	s_brev_b32 s17, 1
	v_xor_b32_e32 v17, v20, v17
	v_xor_b32_e32 v16, v21, v16
	v_cmp_ne_u64_e64 s[12:13], s[16:17], v[16:17]
	s_movk_i32 s18, 0x44
	s_nop 0
	v_cndmask_b32_e64 v21, v32, v17, s[12:13]
	v_cndmask_b32_e64 v20, -1, v16, s[12:13]
	v_lshrrev_b64 v[20:21], s48, v[20:21]
	v_and_b32_e32 v30, s33, v20
	v_mul_lo_u32 v20, v30, s18
	v_lshl_add_u32 v29, v31, 2, v20
	v_and_b32_e32 v20, 1, v30
	v_mov_b32_e32 v21, 0
	v_lshl_add_u64 v[22:23], v[20:21], 0, -1
	v_cmp_ne_u32_e64 s[12:13], 0, v20
	; wave barrier
	ds_read_b32 v28, v29 offset:64
	s_nop 0
	v_xor_b32_e32 v22, s12, v22
	v_xor_b32_e32 v20, s13, v23
	v_and_b32_e32 v33, exec_lo, v22
	v_lshlrev_b32_e32 v23, 30, v30
	v_mov_b32_e32 v22, v21
	v_cmp_gt_i64_e64 s[12:13], 0, v[22:23]
	v_not_b32_e32 v22, v23
	v_ashrrev_i32_e32 v22, 31, v22
	v_and_b32_e32 v20, exec_hi, v20
	v_xor_b32_e32 v23, s13, v22
	v_xor_b32_e32 v22, s12, v22
	v_and_b32_e32 v20, v20, v23
	v_and_b32_e32 v33, v33, v22
	v_lshlrev_b32_e32 v23, 29, v30
	v_mov_b32_e32 v22, v21
	v_cmp_gt_i64_e64 s[12:13], 0, v[22:23]
	v_not_b32_e32 v22, v23
	v_ashrrev_i32_e32 v22, 31, v22
	v_xor_b32_e32 v23, s13, v22
	v_xor_b32_e32 v22, s12, v22
	v_and_b32_e32 v20, v20, v23
	v_and_b32_e32 v33, v33, v22
	v_lshlrev_b32_e32 v23, 28, v30
	v_mov_b32_e32 v22, v21
	v_cmp_gt_i64_e64 s[12:13], 0, v[22:23]
	v_not_b32_e32 v22, v23
	v_ashrrev_i32_e32 v22, 31, v22
	;; [unrolled: 9-line block ×6, first 2 shown]
	v_xor_b32_e32 v23, s13, v22
	v_xor_b32_e32 v22, s12, v22
	v_and_b32_e32 v22, v33, v22
	v_and_b32_e32 v23, v20, v23
	v_mbcnt_lo_u32_b32 v20, v22, 0
	v_mbcnt_hi_u32_b32 v30, v23, v20
	v_cmp_eq_u32_e64 s[12:13], 0, v30
	v_cmp_ne_u64_e64 s[14:15], 0, v[22:23]
	s_and_b64 s[14:15], s[14:15], s[12:13]
	; wave barrier
	s_and_saveexec_b64 s[12:13], s[14:15]
	s_cbranch_execz .LBB150_19
; %bb.18:
	v_bcnt_u32_b32 v20, v22, 0
	v_bcnt_u32_b32 v20, v23, v20
	s_waitcnt lgkmcnt(0)
	v_add_u32_e32 v20, v28, v20
	ds_write_b32 v29, v20 offset:64
.LBB150_19:
	s_or_b64 exec, exec, s[12:13]
	v_cmp_gt_i64_e64 s[12:13], 0, v[18:19]
	v_ashrrev_i32_e32 v22, 31, v19
	v_not_b32_e32 v22, v22
	v_cndmask_b32_e64 v20, v32, 0, s[12:13]
	v_xor_b32_e32 v19, v20, v19
	v_xor_b32_e32 v18, v22, v18
	v_cmp_ne_u64_e64 s[12:13], s[16:17], v[18:19]
	; wave barrier
	s_nop 1
	v_cndmask_b32_e64 v23, v32, v19, s[12:13]
	v_cndmask_b32_e64 v22, -1, v18, s[12:13]
	v_lshrrev_b64 v[22:23], s48, v[22:23]
	v_and_b32_e32 v33, s33, v22
	v_mul_lo_u32 v20, v33, s18
	v_lshl_add_u32 v32, v31, 2, v20
	v_and_b32_e32 v20, 1, v33
	v_lshl_add_u64 v[22:23], v[20:21], 0, -1
	v_cmp_ne_u32_e64 s[12:13], 0, v20
	ds_read_b32 v34, v32 offset:64
	s_nop 0
	v_xor_b32_e32 v22, s12, v22
	v_xor_b32_e32 v20, s13, v23
	v_and_b32_e32 v35, exec_lo, v22
	v_lshlrev_b32_e32 v23, 30, v33
	v_mov_b32_e32 v22, v21
	v_cmp_gt_i64_e64 s[12:13], 0, v[22:23]
	v_not_b32_e32 v22, v23
	v_ashrrev_i32_e32 v22, 31, v22
	v_and_b32_e32 v20, exec_hi, v20
	v_xor_b32_e32 v23, s13, v22
	v_xor_b32_e32 v22, s12, v22
	v_and_b32_e32 v20, v20, v23
	v_and_b32_e32 v35, v35, v22
	v_lshlrev_b32_e32 v23, 29, v33
	v_mov_b32_e32 v22, v21
	v_cmp_gt_i64_e64 s[12:13], 0, v[22:23]
	v_not_b32_e32 v22, v23
	v_ashrrev_i32_e32 v22, 31, v22
	v_xor_b32_e32 v23, s13, v22
	v_xor_b32_e32 v22, s12, v22
	v_and_b32_e32 v20, v20, v23
	v_and_b32_e32 v35, v35, v22
	v_lshlrev_b32_e32 v23, 28, v33
	v_mov_b32_e32 v22, v21
	v_cmp_gt_i64_e64 s[12:13], 0, v[22:23]
	v_not_b32_e32 v22, v23
	v_ashrrev_i32_e32 v22, 31, v22
	;; [unrolled: 9-line block ×5, first 2 shown]
	v_xor_b32_e32 v23, s13, v22
	v_xor_b32_e32 v22, s12, v22
	v_and_b32_e32 v20, v20, v23
	v_lshlrev_b32_e32 v23, 24, v33
	v_and_b32_e32 v35, v35, v22
	v_mov_b32_e32 v22, v21
	v_not_b32_e32 v21, v23
	v_cmp_gt_i64_e64 s[12:13], 0, v[22:23]
	v_ashrrev_i32_e32 v21, 31, v21
	; wave barrier
	s_nop 0
	v_xor_b32_e32 v22, s13, v21
	v_xor_b32_e32 v23, s12, v21
	v_and_b32_e32 v21, v20, v22
	v_and_b32_e32 v20, v35, v23
	v_mbcnt_lo_u32_b32 v22, v20, 0
	v_mbcnt_hi_u32_b32 v35, v21, v22
	v_cmp_eq_u32_e64 s[12:13], 0, v35
	v_cmp_ne_u64_e64 s[14:15], 0, v[20:21]
	s_and_b64 s[14:15], s[14:15], s[12:13]
	s_and_saveexec_b64 s[12:13], s[14:15]
	s_cbranch_execz .LBB150_21
; %bb.20:
	v_bcnt_u32_b32 v20, v20, 0
	v_bcnt_u32_b32 v20, v21, v20
	s_waitcnt lgkmcnt(0)
	v_add_u32_e32 v20, v34, v20
	ds_write_b32 v32, v20 offset:64
.LBB150_21:
	s_or_b64 exec, exec, s[12:13]
	v_bfrev_b32_e32 v38, -2
	v_cmp_gt_i64_e64 s[12:13], 0, v[12:13]
	v_ashrrev_i32_e32 v21, 31, v13
	v_not_b32_e32 v22, v21
	v_cndmask_b32_e64 v20, v38, 0, s[12:13]
	v_xor_b32_e32 v21, v20, v13
	v_xor_b32_e32 v20, v22, v12
	v_cmp_ne_u64_e64 s[12:13], s[16:17], v[20:21]
	; wave barrier
	s_nop 1
	v_cndmask_b32_e64 v13, v38, v21, s[12:13]
	v_cndmask_b32_e64 v12, -1, v20, s[12:13]
	v_lshrrev_b64 v[12:13], s48, v[12:13]
	v_and_b32_e32 v37, s33, v12
	v_mul_lo_u32 v12, v37, s18
	v_lshl_add_u32 v33, v31, 2, v12
	v_and_b32_e32 v12, 1, v37
	v_mov_b32_e32 v13, 0
	v_lshl_add_u64 v[22:23], v[12:13], 0, -1
	v_cmp_ne_u32_e64 s[12:13], 0, v12
	ds_read_b32 v36, v33 offset:64
	s_nop 0
	v_xor_b32_e32 v22, s12, v22
	v_xor_b32_e32 v12, s13, v23
	v_and_b32_e32 v39, exec_lo, v22
	v_lshlrev_b32_e32 v23, 30, v37
	v_mov_b32_e32 v22, v13
	v_cmp_gt_i64_e64 s[12:13], 0, v[22:23]
	v_not_b32_e32 v22, v23
	v_ashrrev_i32_e32 v22, 31, v22
	v_and_b32_e32 v12, exec_hi, v12
	v_xor_b32_e32 v23, s13, v22
	v_xor_b32_e32 v22, s12, v22
	v_and_b32_e32 v12, v12, v23
	v_and_b32_e32 v39, v39, v22
	v_lshlrev_b32_e32 v23, 29, v37
	v_mov_b32_e32 v22, v13
	v_cmp_gt_i64_e64 s[12:13], 0, v[22:23]
	v_not_b32_e32 v22, v23
	v_ashrrev_i32_e32 v22, 31, v22
	v_xor_b32_e32 v23, s13, v22
	v_xor_b32_e32 v22, s12, v22
	v_and_b32_e32 v12, v12, v23
	v_and_b32_e32 v39, v39, v22
	v_lshlrev_b32_e32 v23, 28, v37
	v_mov_b32_e32 v22, v13
	v_cmp_gt_i64_e64 s[12:13], 0, v[22:23]
	v_not_b32_e32 v22, v23
	v_ashrrev_i32_e32 v22, 31, v22
	;; [unrolled: 9-line block ×6, first 2 shown]
	v_xor_b32_e32 v23, s13, v22
	v_xor_b32_e32 v22, s12, v22
	v_and_b32_e32 v22, v39, v22
	v_and_b32_e32 v23, v12, v23
	v_mbcnt_lo_u32_b32 v12, v22, 0
	v_mbcnt_hi_u32_b32 v37, v23, v12
	v_cmp_eq_u32_e64 s[12:13], 0, v37
	v_cmp_ne_u64_e64 s[14:15], 0, v[22:23]
	s_and_b64 s[14:15], s[14:15], s[12:13]
	; wave barrier
	s_and_saveexec_b64 s[12:13], s[14:15]
	s_cbranch_execz .LBB150_23
; %bb.22:
	v_bcnt_u32_b32 v12, v22, 0
	v_bcnt_u32_b32 v12, v23, v12
	s_waitcnt lgkmcnt(0)
	v_add_u32_e32 v12, v36, v12
	ds_write_b32 v33, v12 offset:64
.LBB150_23:
	s_or_b64 exec, exec, s[12:13]
	v_cmp_gt_i64_e64 s[12:13], 0, v[10:11]
	v_ashrrev_i32_e32 v22, 31, v11
	v_not_b32_e32 v22, v22
	v_cndmask_b32_e64 v12, v38, 0, s[12:13]
	v_xor_b32_e32 v23, v12, v11
	v_xor_b32_e32 v22, v22, v10
	v_cmp_ne_u64_e64 s[12:13], s[16:17], v[22:23]
	; wave barrier
	s_nop 1
	v_cndmask_b32_e64 v11, v38, v23, s[12:13]
	v_cndmask_b32_e64 v10, -1, v22, s[12:13]
	v_lshrrev_b64 v[10:11], s48, v[10:11]
	v_and_b32_e32 v39, s33, v10
	v_mul_lo_u32 v10, v39, s18
	v_and_b32_e32 v12, 1, v39
	v_lshl_add_u32 v38, v31, 2, v10
	v_lshl_add_u64 v[10:11], v[12:13], 0, -1
	v_cmp_ne_u32_e64 s[12:13], 0, v12
	ds_read_b32 v31, v38 offset:64
	s_nop 0
	v_xor_b32_e32 v11, s13, v11
	v_xor_b32_e32 v10, s12, v10
	v_and_b32_e32 v12, exec_hi, v11
	v_and_b32_e32 v40, exec_lo, v10
	v_lshlrev_b32_e32 v11, 30, v39
	v_mov_b32_e32 v10, v13
	v_cmp_gt_i64_e64 s[12:13], 0, v[10:11]
	v_not_b32_e32 v10, v11
	v_ashrrev_i32_e32 v10, 31, v10
	v_xor_b32_e32 v11, s13, v10
	v_xor_b32_e32 v10, s12, v10
	v_and_b32_e32 v12, v12, v11
	v_and_b32_e32 v40, v40, v10
	v_lshlrev_b32_e32 v11, 29, v39
	v_mov_b32_e32 v10, v13
	v_cmp_gt_i64_e64 s[12:13], 0, v[10:11]
	v_not_b32_e32 v10, v11
	v_ashrrev_i32_e32 v10, 31, v10
	v_xor_b32_e32 v11, s13, v10
	v_xor_b32_e32 v10, s12, v10
	v_and_b32_e32 v12, v12, v11
	v_and_b32_e32 v40, v40, v10
	;; [unrolled: 9-line block ×7, first 2 shown]
	v_mbcnt_lo_u32_b32 v12, v10, 0
	v_mbcnt_hi_u32_b32 v39, v11, v12
	v_cmp_eq_u32_e64 s[12:13], 0, v39
	v_cmp_ne_u64_e64 s[14:15], 0, v[10:11]
	s_and_b64 s[14:15], s[14:15], s[12:13]
	; wave barrier
	s_and_saveexec_b64 s[12:13], s[14:15]
	s_cbranch_execz .LBB150_25
; %bb.24:
	v_bcnt_u32_b32 v10, v10, 0
	v_bcnt_u32_b32 v10, v11, v10
	s_waitcnt lgkmcnt(0)
	v_add_u32_e32 v10, v31, v10
	ds_write_b32 v38, v10 offset:64
.LBB150_25:
	s_or_b64 exec, exec, s[12:13]
	; wave barrier
	s_waitcnt lgkmcnt(0)
	s_barrier
	ds_read2_b32 v[12:13], v3 offset0:16 offset1:17
	ds_read2_b32 v[10:11], v3 offset0:18 offset1:19
	ds_read_b32 v40, v3 offset:80
	v_cmp_lt_u32_e64 s[20:21], 31, v7
	s_waitcnt lgkmcnt(1)
	v_add3_u32 v41, v13, v12, v10
	s_waitcnt lgkmcnt(0)
	v_add3_u32 v40, v41, v11, v40
	v_and_b32_e32 v41, 15, v7
	v_cmp_eq_u32_e64 s[12:13], 0, v41
	v_mov_b32_dpp v42, v40 row_shr:1 row_mask:0xf bank_mask:0xf
	v_cmp_lt_u32_e64 s[14:15], 1, v41
	v_cndmask_b32_e64 v42, v42, 0, s[12:13]
	v_add_u32_e32 v40, v42, v40
	v_cmp_lt_u32_e64 s[16:17], 3, v41
	v_cmp_lt_u32_e64 s[18:19], 7, v41
	v_mov_b32_dpp v42, v40 row_shr:2 row_mask:0xf bank_mask:0xf
	v_cndmask_b32_e64 v42, 0, v42, s[14:15]
	v_add_u32_e32 v40, v40, v42
	s_nop 1
	v_mov_b32_dpp v42, v40 row_shr:4 row_mask:0xf bank_mask:0xf
	v_cndmask_b32_e64 v42, 0, v42, s[16:17]
	v_add_u32_e32 v40, v40, v42
	s_nop 1
	v_mov_b32_dpp v42, v40 row_shr:8 row_mask:0xf bank_mask:0xf
	v_cndmask_b32_e64 v41, 0, v42, s[18:19]
	v_add_u32_e32 v40, v40, v41
	v_bfe_i32 v42, v7, 4, 1
	s_nop 0
	v_mov_b32_dpp v41, v40 row_bcast:15 row_mask:0xf bank_mask:0xf
	v_and_b32_e32 v41, v42, v41
	v_add_u32_e32 v40, v40, v41
	v_and_b32_e32 v42, 63, v6
	s_nop 0
	v_mov_b32_dpp v41, v40 row_bcast:31 row_mask:0xf bank_mask:0xf
	v_cndmask_b32_e64 v41, 0, v41, s[20:21]
	v_add_u32_e32 v40, v40, v41
	v_lshrrev_b32_e32 v41, 6, v6
	v_cmp_eq_u32_e64 s[20:21], 63, v42
	s_and_saveexec_b64 s[22:23], s[20:21]
; %bb.26:
	v_lshlrev_b32_e32 v42, 2, v41
	ds_write_b32 v42, v40
; %bb.27:
	s_or_b64 exec, exec, s[22:23]
	v_cmp_gt_u32_e64 s[20:21], 16, v6
	s_waitcnt lgkmcnt(0)
	s_barrier
	s_and_saveexec_b64 s[22:23], s[20:21]
	s_cbranch_execz .LBB150_29
; %bb.28:
	v_lshlrev_b32_e32 v42, 2, v6
	ds_read_b32 v43, v42
	s_waitcnt lgkmcnt(0)
	s_nop 0
	v_mov_b32_dpp v44, v43 row_shr:1 row_mask:0xf bank_mask:0xf
	v_cndmask_b32_e64 v44, v44, 0, s[12:13]
	v_add_u32_e32 v43, v44, v43
	s_nop 1
	v_mov_b32_dpp v44, v43 row_shr:2 row_mask:0xf bank_mask:0xf
	v_cndmask_b32_e64 v44, 0, v44, s[14:15]
	v_add_u32_e32 v43, v43, v44
	;; [unrolled: 4-line block ×4, first 2 shown]
	ds_write_b32 v42, v43
.LBB150_29:
	s_or_b64 exec, exec, s[22:23]
	v_cmp_lt_u32_e64 s[12:13], 63, v6
	v_mov_b32_e32 v42, 0
	s_waitcnt lgkmcnt(0)
	s_barrier
	s_and_saveexec_b64 s[14:15], s[12:13]
; %bb.30:
	v_lshl_add_u32 v41, v41, 2, -4
	ds_read_b32 v42, v41
; %bb.31:
	s_or_b64 exec, exec, s[14:15]
	v_add_u32_e32 v41, -1, v7
	v_and_b32_e32 v43, 64, v7
	v_cmp_lt_i32_e64 s[12:13], v41, v43
	s_waitcnt lgkmcnt(0)
	v_add_u32_e32 v40, v42, v40
	s_movk_i32 s16, 0x100
	v_cndmask_b32_e64 v41, v41, v7, s[12:13]
	v_lshlrev_b32_e32 v41, 2, v41
	ds_bpermute_b32 v40, v41, v40
	v_cmp_eq_u32_e64 s[12:13], 0, v7
	v_cmp_gt_u32_e64 s[14:15], s16, v6
	s_waitcnt lgkmcnt(0)
	v_cndmask_b32_e64 v7, v40, v42, s[12:13]
	v_cmp_ne_u32_e64 s[12:13], 0, v6
	s_nop 1
	v_cndmask_b32_e64 v7, 0, v7, s[12:13]
	v_add_u32_e32 v12, v7, v12
	v_add_u32_e32 v13, v12, v13
	;; [unrolled: 1-line block ×4, first 2 shown]
	ds_write2_b32 v3, v7, v12 offset0:16 offset1:17
	ds_write2_b32 v3, v13, v10 offset0:18 offset1:19
	ds_write_b32 v3, v11 offset:80
	s_waitcnt lgkmcnt(0)
	s_barrier
	ds_read_b32 v13, v24 offset:64
	ds_read_b32 v40, v26 offset:64
	;; [unrolled: 1-line block ×6, first 2 shown]
	s_movk_i32 s12, 0xff
	v_cmp_lt_u32_e64 s[12:13], s12, v6
	v_mov_b64_e32 v[10:11], 0
                                        ; implicit-def: $vgpr12
	s_and_saveexec_b64 s[18:19], s[14:15]
	s_cbranch_execz .LBB150_35
; %bb.32:
	v_mul_u32_u24_e32 v10, 0x44, v6
	ds_read_b32 v10, v10 offset:64
	v_add_u32_e32 v12, 1, v6
	v_cmp_ne_u32_e64 s[16:17], s16, v12
	v_mov_b32_e32 v11, 0x1800
	s_and_saveexec_b64 s[20:21], s[16:17]
; %bb.33:
	v_mul_u32_u24_e32 v11, 0x44, v12
	ds_read_b32 v11, v11 offset:64
; %bb.34:
	s_or_b64 exec, exec, s[20:21]
	s_waitcnt lgkmcnt(0)
	v_sub_u32_e32 v12, v11, v10
	v_mov_b32_e32 v11, 0
.LBB150_35:
	s_or_b64 exec, exec, s[18:19]
	v_lshlrev_b32_e32 v5, 3, v5
	s_waitcnt lgkmcnt(5)
	v_lshl_add_u32 v13, v13, 3, v5
	s_waitcnt lgkmcnt(0)
	s_barrier
	ds_write_b64 v13, v[8:9] offset:2048
	v_lshlrev_b32_e32 v5, 3, v40
	v_lshlrev_b32_e32 v8, 3, v27
	v_lshlrev_b32_e32 v9, 3, v25
	v_add3_u32 v32, v5, v8, v9
	v_lshlrev_b32_e32 v5, 3, v26
	v_lshlrev_b32_e32 v8, 3, v30
	v_lshlrev_b32_e32 v9, 3, v28
	v_add3_u32 v33, v5, v8, v9
	;; [unrolled: 4-line block ×4, first 2 shown]
	v_lshlrev_b32_e32 v3, 3, v3
	v_lshlrev_b32_e32 v5, 3, v39
	;; [unrolled: 1-line block ×3, first 2 shown]
	ds_write_b64 v32, v[14:15] offset:2048
	v_add3_u32 v36, v3, v5, v7
	v_mov_b32_e32 v15, 0
	v_lshlrev_b32_e32 v8, 3, v6
	ds_write_b64 v33, v[16:17] offset:2048
	ds_write_b64 v34, v[18:19] offset:2048
	;; [unrolled: 1-line block ×4, first 2 shown]
	s_waitcnt lgkmcnt(0)
	s_barrier
	s_and_saveexec_b64 s[16:17], s[14:15]
	s_cbranch_execz .LBB150_45
; %bb.36:
	v_lshl_add_u32 v14, s2, 8, v6
	v_lshl_add_u64 v[16:17], v[14:15], 2, s[30:31]
	v_or_b32_e32 v3, 2.0, v12
	global_store_dword v[16:17], v3, off sc1
	s_mov_b64 s[18:19], 0
	s_brev_b32 s24, -4
	s_mov_b32 s25, s2
	v_mov_b32_e32 v3, 0
                                        ; implicit-def: $sgpr14_sgpr15
	s_branch .LBB150_39
.LBB150_37:                             ;   in Loop: Header=BB150_39 Depth=1
	s_or_b64 exec, exec, s[22:23]
.LBB150_38:                             ;   in Loop: Header=BB150_39 Depth=1
	s_or_b64 exec, exec, s[20:21]
	v_and_b32_e32 v7, 0x3fffffff, v5
	v_add_u32_e32 v3, v7, v3
	v_cmp_gt_i32_e64 s[14:15], -2.0, v5
	s_and_b64 s[20:21], exec, s[14:15]
	s_or_b64 s[18:19], s[20:21], s[18:19]
	s_andn2_b64 exec, exec, s[18:19]
	s_cbranch_execz .LBB150_44
.LBB150_39:                             ; =>This Loop Header: Depth=1
                                        ;     Child Loop BB150_42 Depth 2
	s_or_b64 s[14:15], s[14:15], exec
	s_cmp_eq_u32 s25, 0
	s_cbranch_scc1 .LBB150_43
; %bb.40:                               ;   in Loop: Header=BB150_39 Depth=1
	s_add_i32 s25, s25, -1
	v_lshl_or_b32 v14, s25, 8, v6
	v_lshl_add_u64 v[18:19], v[14:15], 2, s[30:31]
	global_load_dword v5, v[18:19], off sc1
	s_waitcnt vmcnt(0)
	v_cmp_gt_u32_e64 s[14:15], 2.0, v5
	s_and_saveexec_b64 s[20:21], s[14:15]
	s_cbranch_execz .LBB150_38
; %bb.41:                               ;   in Loop: Header=BB150_39 Depth=1
	s_mov_b64 s[22:23], 0
.LBB150_42:                             ;   Parent Loop BB150_39 Depth=1
                                        ; =>  This Inner Loop Header: Depth=2
	global_load_dword v5, v[18:19], off sc1
	s_waitcnt vmcnt(0)
	v_cmp_lt_u32_e64 s[14:15], s24, v5
	s_or_b64 s[22:23], s[14:15], s[22:23]
	s_andn2_b64 exec, exec, s[22:23]
	s_cbranch_execnz .LBB150_42
	s_branch .LBB150_37
.LBB150_43:                             ;   in Loop: Header=BB150_39 Depth=1
                                        ; implicit-def: $sgpr25
	s_and_b64 s[20:21], exec, s[14:15]
	s_or_b64 s[18:19], s[20:21], s[18:19]
	s_andn2_b64 exec, exec, s[18:19]
	s_cbranch_execnz .LBB150_39
.LBB150_44:
	s_or_b64 exec, exec, s[18:19]
	v_add_u32_e32 v5, v3, v12
	v_or_b32_e32 v5, 0x80000000, v5
	global_store_dword v[16:17], v5, off sc1
	global_load_dwordx2 v[14:15], v8, s[44:45]
	v_sub_co_u32_e64 v16, s[14:15], v3, v10
	s_nop 1
	v_subb_co_u32_e64 v17, s[14:15], 0, v11, s[14:15]
	s_waitcnt vmcnt(0)
	v_lshl_add_u64 v[14:15], v[16:17], 0, v[14:15]
	ds_write_b64 v8, v[14:15]
.LBB150_45:
	s_or_b64 exec, exec, s[16:17]
	v_cmp_gt_u32_e64 s[14:15], s35, v6
	s_waitcnt lgkmcnt(0)
	s_barrier
	s_and_saveexec_b64 s[18:19], s[14:15]
	s_cbranch_execz .LBB150_47
; %bb.46:
	ds_read_b64 v[14:15], v8 offset:2048
	s_mov_b32 s16, 0
	s_brev_b32 s17, 1
	v_bfrev_b32_e32 v3, -2
	v_mov_b32_e32 v9, 0
	s_waitcnt lgkmcnt(0)
	v_cmp_ne_u64_e64 s[16:17], s[16:17], v[14:15]
	s_nop 1
	v_cndmask_b32_e64 v17, v3, v15, s[16:17]
	v_cndmask_b32_e64 v16, -1, v14, s[16:17]
	v_lshrrev_b64 v[16:17], s48, v[16:17]
	v_and_b32_e32 v5, s33, v16
	v_lshlrev_b32_e32 v5, 3, v5
	ds_read_b64 v[16:17], v5
	v_cmp_gt_i64_e64 s[16:17], 0, v[14:15]
	v_ashrrev_i32_e32 v5, 31, v15
	v_not_b32_e32 v5, v5
	v_cndmask_b32_e64 v3, v3, 0, s[16:17]
	s_waitcnt lgkmcnt(0)
	v_lshl_add_u64 v[16:17], v[16:17], 3, s[38:39]
	v_xor_b32_e32 v15, v3, v15
	v_xor_b32_e32 v14, v5, v14
	v_lshl_add_u64 v[16:17], v[16:17], 0, v[8:9]
	global_store_dwordx2 v[16:17], v[14:15], off
.LBB150_47:
	s_or_b64 exec, exec, s[18:19]
	v_or_b32_e32 v3, 0x400, v6
	v_cmp_gt_u32_e64 s[16:17], s35, v3
	v_lshlrev_b32_e32 v14, 3, v3
	s_and_saveexec_b64 s[20:21], s[16:17]
	s_cbranch_execz .LBB150_49
; %bb.48:
	ds_read_b64 v[16:17], v8 offset:10240
	s_mov_b32 s18, 0
	s_brev_b32 s19, 1
	v_bfrev_b32_e32 v3, -2
	v_mov_b32_e32 v15, 0
	s_waitcnt lgkmcnt(0)
	v_cmp_ne_u64_e64 s[18:19], s[18:19], v[16:17]
	s_nop 1
	v_cndmask_b32_e64 v19, v3, v17, s[18:19]
	v_cndmask_b32_e64 v18, -1, v16, s[18:19]
	v_lshrrev_b64 v[18:19], s48, v[18:19]
	v_and_b32_e32 v5, s33, v18
	v_lshlrev_b32_e32 v5, 3, v5
	ds_read_b64 v[18:19], v5
	v_cmp_gt_i64_e64 s[18:19], 0, v[16:17]
	v_ashrrev_i32_e32 v5, 31, v17
	v_not_b32_e32 v5, v5
	v_cndmask_b32_e64 v3, v3, 0, s[18:19]
	s_waitcnt lgkmcnt(0)
	v_lshl_add_u64 v[18:19], v[18:19], 3, s[38:39]
	v_xor_b32_e32 v17, v3, v17
	v_xor_b32_e32 v16, v5, v16
	v_lshl_add_u64 v[18:19], v[18:19], 0, v[14:15]
	global_store_dwordx2 v[18:19], v[16:17], off
.LBB150_49:
	s_or_b64 exec, exec, s[20:21]
	v_or_b32_e32 v3, 0x800, v6
	v_cmp_gt_u32_e64 s[18:19], s35, v3
	v_lshlrev_b32_e32 v16, 3, v3
	;; [unrolled: 32-line block ×5, first 2 shown]
	s_and_saveexec_b64 s[52:53], s[24:25]
	s_cbranch_execz .LBB150_57
; %bb.56:
	ds_read_b64 v[22:23], v8 offset:43008
	s_mov_b32 s28, 0
	s_brev_b32 s29, 1
	v_bfrev_b32_e32 v3, -2
	v_mov_b32_e32 v7, 0
	s_waitcnt lgkmcnt(0)
	v_cmp_ne_u64_e64 s[28:29], s[28:29], v[22:23]
	s_nop 1
	v_cndmask_b32_e64 v25, v3, v23, s[28:29]
	v_cndmask_b32_e64 v24, -1, v22, s[28:29]
	v_lshrrev_b64 v[24:25], s48, v[24:25]
	v_and_b32_e32 v5, s33, v24
	v_lshlrev_b32_e32 v5, 3, v5
	ds_read_b64 v[24:25], v5
	v_cmp_gt_i64_e64 s[28:29], 0, v[22:23]
	v_ashrrev_i32_e32 v5, 31, v23
	v_not_b32_e32 v5, v5
	v_cndmask_b32_e64 v3, v3, 0, s[28:29]
	s_waitcnt lgkmcnt(0)
	v_lshl_add_u64 v[24:25], v[24:25], 3, s[38:39]
	v_xor_b32_e32 v23, v3, v23
	v_xor_b32_e32 v22, v5, v22
	v_lshl_add_u64 v[24:25], v[24:25], 0, v[6:7]
	global_store_dwordx2 v[24:25], v[22:23], off
.LBB150_57:
	s_or_b64 exec, exec, s[52:53]
	s_add_u32 s28, s40, s50
	s_addc_u32 s29, s41, s51
	v_mov_b32_e32 v3, 0
	v_lshl_add_u64 v[22:23], s[28:29], 0, v[2:3]
	v_mov_b32_e32 v5, v3
	v_lshl_add_u64 v[30:31], v[22:23], 0, v[4:5]
                                        ; implicit-def: $vgpr2_vgpr3
	s_and_saveexec_b64 s[28:29], vcc
	s_xor_b64 s[28:29], exec, s[28:29]
	s_cbranch_execz .LBB150_63
; %bb.58:
	global_load_dwordx2 v[2:3], v[30:31], off
	s_or_b64 exec, exec, s[28:29]
                                        ; implicit-def: $vgpr4_vgpr5
	s_and_saveexec_b64 s[28:29], s[26:27]
	s_cbranch_execnz .LBB150_64
.LBB150_59:
	s_or_b64 exec, exec, s[28:29]
                                        ; implicit-def: $vgpr22_vgpr23
	s_and_saveexec_b64 s[26:27], s[4:5]
	s_cbranch_execz .LBB150_65
.LBB150_60:
	global_load_dwordx2 v[22:23], v[30:31], off offset:1024
	s_or_b64 exec, exec, s[26:27]
                                        ; implicit-def: $vgpr24_vgpr25
	s_and_saveexec_b64 s[4:5], s[6:7]
	s_cbranch_execnz .LBB150_66
.LBB150_61:
	s_or_b64 exec, exec, s[4:5]
                                        ; implicit-def: $vgpr26_vgpr27
	s_and_saveexec_b64 s[4:5], s[8:9]
	s_cbranch_execz .LBB150_67
.LBB150_62:
	global_load_dwordx2 v[26:27], v[30:31], off offset:2048
	s_or_b64 exec, exec, s[4:5]
                                        ; implicit-def: $vgpr28_vgpr29
	s_and_saveexec_b64 s[4:5], s[10:11]
	s_cbranch_execnz .LBB150_68
	s_branch .LBB150_69
.LBB150_63:
	s_or_b64 exec, exec, s[28:29]
                                        ; implicit-def: $vgpr4_vgpr5
	s_and_saveexec_b64 s[28:29], s[26:27]
	s_cbranch_execz .LBB150_59
.LBB150_64:
	global_load_dwordx2 v[4:5], v[30:31], off offset:512
	s_or_b64 exec, exec, s[28:29]
                                        ; implicit-def: $vgpr22_vgpr23
	s_and_saveexec_b64 s[26:27], s[4:5]
	s_cbranch_execnz .LBB150_60
.LBB150_65:
	s_or_b64 exec, exec, s[26:27]
                                        ; implicit-def: $vgpr24_vgpr25
	s_and_saveexec_b64 s[4:5], s[6:7]
	s_cbranch_execz .LBB150_61
.LBB150_66:
	global_load_dwordx2 v[24:25], v[30:31], off offset:1536
	s_or_b64 exec, exec, s[4:5]
                                        ; implicit-def: $vgpr26_vgpr27
	s_and_saveexec_b64 s[4:5], s[8:9]
	s_cbranch_execnz .LBB150_62
.LBB150_67:
	s_or_b64 exec, exec, s[4:5]
                                        ; implicit-def: $vgpr28_vgpr29
	s_and_saveexec_b64 s[4:5], s[10:11]
	s_cbranch_execz .LBB150_69
.LBB150_68:
	global_load_dwordx2 v[28:29], v[30:31], off offset:2560
.LBB150_69:
	s_or_b64 exec, exec, s[4:5]
	v_mov_b32_e32 v7, 0
	v_mov_b32_e32 v9, 0
	s_and_saveexec_b64 s[4:5], s[14:15]
	s_cbranch_execz .LBB150_71
; %bb.70:
	ds_read_b64 v[30:31], v8 offset:2048
	s_mov_b32 s6, 0
	s_brev_b32 s7, 1
	v_bfrev_b32_e32 v9, -2
	s_waitcnt lgkmcnt(0)
	v_cmp_ne_u64_e32 vcc, s[6:7], v[30:31]
	s_nop 1
	v_cndmask_b32_e32 v31, v9, v31, vcc
	v_cndmask_b32_e32 v30, -1, v30, vcc
	v_lshrrev_b64 v[30:31], s48, v[30:31]
	v_and_b32_e32 v9, s33, v30
.LBB150_71:
	s_or_b64 exec, exec, s[4:5]
	s_and_saveexec_b64 s[4:5], s[16:17]
	s_cbranch_execz .LBB150_73
; %bb.72:
	ds_read_b64 v[30:31], v8 offset:10240
	s_mov_b32 s6, 0
	s_brev_b32 s7, 1
	v_bfrev_b32_e32 v7, -2
	s_waitcnt lgkmcnt(0)
	v_cmp_ne_u64_e32 vcc, s[6:7], v[30:31]
	s_nop 1
	v_cndmask_b32_e32 v31, v7, v31, vcc
	v_cndmask_b32_e32 v30, -1, v30, vcc
	v_lshrrev_b64 v[30:31], s48, v[30:31]
	v_and_b32_e32 v7, s33, v30
.LBB150_73:
	s_or_b64 exec, exec, s[4:5]
	v_mov_b32_e32 v19, 0
	v_mov_b32_e32 v17, 0
	s_and_saveexec_b64 s[4:5], s[18:19]
	s_cbranch_execz .LBB150_75
; %bb.74:
	ds_read_b64 v[30:31], v8 offset:18432
	s_mov_b32 s6, 0
	s_brev_b32 s7, 1
	v_bfrev_b32_e32 v15, -2
	s_waitcnt lgkmcnt(0)
	v_cmp_ne_u64_e32 vcc, s[6:7], v[30:31]
	s_nop 1
	v_cndmask_b32_e32 v31, v15, v31, vcc
	v_cndmask_b32_e32 v30, -1, v30, vcc
	v_lshrrev_b64 v[30:31], s48, v[30:31]
	v_and_b32_e32 v17, s33, v30
.LBB150_75:
	s_or_b64 exec, exec, s[4:5]
	s_and_saveexec_b64 s[4:5], s[20:21]
	s_cbranch_execz .LBB150_77
; %bb.76:
	ds_read_b64 v[30:31], v8 offset:26624
	s_mov_b32 s6, 0
	s_brev_b32 s7, 1
	v_bfrev_b32_e32 v15, -2
	s_waitcnt lgkmcnt(0)
	v_cmp_ne_u64_e32 vcc, s[6:7], v[30:31]
	s_nop 1
	v_cndmask_b32_e32 v31, v15, v31, vcc
	v_cndmask_b32_e32 v30, -1, v30, vcc
	v_lshrrev_b64 v[30:31], s48, v[30:31]
	v_and_b32_e32 v19, s33, v30
.LBB150_77:
	;; [unrolled: 34-line block ×3, first 2 shown]
	s_or_b64 exec, exec, s[4:5]
	s_barrier
	s_waitcnt vmcnt(0)
	ds_write_b64 v13, v[2:3] offset:2048
	ds_write_b64 v32, v[4:5] offset:2048
	;; [unrolled: 1-line block ×6, first 2 shown]
	s_waitcnt lgkmcnt(0)
	s_barrier
	s_and_saveexec_b64 s[4:5], s[14:15]
	s_cbranch_execz .LBB150_87
; %bb.82:
	v_lshlrev_b32_e32 v2, 3, v9
	ds_read_b64 v[2:3], v2
	ds_read_b64 v[4:5], v8 offset:2048
	v_mov_b32_e32 v9, 0
	s_waitcnt lgkmcnt(1)
	v_lshl_add_u64 v[2:3], v[2:3], 3, s[42:43]
	v_lshl_add_u64 v[2:3], v[2:3], 0, v[8:9]
	s_waitcnt lgkmcnt(0)
	global_store_dwordx2 v[2:3], v[4:5], off
	s_or_b64 exec, exec, s[4:5]
	s_and_saveexec_b64 s[4:5], s[16:17]
	s_cbranch_execnz .LBB150_88
.LBB150_83:
	s_or_b64 exec, exec, s[4:5]
	s_and_saveexec_b64 s[4:5], s[18:19]
	s_cbranch_execz .LBB150_89
.LBB150_84:
	v_lshlrev_b32_e32 v2, 3, v17
	ds_read_b64 v[2:3], v2
	ds_read_b64 v[4:5], v8 offset:18432
	v_mov_b32_e32 v17, 0
	s_waitcnt lgkmcnt(1)
	v_lshl_add_u64 v[2:3], v[2:3], 3, s[42:43]
	v_lshl_add_u64 v[2:3], v[2:3], 0, v[16:17]
	s_waitcnt lgkmcnt(0)
	global_store_dwordx2 v[2:3], v[4:5], off
	s_or_b64 exec, exec, s[4:5]
	s_and_saveexec_b64 s[4:5], s[20:21]
	s_cbranch_execnz .LBB150_90
.LBB150_85:
	s_or_b64 exec, exec, s[4:5]
	s_and_saveexec_b64 s[4:5], s[22:23]
	s_cbranch_execz .LBB150_91
.LBB150_86:
	v_lshlrev_b32_e32 v2, 3, v21
	ds_read_b64 v[2:3], v2
	ds_read_b64 v[4:5], v8 offset:34816
	v_mov_b32_e32 v21, 0
	s_waitcnt lgkmcnt(1)
	v_lshl_add_u64 v[2:3], v[2:3], 3, s[42:43]
	v_lshl_add_u64 v[2:3], v[2:3], 0, v[20:21]
	s_waitcnt lgkmcnt(0)
	global_store_dwordx2 v[2:3], v[4:5], off
	s_or_b64 exec, exec, s[4:5]
	s_and_saveexec_b64 s[4:5], s[24:25]
	s_cbranch_execnz .LBB150_92
	s_branch .LBB150_93
.LBB150_87:
	s_or_b64 exec, exec, s[4:5]
	s_and_saveexec_b64 s[4:5], s[16:17]
	s_cbranch_execz .LBB150_83
.LBB150_88:
	v_lshlrev_b32_e32 v2, 3, v7
	ds_read_b64 v[2:3], v2
	ds_read_b64 v[4:5], v8 offset:10240
	v_mov_b32_e32 v15, 0
	s_waitcnt lgkmcnt(1)
	v_lshl_add_u64 v[2:3], v[2:3], 3, s[42:43]
	v_lshl_add_u64 v[2:3], v[2:3], 0, v[14:15]
	s_waitcnt lgkmcnt(0)
	global_store_dwordx2 v[2:3], v[4:5], off
	s_or_b64 exec, exec, s[4:5]
	s_and_saveexec_b64 s[4:5], s[18:19]
	s_cbranch_execnz .LBB150_84
.LBB150_89:
	s_or_b64 exec, exec, s[4:5]
	s_and_saveexec_b64 s[4:5], s[20:21]
	s_cbranch_execz .LBB150_85
.LBB150_90:
	v_lshlrev_b32_e32 v2, 3, v19
	ds_read_b64 v[2:3], v2
	ds_read_b64 v[4:5], v8 offset:26624
	v_mov_b32_e32 v19, 0
	s_waitcnt lgkmcnt(1)
	v_lshl_add_u64 v[2:3], v[2:3], 3, s[42:43]
	v_lshl_add_u64 v[2:3], v[2:3], 0, v[18:19]
	s_waitcnt lgkmcnt(0)
	global_store_dwordx2 v[2:3], v[4:5], off
	s_or_b64 exec, exec, s[4:5]
	s_and_saveexec_b64 s[4:5], s[22:23]
	s_cbranch_execnz .LBB150_86
.LBB150_91:
	s_or_b64 exec, exec, s[4:5]
	s_and_saveexec_b64 s[4:5], s[24:25]
	s_cbranch_execz .LBB150_93
.LBB150_92:
	v_lshlrev_b32_e32 v2, 3, v30
	ds_read_b64 v[2:3], v2
	ds_read_b64 v[4:5], v8 offset:43008
	v_mov_b32_e32 v7, 0
	s_waitcnt lgkmcnt(1)
	v_lshl_add_u64 v[2:3], v[2:3], 3, s[42:43]
	v_lshl_add_u64 v[2:3], v[2:3], 0, v[6:7]
	s_waitcnt lgkmcnt(0)
	global_store_dwordx2 v[2:3], v[4:5], off
.LBB150_93:
	s_or_b64 exec, exec, s[4:5]
	s_add_i32 s3, s3, -1
	s_cmp_eq_u32 s2, s3
	s_cselect_b64 s[4:5], -1, 0
	s_xor_b64 s[6:7], s[12:13], -1
	s_and_b64 s[6:7], s[6:7], s[4:5]
	s_and_saveexec_b64 s[4:5], s[6:7]
	s_cbranch_execz .LBB150_95
; %bb.94:
	ds_read_b64 v[2:3], v8
	v_mov_b32_e32 v13, 0
	v_lshl_add_u64 v[4:5], v[10:11], 0, v[12:13]
	s_waitcnt lgkmcnt(0)
	v_lshl_add_u64 v[2:3], v[4:5], 0, v[2:3]
	global_store_dwordx2 v8, v[2:3], s[46:47]
.LBB150_95:
	s_or_b64 exec, exec, s[4:5]
	s_mov_b64 s[4:5], 0
.LBB150_96:
	s_and_b64 vcc, exec, s[4:5]
	s_cbranch_vccz .LBB150_131
; %bb.97:
	s_mov_b32 s35, 0
	s_lshl_b64 s[10:11], s[34:35], 3
	s_add_u32 s4, s36, s10
	v_mbcnt_hi_u32_b32 v3, -1, v1
	v_mov_b32_e32 v7, 0
	s_addc_u32 s5, s37, s11
	v_and_b32_e32 v1, 0x3c0, v0
	v_lshlrev_b32_e32 v8, 3, v3
	v_mov_b32_e32 v9, v7
	v_mul_u32_u24_e32 v1, 6, v1
	v_lshl_add_u64 v[4:5], s[4:5], 0, v[8:9]
	s_load_dword s3, s[0:1], 0x50
	s_load_dword s4, s[0:1], 0x5c
	v_lshlrev_b32_e32 v10, 3, v1
	v_mov_b32_e32 v11, v7
	v_lshl_add_u64 v[20:21], v[4:5], 0, v[10:11]
	global_load_dwordx2 v[24:25], v[20:21], off
	s_add_u32 s0, s0, 0x50
	s_addc_u32 s1, s1, 0
	s_waitcnt lgkmcnt(0)
	s_lshr_b32 s4, s4, 16
	s_cmp_lt_u32 s2, s3
	s_cselect_b32 s5, 12, 18
	s_add_u32 s0, s0, s5
	s_addc_u32 s1, s1, 0
	global_load_ushort v6, v7, s[0:1]
	v_and_b32_e32 v2, 0x3ff, v0
	v_mul_u32_u24_e32 v9, 20, v2
	ds_write2_b32 v9, v7, v7 offset0:16 offset1:17
	ds_write2_b32 v9, v7, v7 offset0:18 offset1:19
	ds_write_b32 v9, v7 offset:80
	global_load_dwordx2 v[4:5], v[20:21], off offset:512
	global_load_dwordx2 v[18:19], v[20:21], off offset:1024
	;; [unrolled: 1-line block ×5, first 2 shown]
	v_bfe_u32 v1, v0, 10, 10
	v_bfe_u32 v0, v0, 20, 10
	v_bfrev_b32_e32 v23, -2
	v_mad_u32_u24 v11, v0, s4, v1
	s_brev_b32 s13, 1
	s_mov_b32 s12, s35
	s_lshl_b32 s4, -1, s49
	v_mov_b32_e32 v28, v7
	v_mov_b32_e32 v30, v7
	s_not_b32 s14, s4
	v_mov_b32_e32 v32, v7
	v_mov_b32_e32 v34, v7
	s_movk_i32 s15, 0x44
	s_waitcnt lgkmcnt(0)
	s_barrier
	s_waitcnt vmcnt(6)
	; wave barrier
	v_cmp_gt_i64_e32 vcc, 0, v[24:25]
	v_ashrrev_i32_e32 v1, 31, v25
	s_nop 0
	v_cndmask_b32_e64 v0, v23, 0, vcc
	v_not_b32_e32 v20, v1
	v_xor_b32_e32 v1, v0, v25
	v_xor_b32_e32 v0, v20, v24
	v_cmp_ne_u64_e32 vcc, s[12:13], v[0:1]
	s_waitcnt vmcnt(5)
	v_mad_u64_u32 v[24:25], s[0:1], v11, v6, v[2:3]
	v_cndmask_b32_e32 v21, v23, v1, vcc
	v_cndmask_b32_e32 v20, -1, v0, vcc
	v_lshrrev_b64 v[20:21], s48, v[20:21]
	v_bitop3_b32 v22, v20, s4, v20 bitop3:0x30
	v_and_b32_e32 v6, 1, v22
	v_lshlrev_b32_e32 v29, 30, v22
	v_lshlrev_b32_e32 v31, 29, v22
	v_lshl_add_u64 v[20:21], v[6:7], 0, -1
	v_cmp_ne_u32_e32 vcc, 0, v6
	v_not_b32_e32 v6, v29
	v_lshrrev_b32_e32 v27, 6, v24
	v_cmp_gt_i64_e64 s[0:1], 0, v[28:29]
	v_not_b32_e32 v24, v31
	v_xor_b32_e32 v21, vcc_hi, v21
	v_ashrrev_i32_e32 v6, 31, v6
	v_lshlrev_b32_e32 v33, 28, v22
	v_cmp_gt_i64_e64 s[4:5], 0, v[30:31]
	v_xor_b32_e32 v20, vcc_lo, v20
	v_ashrrev_i32_e32 v24, 31, v24
	v_and_b32_e32 v21, exec_hi, v21
	v_xor_b32_e32 v26, s1, v6
	v_lshlrev_b32_e32 v35, 27, v22
	v_not_b32_e32 v25, v33
	v_and_b32_e32 v20, exec_lo, v20
	v_xor_b32_e32 v6, s0, v6
	v_xor_b32_e32 v28, s5, v24
	v_and_b32_e32 v21, v21, v26
	v_cmp_gt_i64_e64 s[6:7], 0, v[32:33]
	v_ashrrev_i32_e32 v25, 31, v25
	v_xor_b32_e32 v24, s4, v24
	v_and_b32_e32 v6, v20, v6
	v_and_b32_e32 v20, v21, v28
	v_not_b32_e32 v21, v35
	v_cmp_gt_i64_e64 s[8:9], 0, v[34:35]
	v_xor_b32_e32 v29, s7, v25
	v_xor_b32_e32 v25, s6, v25
	v_and_b32_e32 v6, v6, v24
	v_ashrrev_i32_e32 v21, 31, v21
	v_and_b32_e32 v20, v20, v29
	v_and_b32_e32 v6, v6, v25
	v_xor_b32_e32 v24, s9, v21
	v_xor_b32_e32 v21, s8, v21
	v_and_b32_e32 v24, v20, v24
	v_and_b32_e32 v6, v6, v21
	v_lshlrev_b32_e32 v21, 26, v22
	v_mov_b32_e32 v20, v7
	v_cmp_gt_i64_e32 vcc, 0, v[20:21]
	v_not_b32_e32 v20, v21
	v_ashrrev_i32_e32 v20, 31, v20
	v_xor_b32_e32 v21, vcc_hi, v20
	v_xor_b32_e32 v20, vcc_lo, v20
	v_and_b32_e32 v24, v24, v21
	v_and_b32_e32 v6, v6, v20
	v_lshlrev_b32_e32 v21, 25, v22
	v_mov_b32_e32 v20, v7
	v_cmp_gt_i64_e32 vcc, 0, v[20:21]
	v_not_b32_e32 v20, v21
	v_ashrrev_i32_e32 v20, 31, v20
	v_xor_b32_e32 v21, vcc_hi, v20
	v_xor_b32_e32 v20, vcc_lo, v20
	;; [unrolled: 9-line block ×3, first 2 shown]
	v_and_b32_e32 v20, v6, v20
	v_and_b32_e32 v21, v24, v21
	v_mbcnt_lo_u32_b32 v6, v20, 0
	v_mul_lo_u32 v11, v22, s15
	v_mbcnt_hi_u32_b32 v22, v21, v6
	v_cmp_eq_u32_e32 vcc, 0, v22
	v_cmp_ne_u64_e64 s[0:1], 0, v[20:21]
	v_lshl_add_u32 v11, v27, 2, v11
	s_and_b64 s[4:5], s[0:1], vcc
	s_and_saveexec_b64 s[0:1], s[4:5]
; %bb.98:
	v_bcnt_u32_b32 v6, v20, 0
	v_bcnt_u32_b32 v6, v21, v6
	ds_write_b32 v11, v6 offset:64
; %bb.99:
	s_or_b64 exec, exec, s[0:1]
	s_waitcnt vmcnt(4)
	v_cmp_gt_i64_e32 vcc, 0, v[4:5]
	v_ashrrev_i32_e32 v20, 31, v5
	v_not_b32_e32 v20, v20
	v_cndmask_b32_e64 v6, v23, 0, vcc
	v_xor_b32_e32 v5, v6, v5
	v_xor_b32_e32 v4, v20, v4
	v_cmp_ne_u64_e32 vcc, s[12:13], v[4:5]
	; wave barrier
	s_nop 1
	v_cndmask_b32_e32 v21, v23, v5, vcc
	v_cndmask_b32_e32 v20, -1, v4, vcc
	v_lshrrev_b64 v[20:21], s48, v[20:21]
	v_and_b32_e32 v25, s14, v20
	v_mul_lo_u32 v6, v25, s15
	v_lshl_add_u32 v24, v27, 2, v6
	v_and_b32_e32 v6, 1, v25
	v_lshl_add_u64 v[20:21], v[6:7], 0, -1
	v_cmp_ne_u32_e32 vcc, 0, v6
	ds_read_b32 v23, v24 offset:64
	s_nop 0
	v_xor_b32_e32 v20, vcc_lo, v20
	v_xor_b32_e32 v6, vcc_hi, v21
	v_and_b32_e32 v26, exec_lo, v20
	v_lshlrev_b32_e32 v21, 30, v25
	v_mov_b32_e32 v20, v7
	v_cmp_gt_i64_e32 vcc, 0, v[20:21]
	v_not_b32_e32 v20, v21
	v_ashrrev_i32_e32 v20, 31, v20
	v_and_b32_e32 v6, exec_hi, v6
	v_xor_b32_e32 v21, vcc_hi, v20
	v_xor_b32_e32 v20, vcc_lo, v20
	v_and_b32_e32 v6, v6, v21
	v_and_b32_e32 v26, v26, v20
	v_lshlrev_b32_e32 v21, 29, v25
	v_mov_b32_e32 v20, v7
	v_cmp_gt_i64_e32 vcc, 0, v[20:21]
	v_not_b32_e32 v20, v21
	v_ashrrev_i32_e32 v20, 31, v20
	v_xor_b32_e32 v21, vcc_hi, v20
	v_xor_b32_e32 v20, vcc_lo, v20
	v_and_b32_e32 v6, v6, v21
	v_and_b32_e32 v26, v26, v20
	v_lshlrev_b32_e32 v21, 28, v25
	v_mov_b32_e32 v20, v7
	v_cmp_gt_i64_e32 vcc, 0, v[20:21]
	v_not_b32_e32 v20, v21
	v_ashrrev_i32_e32 v20, 31, v20
	;; [unrolled: 9-line block ×5, first 2 shown]
	v_xor_b32_e32 v21, vcc_hi, v20
	v_xor_b32_e32 v20, vcc_lo, v20
	v_and_b32_e32 v6, v6, v21
	v_lshlrev_b32_e32 v21, 24, v25
	v_and_b32_e32 v26, v26, v20
	v_mov_b32_e32 v20, v7
	v_not_b32_e32 v7, v21
	v_cmp_gt_i64_e32 vcc, 0, v[20:21]
	v_ashrrev_i32_e32 v7, 31, v7
	; wave barrier
	s_nop 0
	v_xor_b32_e32 v20, vcc_hi, v7
	v_xor_b32_e32 v21, vcc_lo, v7
	v_and_b32_e32 v7, v6, v20
	v_and_b32_e32 v6, v26, v21
	v_mbcnt_lo_u32_b32 v20, v6, 0
	v_mbcnt_hi_u32_b32 v25, v7, v20
	v_cmp_eq_u32_e32 vcc, 0, v25
	v_cmp_ne_u64_e64 s[0:1], 0, v[6:7]
	s_and_b64 s[4:5], s[0:1], vcc
	s_and_saveexec_b64 s[0:1], s[4:5]
	s_cbranch_execz .LBB150_101
; %bb.100:
	v_bcnt_u32_b32 v6, v6, 0
	v_bcnt_u32_b32 v6, v7, v6
	s_waitcnt lgkmcnt(0)
	v_add_u32_e32 v6, v23, v6
	ds_write_b32 v24, v6 offset:64
.LBB150_101:
	s_or_b64 exec, exec, s[0:1]
	v_bfrev_b32_e32 v30, -2
	s_waitcnt vmcnt(3)
	v_cmp_gt_i64_e32 vcc, 0, v[18:19]
	v_ashrrev_i32_e32 v7, 31, v19
	s_mov_b32 s4, 0
	v_cndmask_b32_e64 v6, v30, 0, vcc
	v_not_b32_e32 v20, v7
	s_brev_b32 s5, 1
	v_xor_b32_e32 v7, v6, v19
	v_xor_b32_e32 v6, v20, v18
	v_cmp_ne_u64_e32 vcc, s[4:5], v[6:7]
	s_movk_i32 s6, 0x44
	s_nop 0
	v_cndmask_b32_e32 v19, v30, v7, vcc
	v_cndmask_b32_e32 v18, -1, v6, vcc
	v_lshrrev_b64 v[18:19], s48, v[18:19]
	v_and_b32_e32 v29, s14, v18
	v_mul_lo_u32 v18, v29, s6
	v_lshl_add_u32 v28, v27, 2, v18
	v_and_b32_e32 v18, 1, v29
	v_mov_b32_e32 v19, 0
	v_lshl_add_u64 v[20:21], v[18:19], 0, -1
	v_cmp_ne_u32_e32 vcc, 0, v18
	; wave barrier
	ds_read_b32 v26, v28 offset:64
	s_nop 0
	v_xor_b32_e32 v20, vcc_lo, v20
	v_xor_b32_e32 v18, vcc_hi, v21
	v_and_b32_e32 v31, exec_lo, v20
	v_lshlrev_b32_e32 v21, 30, v29
	v_mov_b32_e32 v20, v19
	v_cmp_gt_i64_e32 vcc, 0, v[20:21]
	v_not_b32_e32 v20, v21
	v_ashrrev_i32_e32 v20, 31, v20
	v_and_b32_e32 v18, exec_hi, v18
	v_xor_b32_e32 v21, vcc_hi, v20
	v_xor_b32_e32 v20, vcc_lo, v20
	v_and_b32_e32 v18, v18, v21
	v_and_b32_e32 v31, v31, v20
	v_lshlrev_b32_e32 v21, 29, v29
	v_mov_b32_e32 v20, v19
	v_cmp_gt_i64_e32 vcc, 0, v[20:21]
	v_not_b32_e32 v20, v21
	v_ashrrev_i32_e32 v20, 31, v20
	v_xor_b32_e32 v21, vcc_hi, v20
	v_xor_b32_e32 v20, vcc_lo, v20
	v_and_b32_e32 v18, v18, v21
	v_and_b32_e32 v31, v31, v20
	v_lshlrev_b32_e32 v21, 28, v29
	v_mov_b32_e32 v20, v19
	v_cmp_gt_i64_e32 vcc, 0, v[20:21]
	v_not_b32_e32 v20, v21
	v_ashrrev_i32_e32 v20, 31, v20
	v_xor_b32_e32 v21, vcc_hi, v20
	v_xor_b32_e32 v20, vcc_lo, v20
	v_and_b32_e32 v18, v18, v21
	v_and_b32_e32 v31, v31, v20
	v_lshlrev_b32_e32 v21, 27, v29
	v_mov_b32_e32 v20, v19
	v_cmp_gt_i64_e32 vcc, 0, v[20:21]
	v_not_b32_e32 v20, v21
	v_ashrrev_i32_e32 v20, 31, v20
	v_xor_b32_e32 v21, vcc_hi, v20
	v_xor_b32_e32 v20, vcc_lo, v20
	v_and_b32_e32 v18, v18, v21
	v_and_b32_e32 v31, v31, v20
	v_lshlrev_b32_e32 v21, 26, v29
	v_mov_b32_e32 v20, v19
	v_cmp_gt_i64_e32 vcc, 0, v[20:21]
	v_not_b32_e32 v20, v21
	v_ashrrev_i32_e32 v20, 31, v20
	v_xor_b32_e32 v21, vcc_hi, v20
	v_xor_b32_e32 v20, vcc_lo, v20
	v_and_b32_e32 v18, v18, v21
	v_and_b32_e32 v31, v31, v20
	v_lshlrev_b32_e32 v21, 25, v29
	v_mov_b32_e32 v20, v19
	v_cmp_gt_i64_e32 vcc, 0, v[20:21]
	v_not_b32_e32 v20, v21
	v_ashrrev_i32_e32 v20, 31, v20
	v_xor_b32_e32 v21, vcc_hi, v20
	v_xor_b32_e32 v20, vcc_lo, v20
	v_and_b32_e32 v18, v18, v21
	v_and_b32_e32 v31, v31, v20
	v_lshlrev_b32_e32 v21, 24, v29
	v_mov_b32_e32 v20, v19
	v_cmp_gt_i64_e32 vcc, 0, v[20:21]
	v_not_b32_e32 v20, v21
	v_ashrrev_i32_e32 v20, 31, v20
	v_xor_b32_e32 v21, vcc_hi, v20
	v_xor_b32_e32 v20, vcc_lo, v20
	v_and_b32_e32 v20, v31, v20
	v_and_b32_e32 v21, v18, v21
	v_mbcnt_lo_u32_b32 v18, v20, 0
	v_mbcnt_hi_u32_b32 v29, v21, v18
	v_cmp_eq_u32_e32 vcc, 0, v29
	v_cmp_ne_u64_e64 s[0:1], 0, v[20:21]
	s_and_b64 s[8:9], s[0:1], vcc
	; wave barrier
	s_and_saveexec_b64 s[0:1], s[8:9]
	s_cbranch_execz .LBB150_103
; %bb.102:
	v_bcnt_u32_b32 v18, v20, 0
	v_bcnt_u32_b32 v18, v21, v18
	s_waitcnt lgkmcnt(0)
	v_add_u32_e32 v18, v26, v18
	ds_write_b32 v28, v18 offset:64
.LBB150_103:
	s_or_b64 exec, exec, s[0:1]
	s_waitcnt vmcnt(2)
	v_cmp_gt_i64_e32 vcc, 0, v[14:15]
	v_ashrrev_i32_e32 v20, 31, v15
	v_not_b32_e32 v20, v20
	v_cndmask_b32_e64 v18, v30, 0, vcc
	v_xor_b32_e32 v15, v18, v15
	v_xor_b32_e32 v14, v20, v14
	v_cmp_ne_u64_e32 vcc, s[4:5], v[14:15]
	; wave barrier
	s_nop 1
	v_cndmask_b32_e32 v21, v30, v15, vcc
	v_cndmask_b32_e32 v20, -1, v14, vcc
	v_lshrrev_b64 v[20:21], s48, v[20:21]
	v_and_b32_e32 v32, s14, v20
	v_mul_lo_u32 v18, v32, s6
	v_lshl_add_u32 v31, v27, 2, v18
	v_and_b32_e32 v18, 1, v32
	v_lshl_add_u64 v[20:21], v[18:19], 0, -1
	v_cmp_ne_u32_e32 vcc, 0, v18
	ds_read_b32 v30, v31 offset:64
	s_nop 0
	v_xor_b32_e32 v20, vcc_lo, v20
	v_xor_b32_e32 v18, vcc_hi, v21
	v_and_b32_e32 v33, exec_lo, v20
	v_lshlrev_b32_e32 v21, 30, v32
	v_mov_b32_e32 v20, v19
	v_cmp_gt_i64_e32 vcc, 0, v[20:21]
	v_not_b32_e32 v20, v21
	v_ashrrev_i32_e32 v20, 31, v20
	v_and_b32_e32 v18, exec_hi, v18
	v_xor_b32_e32 v21, vcc_hi, v20
	v_xor_b32_e32 v20, vcc_lo, v20
	v_and_b32_e32 v18, v18, v21
	v_and_b32_e32 v33, v33, v20
	v_lshlrev_b32_e32 v21, 29, v32
	v_mov_b32_e32 v20, v19
	v_cmp_gt_i64_e32 vcc, 0, v[20:21]
	v_not_b32_e32 v20, v21
	v_ashrrev_i32_e32 v20, 31, v20
	v_xor_b32_e32 v21, vcc_hi, v20
	v_xor_b32_e32 v20, vcc_lo, v20
	v_and_b32_e32 v18, v18, v21
	v_and_b32_e32 v33, v33, v20
	v_lshlrev_b32_e32 v21, 28, v32
	v_mov_b32_e32 v20, v19
	v_cmp_gt_i64_e32 vcc, 0, v[20:21]
	v_not_b32_e32 v20, v21
	v_ashrrev_i32_e32 v20, 31, v20
	;; [unrolled: 9-line block ×5, first 2 shown]
	v_xor_b32_e32 v21, vcc_hi, v20
	v_xor_b32_e32 v20, vcc_lo, v20
	v_and_b32_e32 v18, v18, v21
	v_lshlrev_b32_e32 v21, 24, v32
	v_and_b32_e32 v33, v33, v20
	v_mov_b32_e32 v20, v19
	v_not_b32_e32 v19, v21
	v_cmp_gt_i64_e32 vcc, 0, v[20:21]
	v_ashrrev_i32_e32 v19, 31, v19
	; wave barrier
	s_nop 0
	v_xor_b32_e32 v20, vcc_hi, v19
	v_xor_b32_e32 v21, vcc_lo, v19
	v_and_b32_e32 v19, v18, v20
	v_and_b32_e32 v18, v33, v21
	v_mbcnt_lo_u32_b32 v20, v18, 0
	v_mbcnt_hi_u32_b32 v32, v19, v20
	v_cmp_eq_u32_e32 vcc, 0, v32
	v_cmp_ne_u64_e64 s[0:1], 0, v[18:19]
	s_and_b64 s[4:5], s[0:1], vcc
	s_and_saveexec_b64 s[0:1], s[4:5]
	s_cbranch_execz .LBB150_105
; %bb.104:
	v_bcnt_u32_b32 v18, v18, 0
	v_bcnt_u32_b32 v18, v19, v18
	s_waitcnt lgkmcnt(0)
	v_add_u32_e32 v18, v30, v18
	ds_write_b32 v31, v18 offset:64
.LBB150_105:
	s_or_b64 exec, exec, s[0:1]
	v_bfrev_b32_e32 v36, -2
	s_waitcnt vmcnt(1)
	v_cmp_gt_i64_e32 vcc, 0, v[16:17]
	v_ashrrev_i32_e32 v19, 31, v17
	s_mov_b32 s4, 0
	v_cndmask_b32_e64 v18, v36, 0, vcc
	v_not_b32_e32 v20, v19
	s_brev_b32 s5, 1
	v_xor_b32_e32 v19, v18, v17
	v_xor_b32_e32 v18, v20, v16
	v_cmp_ne_u64_e32 vcc, s[4:5], v[18:19]
	; wave barrier
	s_nop 1
	v_cndmask_b32_e32 v17, v36, v19, vcc
	v_cndmask_b32_e32 v16, -1, v18, vcc
	v_lshrrev_b64 v[16:17], s48, v[16:17]
	v_and_b32_e32 v35, s14, v16
	v_mul_lo_u32 v16, v35, s6
	v_lshl_add_u32 v34, v27, 2, v16
	v_and_b32_e32 v16, 1, v35
	v_mov_b32_e32 v17, 0
	v_lshl_add_u64 v[20:21], v[16:17], 0, -1
	v_cmp_ne_u32_e32 vcc, 0, v16
	ds_read_b32 v33, v34 offset:64
	s_nop 0
	v_xor_b32_e32 v20, vcc_lo, v20
	v_xor_b32_e32 v16, vcc_hi, v21
	v_and_b32_e32 v37, exec_lo, v20
	v_lshlrev_b32_e32 v21, 30, v35
	v_mov_b32_e32 v20, v17
	v_cmp_gt_i64_e32 vcc, 0, v[20:21]
	v_not_b32_e32 v20, v21
	v_ashrrev_i32_e32 v20, 31, v20
	v_and_b32_e32 v16, exec_hi, v16
	v_xor_b32_e32 v21, vcc_hi, v20
	v_xor_b32_e32 v20, vcc_lo, v20
	v_and_b32_e32 v16, v16, v21
	v_and_b32_e32 v37, v37, v20
	v_lshlrev_b32_e32 v21, 29, v35
	v_mov_b32_e32 v20, v17
	v_cmp_gt_i64_e32 vcc, 0, v[20:21]
	v_not_b32_e32 v20, v21
	v_ashrrev_i32_e32 v20, 31, v20
	v_xor_b32_e32 v21, vcc_hi, v20
	v_xor_b32_e32 v20, vcc_lo, v20
	v_and_b32_e32 v16, v16, v21
	v_and_b32_e32 v37, v37, v20
	v_lshlrev_b32_e32 v21, 28, v35
	v_mov_b32_e32 v20, v17
	v_cmp_gt_i64_e32 vcc, 0, v[20:21]
	v_not_b32_e32 v20, v21
	v_ashrrev_i32_e32 v20, 31, v20
	;; [unrolled: 9-line block ×6, first 2 shown]
	v_xor_b32_e32 v21, vcc_hi, v20
	v_xor_b32_e32 v20, vcc_lo, v20
	v_and_b32_e32 v20, v37, v20
	v_and_b32_e32 v21, v16, v21
	v_mbcnt_lo_u32_b32 v16, v20, 0
	v_mbcnt_hi_u32_b32 v35, v21, v16
	v_cmp_eq_u32_e32 vcc, 0, v35
	v_cmp_ne_u64_e64 s[0:1], 0, v[20:21]
	s_and_b64 s[8:9], s[0:1], vcc
	; wave barrier
	s_and_saveexec_b64 s[0:1], s[8:9]
	s_cbranch_execz .LBB150_107
; %bb.106:
	v_bcnt_u32_b32 v16, v20, 0
	v_bcnt_u32_b32 v16, v21, v16
	s_waitcnt lgkmcnt(0)
	v_add_u32_e32 v16, v33, v16
	ds_write_b32 v34, v16 offset:64
.LBB150_107:
	s_or_b64 exec, exec, s[0:1]
	s_waitcnt vmcnt(0)
	v_cmp_gt_i64_e32 vcc, 0, v[12:13]
	v_ashrrev_i32_e32 v20, 31, v13
	v_not_b32_e32 v20, v20
	v_cndmask_b32_e64 v16, v36, 0, vcc
	v_xor_b32_e32 v21, v16, v13
	v_xor_b32_e32 v20, v20, v12
	v_cmp_ne_u64_e32 vcc, s[4:5], v[20:21]
	; wave barrier
	s_nop 1
	v_cndmask_b32_e32 v13, v36, v21, vcc
	v_cndmask_b32_e32 v12, -1, v20, vcc
	v_lshrrev_b64 v[12:13], s48, v[12:13]
	v_and_b32_e32 v37, s14, v12
	v_mul_lo_u32 v12, v37, s6
	v_and_b32_e32 v16, 1, v37
	v_lshl_add_u32 v36, v27, 2, v12
	v_lshl_add_u64 v[12:13], v[16:17], 0, -1
	v_cmp_ne_u32_e32 vcc, 0, v16
	ds_read_b32 v27, v36 offset:64
	s_nop 0
	v_xor_b32_e32 v13, vcc_hi, v13
	v_xor_b32_e32 v12, vcc_lo, v12
	v_and_b32_e32 v16, exec_hi, v13
	v_and_b32_e32 v38, exec_lo, v12
	v_lshlrev_b32_e32 v13, 30, v37
	v_mov_b32_e32 v12, v17
	v_cmp_gt_i64_e32 vcc, 0, v[12:13]
	v_not_b32_e32 v12, v13
	v_ashrrev_i32_e32 v12, 31, v12
	v_xor_b32_e32 v13, vcc_hi, v12
	v_xor_b32_e32 v12, vcc_lo, v12
	v_and_b32_e32 v16, v16, v13
	v_and_b32_e32 v38, v38, v12
	v_lshlrev_b32_e32 v13, 29, v37
	v_mov_b32_e32 v12, v17
	v_cmp_gt_i64_e32 vcc, 0, v[12:13]
	v_not_b32_e32 v12, v13
	v_ashrrev_i32_e32 v12, 31, v12
	v_xor_b32_e32 v13, vcc_hi, v12
	v_xor_b32_e32 v12, vcc_lo, v12
	v_and_b32_e32 v16, v16, v13
	v_and_b32_e32 v38, v38, v12
	;; [unrolled: 9-line block ×7, first 2 shown]
	v_mbcnt_lo_u32_b32 v16, v12, 0
	v_mbcnt_hi_u32_b32 v37, v13, v16
	v_cmp_eq_u32_e32 vcc, 0, v37
	v_cmp_ne_u64_e64 s[0:1], 0, v[12:13]
	s_and_b64 s[4:5], s[0:1], vcc
	; wave barrier
	s_and_saveexec_b64 s[0:1], s[4:5]
	s_cbranch_execz .LBB150_109
; %bb.108:
	v_bcnt_u32_b32 v12, v12, 0
	v_bcnt_u32_b32 v12, v13, v12
	s_waitcnt lgkmcnt(0)
	v_add_u32_e32 v12, v27, v12
	ds_write_b32 v36, v12 offset:64
.LBB150_109:
	s_or_b64 exec, exec, s[0:1]
	; wave barrier
	s_waitcnt lgkmcnt(0)
	s_barrier
	ds_read2_b32 v[16:17], v9 offset0:16 offset1:17
	ds_read2_b32 v[12:13], v9 offset0:18 offset1:19
	ds_read_b32 v38, v9 offset:80
	v_cmp_lt_u32_e64 s[8:9], 31, v3
	s_waitcnt lgkmcnt(1)
	v_add3_u32 v39, v17, v16, v12
	s_waitcnt lgkmcnt(0)
	v_add3_u32 v38, v39, v13, v38
	v_and_b32_e32 v39, 15, v3
	v_cmp_eq_u32_e32 vcc, 0, v39
	v_mov_b32_dpp v40, v38 row_shr:1 row_mask:0xf bank_mask:0xf
	v_cmp_lt_u32_e64 s[0:1], 1, v39
	v_cndmask_b32_e64 v40, v40, 0, vcc
	v_add_u32_e32 v38, v40, v38
	v_cmp_lt_u32_e64 s[6:7], 3, v39
	v_cmp_lt_u32_e64 s[4:5], 7, v39
	v_mov_b32_dpp v40, v38 row_shr:2 row_mask:0xf bank_mask:0xf
	v_cndmask_b32_e64 v40, 0, v40, s[0:1]
	v_add_u32_e32 v38, v38, v40
	s_nop 1
	v_mov_b32_dpp v40, v38 row_shr:4 row_mask:0xf bank_mask:0xf
	v_cndmask_b32_e64 v40, 0, v40, s[6:7]
	v_add_u32_e32 v38, v38, v40
	s_nop 1
	v_mov_b32_dpp v40, v38 row_shr:8 row_mask:0xf bank_mask:0xf
	v_cndmask_b32_e64 v39, 0, v40, s[4:5]
	v_add_u32_e32 v38, v38, v39
	v_bfe_i32 v40, v3, 4, 1
	s_nop 0
	v_mov_b32_dpp v39, v38 row_bcast:15 row_mask:0xf bank_mask:0xf
	v_and_b32_e32 v39, v40, v39
	v_add_u32_e32 v38, v38, v39
	v_and_b32_e32 v40, 63, v2
	s_nop 0
	v_mov_b32_dpp v39, v38 row_bcast:31 row_mask:0xf bank_mask:0xf
	v_cndmask_b32_e64 v39, 0, v39, s[8:9]
	v_add_u32_e32 v38, v38, v39
	v_lshrrev_b32_e32 v39, 6, v2
	v_cmp_eq_u32_e64 s[8:9], 63, v40
	s_and_saveexec_b64 s[12:13], s[8:9]
; %bb.110:
	v_lshlrev_b32_e32 v40, 2, v39
	ds_write_b32 v40, v38
; %bb.111:
	s_or_b64 exec, exec, s[12:13]
	v_cmp_gt_u32_e64 s[8:9], 16, v2
	s_waitcnt lgkmcnt(0)
	s_barrier
	s_and_saveexec_b64 s[12:13], s[8:9]
	s_cbranch_execz .LBB150_113
; %bb.112:
	v_lshlrev_b32_e32 v40, 2, v2
	ds_read_b32 v41, v40
	s_waitcnt lgkmcnt(0)
	s_nop 0
	v_mov_b32_dpp v42, v41 row_shr:1 row_mask:0xf bank_mask:0xf
	v_cndmask_b32_e64 v42, v42, 0, vcc
	v_add_u32_e32 v41, v42, v41
	s_nop 1
	v_mov_b32_dpp v42, v41 row_shr:2 row_mask:0xf bank_mask:0xf
	v_cndmask_b32_e64 v42, 0, v42, s[0:1]
	v_add_u32_e32 v41, v41, v42
	s_nop 1
	v_mov_b32_dpp v42, v41 row_shr:4 row_mask:0xf bank_mask:0xf
	v_cndmask_b32_e64 v42, 0, v42, s[6:7]
	;; [unrolled: 4-line block ×3, first 2 shown]
	v_add_u32_e32 v41, v41, v42
	ds_write_b32 v40, v41
.LBB150_113:
	s_or_b64 exec, exec, s[12:13]
	v_cmp_lt_u32_e32 vcc, 63, v2
	v_mov_b32_e32 v40, 0
	s_waitcnt lgkmcnt(0)
	s_barrier
	s_and_saveexec_b64 s[0:1], vcc
; %bb.114:
	v_lshl_add_u32 v39, v39, 2, -4
	ds_read_b32 v40, v39
; %bb.115:
	s_or_b64 exec, exec, s[0:1]
	v_add_u32_e32 v39, -1, v3
	v_and_b32_e32 v41, 64, v3
	v_cmp_lt_i32_e32 vcc, v39, v41
	s_waitcnt lgkmcnt(0)
	v_add_u32_e32 v38, v40, v38
	s_movk_i32 s0, 0xff
	v_cndmask_b32_e32 v39, v39, v3, vcc
	v_lshlrev_b32_e32 v39, 2, v39
	ds_bpermute_b32 v38, v39, v38
	v_cmp_eq_u32_e32 vcc, 0, v3
	s_movk_i32 s4, 0x100
	s_waitcnt lgkmcnt(0)
	v_cndmask_b32_e32 v3, v38, v40, vcc
	v_cmp_ne_u32_e32 vcc, 0, v2
	s_nop 1
	v_cndmask_b32_e32 v3, 0, v3, vcc
	v_add_u32_e32 v16, v3, v16
	v_add_u32_e32 v17, v16, v17
	;; [unrolled: 1-line block ×4, first 2 shown]
	ds_write2_b32 v9, v3, v16 offset0:16 offset1:17
	ds_write2_b32 v9, v17, v12 offset0:18 offset1:19
	ds_write_b32 v9, v13 offset:80
	s_waitcnt lgkmcnt(0)
	s_barrier
	ds_read_b32 v17, v11 offset:64
	ds_read_b32 v38, v24 offset:64
	ds_read_b32 v24, v28 offset:64
	ds_read_b32 v11, v31 offset:64
	ds_read_b32 v9, v34 offset:64
	ds_read_b32 v3, v36 offset:64
	v_cmp_lt_u32_e32 vcc, s0, v2
	v_cmp_gt_u32_e64 s[0:1], s4, v2
	v_mov_b64_e32 v[12:13], 0
                                        ; implicit-def: $vgpr16
	s_and_saveexec_b64 s[6:7], s[0:1]
	s_cbranch_execz .LBB150_119
; %bb.116:
	v_mul_u32_u24_e32 v12, 0x44, v2
	ds_read_b32 v12, v12 offset:64
	v_add_u32_e32 v16, 1, v2
	v_cmp_ne_u32_e64 s[4:5], s4, v16
	v_mov_b32_e32 v13, 0x1800
	s_and_saveexec_b64 s[8:9], s[4:5]
; %bb.117:
	v_mul_u32_u24_e32 v13, 0x44, v16
	ds_read_b32 v13, v13 offset:64
; %bb.118:
	s_or_b64 exec, exec, s[8:9]
	s_waitcnt lgkmcnt(0)
	v_sub_u32_e32 v16, v13, v12
	v_mov_b32_e32 v13, 0
.LBB150_119:
	s_or_b64 exec, exec, s[6:7]
	v_lshlrev_b32_e32 v22, 3, v22
	s_waitcnt lgkmcnt(5)
	v_lshl_add_u32 v17, v17, 3, v22
	s_waitcnt lgkmcnt(0)
	s_barrier
	ds_write_b64 v17, v[0:1] offset:2048
	v_lshlrev_b32_e32 v0, 3, v25
	v_lshlrev_b32_e32 v1, 3, v23
	;; [unrolled: 1-line block ×3, first 2 shown]
	v_add3_u32 v22, v0, v1, v22
	ds_write_b64 v22, v[4:5] offset:2048
	v_lshlrev_b32_e32 v0, 3, v29
	v_lshlrev_b32_e32 v1, 3, v26
	v_lshlrev_b32_e32 v4, 3, v24
	v_add3_u32 v23, v0, v1, v4
	v_lshlrev_b32_e32 v0, 3, v32
	v_lshlrev_b32_e32 v1, 3, v30
	v_lshlrev_b32_e32 v4, 3, v11
	v_add3_u32 v24, v0, v1, v4
	v_lshlrev_b32_e32 v0, 3, v35
	v_lshlrev_b32_e32 v1, 3, v33
	v_lshlrev_b32_e32 v4, 3, v9
	v_add3_u32 v25, v0, v1, v4
	v_lshlrev_b32_e32 v0, 3, v37
	v_lshlrev_b32_e32 v1, 3, v27
	;; [unrolled: 1-line block ×3, first 2 shown]
	ds_write_b64 v23, v[6:7] offset:2048
	ds_write_b64 v24, v[14:15] offset:2048
	;; [unrolled: 1-line block ×3, first 2 shown]
	v_add3_u32 v18, v0, v1, v3
	v_mov_b32_e32 v1, 0
	v_lshlrev_b32_e32 v14, 3, v2
	ds_write_b64 v18, v[20:21] offset:2048
	s_waitcnt lgkmcnt(0)
	s_barrier
	s_and_saveexec_b64 s[4:5], s[0:1]
	s_cbranch_execz .LBB150_129
; %bb.120:
	v_lshl_add_u32 v0, s2, 8, v2
	v_lshl_add_u64 v[4:5], v[0:1], 2, s[30:31]
	v_or_b32_e32 v0, 2.0, v16
	s_mov_b64 s[6:7], 0
	s_brev_b32 s15, -4
	s_mov_b32 s16, s2
	v_mov_b32_e32 v3, 0
	global_store_dword v[4:5], v0, off sc1
                                        ; implicit-def: $sgpr0_sgpr1
	s_branch .LBB150_123
.LBB150_121:                            ;   in Loop: Header=BB150_123 Depth=1
	s_or_b64 exec, exec, s[12:13]
.LBB150_122:                            ;   in Loop: Header=BB150_123 Depth=1
	s_or_b64 exec, exec, s[8:9]
	v_and_b32_e32 v6, 0x3fffffff, v0
	v_add_u32_e32 v3, v6, v3
	v_cmp_gt_i32_e64 s[0:1], -2.0, v0
	s_and_b64 s[8:9], exec, s[0:1]
	s_or_b64 s[6:7], s[8:9], s[6:7]
	s_andn2_b64 exec, exec, s[6:7]
	s_cbranch_execz .LBB150_128
.LBB150_123:                            ; =>This Loop Header: Depth=1
                                        ;     Child Loop BB150_126 Depth 2
	s_or_b64 s[0:1], s[0:1], exec
	s_cmp_eq_u32 s16, 0
	s_cbranch_scc1 .LBB150_127
; %bb.124:                              ;   in Loop: Header=BB150_123 Depth=1
	s_add_i32 s16, s16, -1
	v_lshl_or_b32 v0, s16, 8, v2
	v_lshl_add_u64 v[6:7], v[0:1], 2, s[30:31]
	global_load_dword v0, v[6:7], off sc1
	s_waitcnt vmcnt(0)
	v_cmp_gt_u32_e64 s[0:1], 2.0, v0
	s_and_saveexec_b64 s[8:9], s[0:1]
	s_cbranch_execz .LBB150_122
; %bb.125:                              ;   in Loop: Header=BB150_123 Depth=1
	s_mov_b64 s[12:13], 0
.LBB150_126:                            ;   Parent Loop BB150_123 Depth=1
                                        ; =>  This Inner Loop Header: Depth=2
	global_load_dword v0, v[6:7], off sc1
	s_waitcnt vmcnt(0)
	v_cmp_lt_u32_e64 s[0:1], s15, v0
	s_or_b64 s[12:13], s[0:1], s[12:13]
	s_andn2_b64 exec, exec, s[12:13]
	s_cbranch_execnz .LBB150_126
	s_branch .LBB150_121
.LBB150_127:                            ;   in Loop: Header=BB150_123 Depth=1
                                        ; implicit-def: $sgpr16
	s_and_b64 s[8:9], exec, s[0:1]
	s_or_b64 s[6:7], s[8:9], s[6:7]
	s_andn2_b64 exec, exec, s[6:7]
	s_cbranch_execnz .LBB150_123
.LBB150_128:
	s_or_b64 exec, exec, s[6:7]
	v_add_u32_e32 v0, v3, v16
	v_or_b32_e32 v0, 0x80000000, v0
	global_store_dword v[4:5], v0, off sc1
	global_load_dwordx2 v[0:1], v14, s[44:45]
	v_sub_co_u32_e64 v2, s[0:1], v3, v12
	s_nop 1
	v_subb_co_u32_e64 v3, s[0:1], 0, v13, s[0:1]
	s_waitcnt vmcnt(0)
	v_lshl_add_u64 v[0:1], v[2:3], 0, v[0:1]
	ds_write_b64 v14, v[0:1]
.LBB150_129:
	s_or_b64 exec, exec, s[4:5]
	s_waitcnt lgkmcnt(0)
	s_barrier
	ds_read2st64_b64 v[0:3], v14 offset0:4 offset1:20
	s_mov_b32 s4, 0
	s_brev_b32 s5, 1
	v_bfrev_b32_e32 v19, -2
	v_mov_b32_e32 v15, 0
	s_waitcnt lgkmcnt(0)
	v_cmp_ne_u64_e64 s[0:1], s[4:5], v[0:1]
	v_ashrrev_i32_e32 v6, 31, v1
	v_not_b32_e32 v6, v6
	v_cndmask_b32_e64 v5, v19, v1, s[0:1]
	v_cndmask_b32_e64 v4, -1, v0, s[0:1]
	v_lshrrev_b64 v[4:5], s48, v[4:5]
	v_cmp_gt_i64_e64 s[0:1], 0, v[0:1]
	v_and_b32_e32 v4, s14, v4
	v_xor_b32_e32 v0, v6, v0
	v_cndmask_b32_e64 v5, v19, 0, s[0:1]
	v_xor_b32_e32 v1, v5, v1
	v_lshlrev_b32_e32 v42, 3, v4
	ds_read2st64_b64 v[4:7], v14 offset0:36 offset1:52
	v_cmp_ne_u64_e64 s[0:1], s[4:5], v[2:3]
	v_mov_b32_e32 v11, v15
	ds_read_b64 v[20:21], v42
	v_cndmask_b32_e64 v27, v19, v3, s[0:1]
	v_cndmask_b32_e64 v26, -1, v2, s[0:1]
	v_lshrrev_b64 v[26:27], s48, v[26:27]
	s_waitcnt lgkmcnt(1)
	v_cmp_ne_u64_e64 s[0:1], s[4:5], v[4:5]
	v_and_b32_e32 v9, s14, v26
	v_lshlrev_b32_e32 v43, 3, v9
	v_cndmask_b32_e64 v27, v19, v5, s[0:1]
	v_cndmask_b32_e64 v26, -1, v4, s[0:1]
	v_lshrrev_b64 v[26:27], s48, v[26:27]
	v_cmp_ne_u64_e64 s[0:1], s[4:5], v[6:7]
	v_and_b32_e32 v9, s14, v26
	v_lshlrev_b32_e32 v44, 3, v9
	v_cndmask_b32_e64 v27, v19, v7, s[0:1]
	v_cndmask_b32_e64 v26, -1, v6, s[0:1]
	v_lshrrev_b64 v[26:27], s48, v[26:27]
	v_and_b32_e32 v9, s14, v26
	s_add_u32 s0, s40, s10
	v_lshlrev_b32_e32 v45, 3, v9
	s_addc_u32 s1, s41, s11
	v_mov_b32_e32 v9, v15
	v_lshl_add_u64 v[8:9], s[0:1], 0, v[8:9]
	v_lshl_add_u64 v[8:9], v[8:9], 0, v[10:11]
	ds_read_b64 v[26:27], v43
	ds_read_b64 v[28:29], v44
	;; [unrolled: 1-line block ×3, first 2 shown]
	global_load_dwordx2 v[10:11], v[8:9], off
	global_load_dwordx2 v[32:33], v[8:9], off offset:512
	global_load_dwordx2 v[34:35], v[8:9], off offset:1024
	;; [unrolled: 1-line block ×5, first 2 shown]
	s_waitcnt lgkmcnt(3)
	v_lshl_add_u64 v[20:21], v[20:21], 3, s[38:39]
	v_lshl_add_u64 v[20:21], v[20:21], 0, v[14:15]
	global_store_dwordx2 v[20:21], v[0:1], off
	v_cmp_gt_i64_e64 s[0:1], 0, v[2:3]
	v_ashrrev_i32_e32 v1, 31, v3
	v_not_b32_e32 v8, v1
	v_cndmask_b32_e64 v0, v19, 0, s[0:1]
	v_xor_b32_e32 v1, v0, v3
	v_xor_b32_e32 v0, v8, v2
	s_waitcnt lgkmcnt(2)
	v_lshl_add_u64 v[2:3], v[26:27], 3, s[38:39]
	v_or_b32_e32 v8, 0x2000, v14
	v_mov_b32_e32 v9, v15
	v_lshl_add_u64 v[2:3], v[2:3], 0, v[8:9]
	global_store_dwordx2 v[2:3], v[0:1], off
	v_cmp_gt_i64_e64 s[0:1], 0, v[4:5]
	v_ashrrev_i32_e32 v1, 31, v5
	v_not_b32_e32 v2, v1
	v_cndmask_b32_e64 v0, v19, 0, s[0:1]
	v_xor_b32_e32 v1, v0, v5
	v_xor_b32_e32 v0, v2, v4
	s_waitcnt lgkmcnt(1)
	v_lshl_add_u64 v[2:3], v[28:29], 3, s[38:39]
	v_or_b32_e32 v20, 0x4000, v14
	v_mov_b32_e32 v21, v15
	v_lshl_add_u64 v[2:3], v[2:3], 0, v[20:21]
	global_store_dwordx2 v[2:3], v[0:1], off
	v_cmp_gt_i64_e64 s[0:1], 0, v[6:7]
	v_ashrrev_i32_e32 v1, 31, v7
	v_not_b32_e32 v1, v1
	v_cndmask_b32_e64 v0, v19, 0, s[0:1]
	v_xor_b32_e32 v5, v0, v7
	v_xor_b32_e32 v4, v1, v6
	ds_read2st64_b64 v[0:3], v14 offset0:68 offset1:84
	s_waitcnt lgkmcnt(1)
	v_lshl_add_u64 v[6:7], v[30:31], 3, s[38:39]
	v_or_b32_e32 v26, 0x6000, v14
	v_mov_b32_e32 v27, v15
	v_lshl_add_u64 v[6:7], v[6:7], 0, v[26:27]
	s_waitcnt lgkmcnt(0)
	v_cmp_ne_u64_e64 s[0:1], s[4:5], v[0:1]
	global_store_dwordx2 v[6:7], v[4:5], off
	v_ashrrev_i32_e32 v6, 31, v1
	v_cndmask_b32_e64 v5, v19, v1, s[0:1]
	v_cndmask_b32_e64 v4, -1, v0, s[0:1]
	v_lshrrev_b64 v[4:5], s48, v[4:5]
	v_and_b32_e32 v4, s14, v4
	v_cmp_gt_i64_e64 s[0:1], 0, v[0:1]
	v_not_b32_e32 v6, v6
	v_lshlrev_b32_e32 v46, 3, v4
	v_cndmask_b32_e64 v5, v19, 0, s[0:1]
	v_cmp_ne_u64_e64 s[0:1], s[4:5], v[2:3]
	v_xor_b32_e32 v1, v5, v1
	v_xor_b32_e32 v0, v6, v0
	ds_read_b64 v[4:5], v46
	v_cndmask_b32_e64 v7, v19, v3, s[0:1]
	v_cndmask_b32_e64 v6, -1, v2, s[0:1]
	v_lshrrev_b64 v[6:7], s48, v[6:7]
	v_and_b32_e32 v6, s14, v6
	v_lshlrev_b32_e32 v47, 3, v6
	ds_read_b64 v[6:7], v47
	s_waitcnt lgkmcnt(1)
	v_lshl_add_u64 v[4:5], v[4:5], 3, s[38:39]
	v_or_b32_e32 v28, 0x8000, v14
	v_mov_b32_e32 v29, v15
	v_lshl_add_u64 v[4:5], v[4:5], 0, v[28:29]
	global_store_dwordx2 v[4:5], v[0:1], off
	v_cmp_gt_i64_e64 s[0:1], 0, v[2:3]
	v_ashrrev_i32_e32 v1, 31, v3
	v_not_b32_e32 v4, v1
	v_cndmask_b32_e64 v0, v19, 0, s[0:1]
	v_xor_b32_e32 v1, v0, v3
	v_xor_b32_e32 v0, v4, v2
	s_waitcnt lgkmcnt(0)
	v_lshl_add_u64 v[2:3], v[6:7], 3, s[38:39]
	v_or_b32_e32 v30, 0xa000, v14
	v_mov_b32_e32 v31, v15
	v_lshl_add_u64 v[2:3], v[2:3], 0, v[30:31]
	global_store_dwordx2 v[2:3], v[0:1], off
	s_barrier
	s_waitcnt vmcnt(11)
	ds_write_b64 v17, v[10:11] offset:2048
	s_waitcnt vmcnt(10)
	ds_write_b64 v22, v[32:33] offset:2048
	;; [unrolled: 2-line block ×6, first 2 shown]
	s_waitcnt lgkmcnt(0)
	s_barrier
	ds_read_b64 v[4:5], v42
	ds_read2st64_b64 v[0:3], v14 offset0:4 offset1:20
	ds_read_b64 v[6:7], v43
	ds_read_b64 v[10:11], v44
	;; [unrolled: 1-line block ×3, first 2 shown]
	s_waitcnt lgkmcnt(4)
	v_lshl_add_u64 v[4:5], v[4:5], 3, s[42:43]
	v_lshl_add_u64 v[4:5], v[4:5], 0, v[14:15]
	s_waitcnt lgkmcnt(3)
	global_store_dwordx2 v[4:5], v[0:1], off
	s_waitcnt lgkmcnt(2)
	v_lshl_add_u64 v[0:1], v[6:7], 3, s[42:43]
	ds_read2st64_b64 v[4:7], v14 offset0:36 offset1:52
	v_lshl_add_u64 v[0:1], v[0:1], 0, v[8:9]
	global_store_dwordx2 v[0:1], v[2:3], off
	s_waitcnt lgkmcnt(2)
	v_lshl_add_u64 v[0:1], v[10:11], 3, s[42:43]
	v_lshl_add_u64 v[0:1], v[0:1], 0, v[20:21]
	s_waitcnt lgkmcnt(0)
	global_store_dwordx2 v[0:1], v[4:5], off
	ds_read_b64 v[4:5], v46
	v_lshl_add_u64 v[0:1], v[18:19], 3, s[42:43]
	v_lshl_add_u64 v[8:9], v[0:1], 0, v[26:27]
	ds_read2st64_b64 v[0:3], v14 offset0:68 offset1:84
	ds_read_b64 v[10:11], v47
	s_add_i32 s3, s3, -1
	s_waitcnt lgkmcnt(2)
	v_lshl_add_u64 v[4:5], v[4:5], 3, s[42:43]
	v_lshl_add_u64 v[4:5], v[4:5], 0, v[28:29]
	s_cmp_eq_u32 s2, s3
	global_store_dwordx2 v[8:9], v[6:7], off
	s_waitcnt lgkmcnt(1)
	global_store_dwordx2 v[4:5], v[0:1], off
	s_waitcnt lgkmcnt(0)
	v_lshl_add_u64 v[0:1], v[10:11], 3, s[42:43]
	s_cselect_b64 s[0:1], -1, 0
	s_xor_b64 s[2:3], vcc, -1
	v_lshl_add_u64 v[0:1], v[0:1], 0, v[30:31]
	s_and_b64 s[0:1], s[2:3], s[0:1]
	global_store_dwordx2 v[0:1], v[2:3], off
	s_and_saveexec_b64 s[2:3], s[0:1]
	s_cbranch_execz .LBB150_131
; %bb.130:
	ds_read_b64 v[0:1], v14
	v_mov_b32_e32 v17, v15
	v_lshl_add_u64 v[2:3], v[12:13], 0, v[16:17]
	s_waitcnt lgkmcnt(0)
	v_lshl_add_u64 v[0:1], v[2:3], 0, v[0:1]
	global_store_dwordx2 v14, v[0:1], s[46:47]
.LBB150_131:
	s_endpgm
	.section	.rodata,"a",@progbits
	.p2align	6, 0x0
	.amdhsa_kernel _ZN7rocprim17ROCPRIM_304000_NS6detail25onesweep_iteration_kernelINS1_34wrapped_radix_sort_onesweep_configINS0_14default_configEdN2at4cuda3cub6detail10OpaqueTypeILi8EEEEELb1EPdSC_PSA_SD_mNS0_19identity_decomposerEEEvT1_T2_T3_T4_jPT5_SK_PNS1_23onesweep_lookback_stateET6_jjj
		.amdhsa_group_segment_fixed_size 51200
		.amdhsa_private_segment_fixed_size 0
		.amdhsa_kernarg_size 336
		.amdhsa_user_sgpr_count 2
		.amdhsa_user_sgpr_dispatch_ptr 0
		.amdhsa_user_sgpr_queue_ptr 0
		.amdhsa_user_sgpr_kernarg_segment_ptr 1
		.amdhsa_user_sgpr_dispatch_id 0
		.amdhsa_user_sgpr_kernarg_preload_length 0
		.amdhsa_user_sgpr_kernarg_preload_offset 0
		.amdhsa_user_sgpr_private_segment_size 0
		.amdhsa_uses_dynamic_stack 0
		.amdhsa_enable_private_segment 0
		.amdhsa_system_sgpr_workgroup_id_x 1
		.amdhsa_system_sgpr_workgroup_id_y 0
		.amdhsa_system_sgpr_workgroup_id_z 0
		.amdhsa_system_sgpr_workgroup_info 0
		.amdhsa_system_vgpr_workitem_id 2
		.amdhsa_next_free_vgpr 48
		.amdhsa_next_free_sgpr 54
		.amdhsa_accum_offset 48
		.amdhsa_reserve_vcc 1
		.amdhsa_float_round_mode_32 0
		.amdhsa_float_round_mode_16_64 0
		.amdhsa_float_denorm_mode_32 3
		.amdhsa_float_denorm_mode_16_64 3
		.amdhsa_dx10_clamp 1
		.amdhsa_ieee_mode 1
		.amdhsa_fp16_overflow 0
		.amdhsa_tg_split 0
		.amdhsa_exception_fp_ieee_invalid_op 0
		.amdhsa_exception_fp_denorm_src 0
		.amdhsa_exception_fp_ieee_div_zero 0
		.amdhsa_exception_fp_ieee_overflow 0
		.amdhsa_exception_fp_ieee_underflow 0
		.amdhsa_exception_fp_ieee_inexact 0
		.amdhsa_exception_int_div_zero 0
	.end_amdhsa_kernel
	.section	.text._ZN7rocprim17ROCPRIM_304000_NS6detail25onesweep_iteration_kernelINS1_34wrapped_radix_sort_onesweep_configINS0_14default_configEdN2at4cuda3cub6detail10OpaqueTypeILi8EEEEELb1EPdSC_PSA_SD_mNS0_19identity_decomposerEEEvT1_T2_T3_T4_jPT5_SK_PNS1_23onesweep_lookback_stateET6_jjj,"axG",@progbits,_ZN7rocprim17ROCPRIM_304000_NS6detail25onesweep_iteration_kernelINS1_34wrapped_radix_sort_onesweep_configINS0_14default_configEdN2at4cuda3cub6detail10OpaqueTypeILi8EEEEELb1EPdSC_PSA_SD_mNS0_19identity_decomposerEEEvT1_T2_T3_T4_jPT5_SK_PNS1_23onesweep_lookback_stateET6_jjj,comdat
.Lfunc_end150:
	.size	_ZN7rocprim17ROCPRIM_304000_NS6detail25onesweep_iteration_kernelINS1_34wrapped_radix_sort_onesweep_configINS0_14default_configEdN2at4cuda3cub6detail10OpaqueTypeILi8EEEEELb1EPdSC_PSA_SD_mNS0_19identity_decomposerEEEvT1_T2_T3_T4_jPT5_SK_PNS1_23onesweep_lookback_stateET6_jjj, .Lfunc_end150-_ZN7rocprim17ROCPRIM_304000_NS6detail25onesweep_iteration_kernelINS1_34wrapped_radix_sort_onesweep_configINS0_14default_configEdN2at4cuda3cub6detail10OpaqueTypeILi8EEEEELb1EPdSC_PSA_SD_mNS0_19identity_decomposerEEEvT1_T2_T3_T4_jPT5_SK_PNS1_23onesweep_lookback_stateET6_jjj
                                        ; -- End function
	.set _ZN7rocprim17ROCPRIM_304000_NS6detail25onesweep_iteration_kernelINS1_34wrapped_radix_sort_onesweep_configINS0_14default_configEdN2at4cuda3cub6detail10OpaqueTypeILi8EEEEELb1EPdSC_PSA_SD_mNS0_19identity_decomposerEEEvT1_T2_T3_T4_jPT5_SK_PNS1_23onesweep_lookback_stateET6_jjj.num_vgpr, 48
	.set _ZN7rocprim17ROCPRIM_304000_NS6detail25onesweep_iteration_kernelINS1_34wrapped_radix_sort_onesweep_configINS0_14default_configEdN2at4cuda3cub6detail10OpaqueTypeILi8EEEEELb1EPdSC_PSA_SD_mNS0_19identity_decomposerEEEvT1_T2_T3_T4_jPT5_SK_PNS1_23onesweep_lookback_stateET6_jjj.num_agpr, 0
	.set _ZN7rocprim17ROCPRIM_304000_NS6detail25onesweep_iteration_kernelINS1_34wrapped_radix_sort_onesweep_configINS0_14default_configEdN2at4cuda3cub6detail10OpaqueTypeILi8EEEEELb1EPdSC_PSA_SD_mNS0_19identity_decomposerEEEvT1_T2_T3_T4_jPT5_SK_PNS1_23onesweep_lookback_stateET6_jjj.numbered_sgpr, 54
	.set _ZN7rocprim17ROCPRIM_304000_NS6detail25onesweep_iteration_kernelINS1_34wrapped_radix_sort_onesweep_configINS0_14default_configEdN2at4cuda3cub6detail10OpaqueTypeILi8EEEEELb1EPdSC_PSA_SD_mNS0_19identity_decomposerEEEvT1_T2_T3_T4_jPT5_SK_PNS1_23onesweep_lookback_stateET6_jjj.num_named_barrier, 0
	.set _ZN7rocprim17ROCPRIM_304000_NS6detail25onesweep_iteration_kernelINS1_34wrapped_radix_sort_onesweep_configINS0_14default_configEdN2at4cuda3cub6detail10OpaqueTypeILi8EEEEELb1EPdSC_PSA_SD_mNS0_19identity_decomposerEEEvT1_T2_T3_T4_jPT5_SK_PNS1_23onesweep_lookback_stateET6_jjj.private_seg_size, 0
	.set _ZN7rocprim17ROCPRIM_304000_NS6detail25onesweep_iteration_kernelINS1_34wrapped_radix_sort_onesweep_configINS0_14default_configEdN2at4cuda3cub6detail10OpaqueTypeILi8EEEEELb1EPdSC_PSA_SD_mNS0_19identity_decomposerEEEvT1_T2_T3_T4_jPT5_SK_PNS1_23onesweep_lookback_stateET6_jjj.uses_vcc, 1
	.set _ZN7rocprim17ROCPRIM_304000_NS6detail25onesweep_iteration_kernelINS1_34wrapped_radix_sort_onesweep_configINS0_14default_configEdN2at4cuda3cub6detail10OpaqueTypeILi8EEEEELb1EPdSC_PSA_SD_mNS0_19identity_decomposerEEEvT1_T2_T3_T4_jPT5_SK_PNS1_23onesweep_lookback_stateET6_jjj.uses_flat_scratch, 0
	.set _ZN7rocprim17ROCPRIM_304000_NS6detail25onesweep_iteration_kernelINS1_34wrapped_radix_sort_onesweep_configINS0_14default_configEdN2at4cuda3cub6detail10OpaqueTypeILi8EEEEELb1EPdSC_PSA_SD_mNS0_19identity_decomposerEEEvT1_T2_T3_T4_jPT5_SK_PNS1_23onesweep_lookback_stateET6_jjj.has_dyn_sized_stack, 0
	.set _ZN7rocprim17ROCPRIM_304000_NS6detail25onesweep_iteration_kernelINS1_34wrapped_radix_sort_onesweep_configINS0_14default_configEdN2at4cuda3cub6detail10OpaqueTypeILi8EEEEELb1EPdSC_PSA_SD_mNS0_19identity_decomposerEEEvT1_T2_T3_T4_jPT5_SK_PNS1_23onesweep_lookback_stateET6_jjj.has_recursion, 0
	.set _ZN7rocprim17ROCPRIM_304000_NS6detail25onesweep_iteration_kernelINS1_34wrapped_radix_sort_onesweep_configINS0_14default_configEdN2at4cuda3cub6detail10OpaqueTypeILi8EEEEELb1EPdSC_PSA_SD_mNS0_19identity_decomposerEEEvT1_T2_T3_T4_jPT5_SK_PNS1_23onesweep_lookback_stateET6_jjj.has_indirect_call, 0
	.section	.AMDGPU.csdata,"",@progbits
; Kernel info:
; codeLenInByte = 12536
; TotalNumSgprs: 60
; NumVgprs: 48
; NumAgprs: 0
; TotalNumVgprs: 48
; ScratchSize: 0
; MemoryBound: 0
; FloatMode: 240
; IeeeMode: 1
; LDSByteSize: 51200 bytes/workgroup (compile time only)
; SGPRBlocks: 7
; VGPRBlocks: 5
; NumSGPRsForWavesPerEU: 60
; NumVGPRsForWavesPerEU: 48
; AccumOffset: 48
; Occupancy: 8
; WaveLimiterHint : 1
; COMPUTE_PGM_RSRC2:SCRATCH_EN: 0
; COMPUTE_PGM_RSRC2:USER_SGPR: 2
; COMPUTE_PGM_RSRC2:TRAP_HANDLER: 0
; COMPUTE_PGM_RSRC2:TGID_X_EN: 1
; COMPUTE_PGM_RSRC2:TGID_Y_EN: 0
; COMPUTE_PGM_RSRC2:TGID_Z_EN: 0
; COMPUTE_PGM_RSRC2:TIDIG_COMP_CNT: 2
; COMPUTE_PGM_RSRC3_GFX90A:ACCUM_OFFSET: 11
; COMPUTE_PGM_RSRC3_GFX90A:TG_SPLIT: 0
	.section	.text._ZN7rocprim17ROCPRIM_304000_NS6detail28radix_sort_block_sort_kernelINS1_36wrapped_radix_sort_block_sort_configINS0_13kernel_configILj256ELj4ELj4294967295EEEdN2at4cuda3cub6detail10OpaqueTypeILi8EEEEELb0EPKdPdPKSB_PSB_NS0_19identity_decomposerEEEvT1_T2_T3_T4_jT5_jj,"axG",@progbits,_ZN7rocprim17ROCPRIM_304000_NS6detail28radix_sort_block_sort_kernelINS1_36wrapped_radix_sort_block_sort_configINS0_13kernel_configILj256ELj4ELj4294967295EEEdN2at4cuda3cub6detail10OpaqueTypeILi8EEEEELb0EPKdPdPKSB_PSB_NS0_19identity_decomposerEEEvT1_T2_T3_T4_jT5_jj,comdat
	.protected	_ZN7rocprim17ROCPRIM_304000_NS6detail28radix_sort_block_sort_kernelINS1_36wrapped_radix_sort_block_sort_configINS0_13kernel_configILj256ELj4ELj4294967295EEEdN2at4cuda3cub6detail10OpaqueTypeILi8EEEEELb0EPKdPdPKSB_PSB_NS0_19identity_decomposerEEEvT1_T2_T3_T4_jT5_jj ; -- Begin function _ZN7rocprim17ROCPRIM_304000_NS6detail28radix_sort_block_sort_kernelINS1_36wrapped_radix_sort_block_sort_configINS0_13kernel_configILj256ELj4ELj4294967295EEEdN2at4cuda3cub6detail10OpaqueTypeILi8EEEEELb0EPKdPdPKSB_PSB_NS0_19identity_decomposerEEEvT1_T2_T3_T4_jT5_jj
	.globl	_ZN7rocprim17ROCPRIM_304000_NS6detail28radix_sort_block_sort_kernelINS1_36wrapped_radix_sort_block_sort_configINS0_13kernel_configILj256ELj4ELj4294967295EEEdN2at4cuda3cub6detail10OpaqueTypeILi8EEEEELb0EPKdPdPKSB_PSB_NS0_19identity_decomposerEEEvT1_T2_T3_T4_jT5_jj
	.p2align	8
	.type	_ZN7rocprim17ROCPRIM_304000_NS6detail28radix_sort_block_sort_kernelINS1_36wrapped_radix_sort_block_sort_configINS0_13kernel_configILj256ELj4ELj4294967295EEEdN2at4cuda3cub6detail10OpaqueTypeILi8EEEEELb0EPKdPdPKSB_PSB_NS0_19identity_decomposerEEEvT1_T2_T3_T4_jT5_jj,@function
_ZN7rocprim17ROCPRIM_304000_NS6detail28radix_sort_block_sort_kernelINS1_36wrapped_radix_sort_block_sort_configINS0_13kernel_configILj256ELj4ELj4294967295EEEdN2at4cuda3cub6detail10OpaqueTypeILi8EEEEELb0EPKdPdPKSB_PSB_NS0_19identity_decomposerEEEvT1_T2_T3_T4_jT5_jj: ; @_ZN7rocprim17ROCPRIM_304000_NS6detail28radix_sort_block_sort_kernelINS1_36wrapped_radix_sort_block_sort_configINS0_13kernel_configILj256ELj4ELj4294967295EEEdN2at4cuda3cub6detail10OpaqueTypeILi8EEEEELb0EPKdPdPKSB_PSB_NS0_19identity_decomposerEEEvT1_T2_T3_T4_jT5_jj
; %bb.0:
	s_load_dword s8, s[0:1], 0x20
	s_load_dwordx8 s[36:43], s[0:1], 0x0
	s_lshl_b32 s4, s2, 10
	s_mov_b32 s5, 0
	v_and_b32_e32 v10, 0x3ff, v0
	s_waitcnt lgkmcnt(0)
	s_lshr_b32 s3, s8, 10
	s_cmp_lg_u32 s2, s3
	s_cselect_b64 s[30:31], -1, 0
	s_lshl_b64 s[28:29], s[4:5], 3
	v_mbcnt_lo_u32_b32 v1, -1, 0
	s_add_u32 s6, s36, s28
	v_mbcnt_hi_u32_b32 v1, -1, v1
	v_lshlrev_b32_e32 v18, 2, v10
	s_addc_u32 s7, s37, s29
	v_and_b32_e32 v11, 0x300, v18
	v_mov_b32_e32 v15, 0
	v_lshlrev_b32_e32 v14, 3, v1
	v_lshl_add_u64 v[2:3], s[6:7], 0, v[14:15]
	v_lshlrev_b32_e32 v12, 3, v11
	v_mov_b32_e32 v13, v15
	s_cmp_eq_u32 s2, s3
	v_lshl_add_u64 v[16:17], v[2:3], 0, v[12:13]
	s_cbranch_scc1 .LBB151_2
; %bb.1:
	s_add_u32 s2, s40, s28
	s_addc_u32 s3, s41, s29
	v_lshl_add_u64 v[20:21], s[2:3], 0, v[14:15]
	global_load_dwordx2 v[2:3], v[16:17], off
	global_load_dwordx2 v[4:5], v[16:17], off offset:512
	global_load_dwordx2 v[6:7], v[16:17], off offset:1024
	;; [unrolled: 1-line block ×3, first 2 shown]
	v_lshl_add_u64 v[20:21], v[20:21], 0, v[12:13]
	global_load_dwordx2 v[42:43], v[20:21], off
	global_load_dwordx2 v[44:45], v[20:21], off offset:512
	global_load_dwordx2 v[46:47], v[20:21], off offset:1024
	s_mov_b64 s[6:7], -1
	s_sub_i32 s33, s8, s4
	s_cbranch_execz .LBB151_3
	s_branch .LBB151_16
.LBB151_2:
	s_mov_b64 s[6:7], 0
                                        ; implicit-def: $vgpr2_vgpr3_vgpr4_vgpr5_vgpr6_vgpr7_vgpr8_vgpr9
                                        ; implicit-def: $vgpr42_vgpr43
                                        ; implicit-def: $vgpr46_vgpr47
	s_sub_i32 s33, s8, s4
.LBB151_3:
	v_add_u32_e32 v11, v1, v11
	s_waitcnt vmcnt(6)
	v_mov_b32_e32 v2, -1
	v_bfrev_b32_e32 v3, -2
	v_cmp_gt_u32_e32 vcc, s33, v11
	s_waitcnt vmcnt(5)
	v_mov_b32_e32 v4, v2
	v_mov_b32_e32 v5, v3
	s_waitcnt vmcnt(4)
	v_mov_b32_e32 v6, v2
	v_mov_b32_e32 v7, v3
	;; [unrolled: 3-line block ×3, first 2 shown]
	s_and_saveexec_b64 s[2:3], vcc
	s_cbranch_execz .LBB151_5
; %bb.4:
	global_load_dwordx2 v[20:21], v[16:17], off
	v_mov_b32_e32 v22, v2
	v_mov_b32_e32 v23, v3
	;; [unrolled: 1-line block ×6, first 2 shown]
	s_waitcnt vmcnt(0)
	v_mov_b64_e32 v[2:3], v[20:21]
	v_mov_b64_e32 v[4:5], v[22:23]
	;; [unrolled: 1-line block ×4, first 2 shown]
.LBB151_5:
	s_or_b64 exec, exec, s[2:3]
	v_add_u32_e32 v13, 64, v11
	v_cmp_gt_u32_e64 s[2:3], s33, v13
	s_and_saveexec_b64 s[4:5], s[2:3]
	s_cbranch_execz .LBB151_7
; %bb.6:
	global_load_dwordx2 v[4:5], v[16:17], off offset:512
.LBB151_7:
	s_or_b64 exec, exec, s[4:5]
	v_add_u32_e32 v13, 0x80, v11
	v_cmp_gt_u32_e64 s[4:5], s33, v13
	s_and_saveexec_b64 s[6:7], s[4:5]
	s_cbranch_execz .LBB151_9
; %bb.8:
	global_load_dwordx2 v[6:7], v[16:17], off offset:1024
.LBB151_9:
	;; [unrolled: 8-line block ×3, first 2 shown]
	s_or_b64 exec, exec, s[8:9]
	s_add_u32 s8, s40, s28
	s_addc_u32 s9, s41, s29
	v_mov_b32_e32 v15, 0
	v_lshl_add_u64 v[16:17], s[8:9], 0, v[14:15]
	v_mov_b32_e32 v13, v15
	v_lshl_add_u64 v[16:17], v[16:17], 0, v[12:13]
                                        ; implicit-def: $vgpr42_vgpr43
	s_and_saveexec_b64 s[8:9], vcc
	s_cbranch_execnz .LBB151_55
; %bb.12:
	s_or_b64 exec, exec, s[8:9]
	s_and_saveexec_b64 s[8:9], s[2:3]
	s_cbranch_execnz .LBB151_56
.LBB151_13:
	s_or_b64 exec, exec, s[8:9]
                                        ; implicit-def: $vgpr46_vgpr47
	s_and_saveexec_b64 s[2:3], s[4:5]
	s_cbranch_execz .LBB151_15
.LBB151_14:
	global_load_dwordx2 v[46:47], v[16:17], off offset:1024
.LBB151_15:
	s_or_b64 exec, exec, s[2:3]
.LBB151_16:
	s_and_saveexec_b64 s[2:3], s[6:7]
	s_cbranch_execz .LBB151_18
; %bb.17:
	s_add_u32 s4, s40, s28
	s_addc_u32 s5, s41, s29
	v_mov_b32_e32 v15, 0
	v_lshl_add_u64 v[16:17], s[4:5], 0, v[14:15]
	v_mov_b32_e32 v13, v15
	v_lshl_add_u64 v[14:15], v[16:17], 0, v[12:13]
	global_load_dwordx2 v[48:49], v[14:15], off offset:1536
.LBB151_18:
	s_or_b64 exec, exec, s[2:3]
	s_load_dwordx2 s[34:35], s[0:1], 0x28
	v_bfrev_b32_e32 v11, 1
	s_load_dword s0, s[0:1], 0x3c
	s_waitcnt vmcnt(6)
	v_cmp_lt_i64_e32 vcc, -1, v[2:3]
	v_ashrrev_i32_e32 v14, 31, v3
	v_xor_b32_e32 v2, v14, v2
	v_cndmask_b32_e32 v13, -1, v11, vcc
	s_waitcnt vmcnt(0)
	v_cmp_lt_i64_e32 vcc, -1, v[4:5]
	v_xor_b32_e32 v3, v13, v3
	v_ashrrev_i32_e32 v14, 31, v5
	v_cndmask_b32_e32 v13, -1, v11, vcc
	v_cmp_lt_i64_e32 vcc, -1, v[6:7]
	v_xor_b32_e32 v5, v13, v5
	v_xor_b32_e32 v4, v14, v4
	v_cndmask_b32_e32 v13, -1, v11, vcc
	v_cmp_lt_i64_e32 vcc, -1, v[8:9]
	v_ashrrev_i32_e32 v14, 31, v7
	v_xor_b32_e32 v7, v13, v7
	v_cndmask_b32_e32 v13, -1, v11, vcc
	v_xor_b32_e32 v6, v14, v6
	v_ashrrev_i32_e32 v14, 31, v9
	v_xor_b32_e32 v9, v13, v9
	s_waitcnt lgkmcnt(0)
	s_lshr_b32 s1, s0, 16
	v_bfe_u32 v13, v0, 10, 10
	v_bfe_u32 v0, v0, 20, 10
	s_and_b32 s0, s0, 0xffff
	v_mad_u32_u24 v0, v0, s1, v13
	v_xor_b32_e32 v8, v14, v8
	v_mad_u64_u32 v[14:15], s[0:1], v0, s0, v[10:11]
	v_lshrrev_b32_e32 v0, 4, v14
	v_and_b32_e32 v35, 0xffffffc, v0
	v_and_b32_e32 v0, 15, v1
	v_cmp_eq_u32_e64 s[0:1], 0, v0
	v_cmp_lt_u32_e64 s[2:3], 1, v0
	v_cmp_lt_u32_e64 s[4:5], 3, v0
	;; [unrolled: 1-line block ×3, first 2 shown]
	v_and_b32_e32 v0, 16, v1
	v_cmp_eq_u32_e64 s[8:9], 0, v0
	v_and_b32_e32 v0, 0x3c0, v10
	v_min_u32_e32 v0, 0xc0, v0
	v_or_b32_e32 v0, 63, v0
	v_cmp_eq_u32_e64 s[12:13], v10, v0
	v_subrev_co_u32_e64 v0, s[18:19], 1, v1
	v_and_b32_e32 v13, 64, v1
	v_cmp_lt_i32_e32 vcc, v0, v13
	s_mov_b32 s26, 0
	s_mov_b32 s36, -1
	v_cndmask_b32_e32 v0, v0, v1, vcc
	v_lshlrev_b32_e32 v36, 2, v0
	v_lshrrev_b32_e32 v0, 4, v10
	v_lshlrev_b32_e32 v34, 2, v18
	v_and_b32_e32 v37, 60, v0
	v_mul_i32_i24_e32 v0, -12, v10
	v_and_b32_e32 v13, 3, v1
	s_mov_b32 s27, s26
	s_mov_b32 s44, s26
	;; [unrolled: 1-line block ×3, first 2 shown]
	s_brev_b32 s37, -2
	s_add_i32 s40, s35, s34
	v_cmp_lt_u32_e64 s[10:11], 31, v1
	v_cmp_gt_u32_e64 s[14:15], 4, v10
	v_cmp_lt_u32_e64 s[16:17], 63, v10
	v_cmp_eq_u32_e64 s[20:21], 0, v10
	v_cmp_eq_u32_e64 s[22:23], 0, v13
	v_cmp_lt_u32_e64 s[24:25], 1, v13
	v_add_u32_e32 v38, -4, v37
	v_lshl_add_u32 v39, v1, 3, v12
	v_mov_b64_e32 v[12:13], s[26:27]
	v_mov_b64_e32 v[14:15], s[44:45]
	v_mov_b32_e32 v25, 0
	v_add_u32_e32 v40, v34, v0
	s_branch .LBB151_20
.LBB151_19:                             ;   in Loop: Header=BB151_20 Depth=1
	s_andn2_b64 vcc, exec, s[26:27]
	s_cbranch_vccz .LBB151_36
.LBB151_20:                             ; =>This Inner Loop Header: Depth=1
	v_mov_b64_e32 v[32:33], v[2:3]
	v_cmp_ne_u64_e32 vcc, s[36:37], v[32:33]
	s_min_u32 s26, s35, 8
	s_lshl_b32 s41, -1, s26
	v_cndmask_b32_e32 v1, v11, v33, vcc
	v_cndmask_b32_e32 v0, 0, v32, vcc
	v_lshrrev_b64 v[0:1], s34, v[0:1]
	v_bitop3_b32 v2, v0, s41, v0 bitop3:0x30
	v_and_b32_e32 v24, 1, v2
	v_lshl_add_u64 v[0:1], v[24:25], 0, -1
	v_cmp_ne_u32_e32 vcc, 0, v24
	v_mov_b64_e32 v[30:31], v[4:5]
	v_lshlrev_b32_e32 v3, 4, v2
	v_xor_b32_e32 v1, vcc_hi, v1
	v_xor_b32_e32 v0, vcc_lo, v0
	v_and_b32_e32 v4, exec_hi, v1
	v_and_b32_e32 v5, exec_lo, v0
	v_lshlrev_b32_e32 v1, 30, v2
	v_mov_b32_e32 v0, v25
	v_cmp_gt_i64_e32 vcc, 0, v[0:1]
	v_not_b32_e32 v0, v1
	v_ashrrev_i32_e32 v0, 31, v0
	v_xor_b32_e32 v1, vcc_hi, v0
	v_xor_b32_e32 v0, vcc_lo, v0
	v_and_b32_e32 v4, v4, v1
	v_and_b32_e32 v5, v5, v0
	v_lshlrev_b32_e32 v1, 29, v2
	v_mov_b32_e32 v0, v25
	v_cmp_gt_i64_e32 vcc, 0, v[0:1]
	v_not_b32_e32 v0, v1
	v_ashrrev_i32_e32 v0, 31, v0
	v_xor_b32_e32 v1, vcc_hi, v0
	v_xor_b32_e32 v0, vcc_lo, v0
	v_and_b32_e32 v4, v4, v1
	v_and_b32_e32 v5, v5, v0
	;; [unrolled: 9-line block ×7, first 2 shown]
	v_mbcnt_lo_u32_b32 v2, v0, 0
	v_mbcnt_hi_u32_b32 v4, v1, v2
	v_cmp_eq_u32_e32 vcc, 0, v4
	v_cmp_ne_u64_e64 s[26:27], 0, v[0:1]
	v_mov_b64_e32 v[26:27], v[8:9]
	v_mov_b64_e32 v[28:29], v[6:7]
	;; [unrolled: 1-line block ×6, first 2 shown]
	s_and_b64 s[44:45], s[26:27], vcc
	v_add_u32_e32 v5, v35, v3
	ds_write2_b64 v34, v[12:13], v[14:15] offset0:2 offset1:3
	s_waitcnt lgkmcnt(0)
	s_barrier
	; wave barrier
	s_and_saveexec_b64 s[26:27], s[44:45]
; %bb.21:                               ;   in Loop: Header=BB151_20 Depth=1
	v_bcnt_u32_b32 v0, v0, 0
	v_bcnt_u32_b32 v0, v1, v0
	ds_write_b32 v5, v0 offset:16
; %bb.22:                               ;   in Loop: Header=BB151_20 Depth=1
	s_or_b64 exec, exec, s[26:27]
	v_cmp_ne_u64_e32 vcc, s[36:37], v[30:31]
	s_not_b32 s41, s41
	s_nop 0
	v_cndmask_b32_e32 v1, v11, v31, vcc
	v_cndmask_b32_e32 v0, 0, v30, vcc
	v_lshrrev_b64 v[0:1], s34, v[0:1]
	v_and_b32_e32 v2, s41, v0
	v_lshlrev_b32_e32 v0, 4, v2
	v_and_b32_e32 v24, 1, v2
	v_add_u32_e32 v7, v35, v0
	v_lshl_add_u64 v[0:1], v[24:25], 0, -1
	v_cmp_ne_u32_e32 vcc, 0, v24
	; wave barrier
	ds_read_b32 v6, v7 offset:16
	s_nop 0
	v_xor_b32_e32 v1, vcc_hi, v1
	v_xor_b32_e32 v0, vcc_lo, v0
	v_and_b32_e32 v3, exec_hi, v1
	v_and_b32_e32 v8, exec_lo, v0
	v_lshlrev_b32_e32 v1, 30, v2
	v_mov_b32_e32 v0, v25
	v_cmp_gt_i64_e32 vcc, 0, v[0:1]
	v_not_b32_e32 v0, v1
	v_ashrrev_i32_e32 v0, 31, v0
	v_xor_b32_e32 v1, vcc_hi, v0
	v_xor_b32_e32 v0, vcc_lo, v0
	v_and_b32_e32 v3, v3, v1
	v_and_b32_e32 v8, v8, v0
	v_lshlrev_b32_e32 v1, 29, v2
	v_mov_b32_e32 v0, v25
	v_cmp_gt_i64_e32 vcc, 0, v[0:1]
	v_not_b32_e32 v0, v1
	v_ashrrev_i32_e32 v0, 31, v0
	v_xor_b32_e32 v1, vcc_hi, v0
	v_xor_b32_e32 v0, vcc_lo, v0
	v_and_b32_e32 v3, v3, v1
	v_and_b32_e32 v8, v8, v0
	;; [unrolled: 9-line block ×7, first 2 shown]
	v_mbcnt_lo_u32_b32 v2, v0, 0
	v_mbcnt_hi_u32_b32 v8, v1, v2
	v_cmp_eq_u32_e32 vcc, 0, v8
	v_cmp_ne_u64_e64 s[26:27], 0, v[0:1]
	s_and_b64 s[44:45], s[26:27], vcc
	; wave barrier
	s_and_saveexec_b64 s[26:27], s[44:45]
	s_cbranch_execz .LBB151_24
; %bb.23:                               ;   in Loop: Header=BB151_20 Depth=1
	v_bcnt_u32_b32 v0, v0, 0
	v_bcnt_u32_b32 v0, v1, v0
	s_waitcnt lgkmcnt(0)
	v_add_u32_e32 v0, v6, v0
	ds_write_b32 v7, v0 offset:16
.LBB151_24:                             ;   in Loop: Header=BB151_20 Depth=1
	s_or_b64 exec, exec, s[26:27]
	v_cmp_ne_u64_e32 vcc, s[36:37], v[28:29]
	; wave barrier
	s_nop 1
	v_cndmask_b32_e32 v1, v11, v29, vcc
	v_cndmask_b32_e32 v0, 0, v28, vcc
	v_lshrrev_b64 v[0:1], s34, v[0:1]
	v_and_b32_e32 v2, s41, v0
	v_lshlrev_b32_e32 v0, 4, v2
	v_and_b32_e32 v24, 1, v2
	v_add_u32_e32 v41, v35, v0
	v_lshl_add_u64 v[0:1], v[24:25], 0, -1
	v_cmp_ne_u32_e32 vcc, 0, v24
	ds_read_b32 v9, v41 offset:16
	s_nop 0
	v_xor_b32_e32 v1, vcc_hi, v1
	v_xor_b32_e32 v0, vcc_lo, v0
	v_and_b32_e32 v3, exec_hi, v1
	v_and_b32_e32 v24, exec_lo, v0
	v_lshlrev_b32_e32 v1, 30, v2
	v_mov_b32_e32 v0, v25
	v_cmp_gt_i64_e32 vcc, 0, v[0:1]
	v_not_b32_e32 v0, v1
	v_ashrrev_i32_e32 v0, 31, v0
	v_xor_b32_e32 v1, vcc_hi, v0
	v_xor_b32_e32 v0, vcc_lo, v0
	v_and_b32_e32 v3, v3, v1
	v_and_b32_e32 v24, v24, v0
	v_lshlrev_b32_e32 v1, 29, v2
	v_mov_b32_e32 v0, v25
	v_cmp_gt_i64_e32 vcc, 0, v[0:1]
	v_not_b32_e32 v0, v1
	v_ashrrev_i32_e32 v0, 31, v0
	v_xor_b32_e32 v1, vcc_hi, v0
	v_xor_b32_e32 v0, vcc_lo, v0
	v_and_b32_e32 v3, v3, v1
	v_and_b32_e32 v24, v24, v0
	v_lshlrev_b32_e32 v1, 28, v2
	v_mov_b32_e32 v0, v25
	v_cmp_gt_i64_e32 vcc, 0, v[0:1]
	v_not_b32_e32 v0, v1
	v_ashrrev_i32_e32 v0, 31, v0
	v_xor_b32_e32 v1, vcc_hi, v0
	v_xor_b32_e32 v0, vcc_lo, v0
	v_and_b32_e32 v3, v3, v1
	v_and_b32_e32 v24, v24, v0
	v_lshlrev_b32_e32 v1, 27, v2
	v_mov_b32_e32 v0, v25
	v_cmp_gt_i64_e32 vcc, 0, v[0:1]
	v_not_b32_e32 v0, v1
	v_ashrrev_i32_e32 v0, 31, v0
	v_xor_b32_e32 v1, vcc_hi, v0
	v_xor_b32_e32 v0, vcc_lo, v0
	v_and_b32_e32 v3, v3, v1
	v_and_b32_e32 v24, v24, v0
	v_lshlrev_b32_e32 v1, 26, v2
	v_mov_b32_e32 v0, v25
	v_cmp_gt_i64_e32 vcc, 0, v[0:1]
	v_not_b32_e32 v0, v1
	v_ashrrev_i32_e32 v0, 31, v0
	v_xor_b32_e32 v1, vcc_hi, v0
	v_xor_b32_e32 v0, vcc_lo, v0
	v_and_b32_e32 v3, v3, v1
	v_and_b32_e32 v24, v24, v0
	v_lshlrev_b32_e32 v1, 25, v2
	v_mov_b32_e32 v0, v25
	v_cmp_gt_i64_e32 vcc, 0, v[0:1]
	v_not_b32_e32 v0, v1
	v_ashrrev_i32_e32 v0, 31, v0
	v_xor_b32_e32 v1, vcc_hi, v0
	v_xor_b32_e32 v0, vcc_lo, v0
	v_and_b32_e32 v3, v3, v1
	v_and_b32_e32 v24, v24, v0
	v_lshlrev_b32_e32 v1, 24, v2
	v_mov_b32_e32 v0, v25
	v_cmp_gt_i64_e32 vcc, 0, v[0:1]
	v_not_b32_e32 v0, v1
	v_ashrrev_i32_e32 v0, 31, v0
	v_xor_b32_e32 v1, vcc_hi, v0
	v_xor_b32_e32 v0, vcc_lo, v0
	v_and_b32_e32 v0, v24, v0
	v_and_b32_e32 v1, v3, v1
	v_mbcnt_lo_u32_b32 v2, v0, 0
	v_mbcnt_hi_u32_b32 v42, v1, v2
	v_cmp_eq_u32_e32 vcc, 0, v42
	v_cmp_ne_u64_e64 s[26:27], 0, v[0:1]
	s_and_b64 s[44:45], s[26:27], vcc
	; wave barrier
	s_and_saveexec_b64 s[26:27], s[44:45]
	s_cbranch_execz .LBB151_26
; %bb.25:                               ;   in Loop: Header=BB151_20 Depth=1
	v_bcnt_u32_b32 v0, v0, 0
	v_bcnt_u32_b32 v0, v1, v0
	s_waitcnt lgkmcnt(0)
	v_add_u32_e32 v0, v9, v0
	ds_write_b32 v41, v0 offset:16
.LBB151_26:                             ;   in Loop: Header=BB151_20 Depth=1
	s_or_b64 exec, exec, s[26:27]
	v_cmp_ne_u64_e32 vcc, s[36:37], v[26:27]
	; wave barrier
	s_nop 1
	v_cndmask_b32_e32 v1, v11, v27, vcc
	v_cndmask_b32_e32 v0, 0, v26, vcc
	v_lshrrev_b64 v[0:1], s34, v[0:1]
	v_and_b32_e32 v2, s41, v0
	v_lshlrev_b32_e32 v0, 4, v2
	v_and_b32_e32 v24, 1, v2
	v_add_u32_e32 v44, v35, v0
	v_lshl_add_u64 v[0:1], v[24:25], 0, -1
	v_cmp_ne_u32_e32 vcc, 0, v24
	ds_read_b32 v43, v44 offset:16
	s_nop 0
	v_xor_b32_e32 v1, vcc_hi, v1
	v_xor_b32_e32 v0, vcc_lo, v0
	v_and_b32_e32 v3, exec_hi, v1
	v_and_b32_e32 v24, exec_lo, v0
	v_lshlrev_b32_e32 v1, 30, v2
	v_mov_b32_e32 v0, v25
	v_cmp_gt_i64_e32 vcc, 0, v[0:1]
	v_not_b32_e32 v0, v1
	v_ashrrev_i32_e32 v0, 31, v0
	v_xor_b32_e32 v1, vcc_hi, v0
	v_xor_b32_e32 v0, vcc_lo, v0
	v_and_b32_e32 v3, v3, v1
	v_and_b32_e32 v24, v24, v0
	v_lshlrev_b32_e32 v1, 29, v2
	v_mov_b32_e32 v0, v25
	v_cmp_gt_i64_e32 vcc, 0, v[0:1]
	v_not_b32_e32 v0, v1
	v_ashrrev_i32_e32 v0, 31, v0
	v_xor_b32_e32 v1, vcc_hi, v0
	v_xor_b32_e32 v0, vcc_lo, v0
	v_and_b32_e32 v3, v3, v1
	v_and_b32_e32 v24, v24, v0
	;; [unrolled: 9-line block ×7, first 2 shown]
	v_mbcnt_lo_u32_b32 v2, v0, 0
	v_mbcnt_hi_u32_b32 v24, v1, v2
	v_cmp_eq_u32_e32 vcc, 0, v24
	v_cmp_ne_u64_e64 s[26:27], 0, v[0:1]
	s_and_b64 s[44:45], s[26:27], vcc
	; wave barrier
	s_and_saveexec_b64 s[26:27], s[44:45]
	s_cbranch_execz .LBB151_28
; %bb.27:                               ;   in Loop: Header=BB151_20 Depth=1
	v_bcnt_u32_b32 v0, v0, 0
	v_bcnt_u32_b32 v0, v1, v0
	s_waitcnt lgkmcnt(0)
	v_add_u32_e32 v0, v43, v0
	ds_write_b32 v44, v0 offset:16
.LBB151_28:                             ;   in Loop: Header=BB151_20 Depth=1
	s_or_b64 exec, exec, s[26:27]
	; wave barrier
	s_waitcnt lgkmcnt(0)
	s_barrier
	ds_read2_b64 v[0:3], v34 offset0:2 offset1:3
	s_waitcnt lgkmcnt(0)
	v_add_u32_e32 v45, v1, v0
	v_add3_u32 v3, v45, v2, v3
	s_nop 1
	v_mov_b32_dpp v45, v3 row_shr:1 row_mask:0xf bank_mask:0xf
	v_cndmask_b32_e64 v45, v45, 0, s[0:1]
	v_add_u32_e32 v3, v45, v3
	s_nop 1
	v_mov_b32_dpp v45, v3 row_shr:2 row_mask:0xf bank_mask:0xf
	v_cndmask_b32_e64 v45, 0, v45, s[2:3]
	v_add_u32_e32 v3, v3, v45
	s_nop 1
	v_mov_b32_dpp v45, v3 row_shr:4 row_mask:0xf bank_mask:0xf
	v_cndmask_b32_e64 v45, 0, v45, s[4:5]
	v_add_u32_e32 v3, v3, v45
	s_nop 1
	v_mov_b32_dpp v45, v3 row_shr:8 row_mask:0xf bank_mask:0xf
	v_cndmask_b32_e64 v45, 0, v45, s[6:7]
	v_add_u32_e32 v3, v3, v45
	s_nop 1
	v_mov_b32_dpp v45, v3 row_bcast:15 row_mask:0xf bank_mask:0xf
	v_cndmask_b32_e64 v45, v45, 0, s[8:9]
	v_add_u32_e32 v3, v3, v45
	s_nop 1
	v_mov_b32_dpp v45, v3 row_bcast:31 row_mask:0xf bank_mask:0xf
	v_cndmask_b32_e64 v45, 0, v45, s[10:11]
	v_add_u32_e32 v3, v3, v45
	s_and_saveexec_b64 s[26:27], s[12:13]
; %bb.29:                               ;   in Loop: Header=BB151_20 Depth=1
	ds_write_b32 v37, v3
; %bb.30:                               ;   in Loop: Header=BB151_20 Depth=1
	s_or_b64 exec, exec, s[26:27]
	s_waitcnt lgkmcnt(0)
	s_barrier
	s_and_saveexec_b64 s[26:27], s[14:15]
	s_cbranch_execz .LBB151_32
; %bb.31:                               ;   in Loop: Header=BB151_20 Depth=1
	ds_read_b32 v45, v40
	s_waitcnt lgkmcnt(0)
	s_nop 0
	v_mov_b32_dpp v46, v45 row_shr:1 row_mask:0xf bank_mask:0xf
	v_cndmask_b32_e64 v46, v46, 0, s[22:23]
	v_add_u32_e32 v45, v46, v45
	s_nop 1
	v_mov_b32_dpp v46, v45 row_shr:2 row_mask:0xf bank_mask:0xf
	v_cndmask_b32_e64 v46, 0, v46, s[24:25]
	v_add_u32_e32 v45, v45, v46
	ds_write_b32 v40, v45
.LBB151_32:                             ;   in Loop: Header=BB151_20 Depth=1
	s_or_b64 exec, exec, s[26:27]
	v_mov_b32_e32 v45, 0
	s_waitcnt lgkmcnt(0)
	s_barrier
	s_and_saveexec_b64 s[26:27], s[16:17]
; %bb.33:                               ;   in Loop: Header=BB151_20 Depth=1
	ds_read_b32 v45, v38
; %bb.34:                               ;   in Loop: Header=BB151_20 Depth=1
	s_or_b64 exec, exec, s[26:27]
	s_waitcnt lgkmcnt(0)
	v_add_u32_e32 v3, v45, v3
	ds_bpermute_b32 v3, v36, v3
	v_lshlrev_b32_e32 v4, 3, v4
	s_add_i32 s34, s34, 8
	s_cmp_ge_u32 s34, s40
	s_mov_b64 s[26:27], -1
	s_waitcnt lgkmcnt(0)
	v_cndmask_b32_e64 v3, v3, v45, s[18:19]
	v_cndmask_b32_e64 v46, v3, 0, s[20:21]
	v_add_u32_e32 v47, v46, v0
	v_add_u32_e32 v0, v47, v1
	;; [unrolled: 1-line block ×3, first 2 shown]
	ds_write2_b64 v34, v[46:47], v[0:1] offset0:2 offset1:3
	s_waitcnt lgkmcnt(0)
	s_barrier
	ds_read_b32 v0, v5 offset:16
	ds_read_b32 v1, v7 offset:16
	;; [unrolled: 1-line block ×4, first 2 shown]
	v_lshlrev_b32_e32 v5, 3, v6
	s_waitcnt lgkmcnt(3)
	v_lshl_add_u32 v0, v0, 3, v4
	v_lshlrev_b32_e32 v4, 3, v8
	s_waitcnt lgkmcnt(2)
	v_lshlrev_b32_e32 v1, 3, v1
	v_add3_u32 v1, v4, v5, v1
	v_lshlrev_b32_e32 v4, 3, v42
	v_lshlrev_b32_e32 v5, 3, v9
	s_waitcnt lgkmcnt(1)
	v_lshlrev_b32_e32 v2, 3, v2
	v_add3_u32 v41, v4, v5, v2
	v_lshlrev_b32_e32 v2, 3, v24
	v_lshlrev_b32_e32 v4, 3, v43
	s_waitcnt lgkmcnt(0)
	v_lshlrev_b32_e32 v3, 3, v3
	v_add3_u32 v24, v2, v4, v3
                                        ; implicit-def: $vgpr8_vgpr9
                                        ; implicit-def: $vgpr4_vgpr5
                                        ; implicit-def: $vgpr42_vgpr43
                                        ; implicit-def: $vgpr46_vgpr47
	s_cbranch_scc1 .LBB151_19
; %bb.35:                               ;   in Loop: Header=BB151_20 Depth=1
	s_barrier
	ds_write_b64 v0, v[32:33]
	ds_write_b64 v1, v[30:31]
	;; [unrolled: 1-line block ×4, first 2 shown]
	s_waitcnt lgkmcnt(0)
	s_barrier
	ds_read2st64_b64 v[2:5], v39 offset1:1
	ds_read2st64_b64 v[6:9], v39 offset0:2 offset1:3
	s_waitcnt lgkmcnt(0)
	s_barrier
	ds_write_b64 v0, v[22:23]
	ds_write_b64 v1, v[20:21]
	;; [unrolled: 1-line block ×4, first 2 shown]
	s_waitcnt lgkmcnt(0)
	s_barrier
	ds_read2st64_b64 v[42:45], v39 offset1:1
	ds_read2st64_b64 v[46:49], v39 offset0:2 offset1:3
	s_add_i32 s35, s35, -8
	s_mov_b64 s[26:27], 0
	s_waitcnt lgkmcnt(0)
	s_barrier
	s_branch .LBB151_19
.LBB151_36:
	v_lshlrev_b32_e32 v8, 3, v10
	s_barrier
	ds_write_b64 v0, v[32:33]
	ds_write_b64 v1, v[30:31]
	ds_write_b64 v41, v[28:29]
	ds_write_b64 v24, v[26:27]
	s_waitcnt lgkmcnt(0)
	s_barrier
	ds_read2st64_b64 v[12:15], v8 offset1:4
	ds_read2st64_b64 v[26:29], v8 offset0:8 offset1:12
	s_waitcnt lgkmcnt(0)
	s_barrier
	ds_write_b64 v0, v[22:23]
	ds_write_b64 v1, v[20:21]
	;; [unrolled: 1-line block ×4, first 2 shown]
	v_bfrev_b32_e32 v9, 1
	v_cmp_lt_i64_e32 vcc, -1, v[12:13]
	v_ashrrev_i32_e32 v16, 31, v13
	v_not_b32_e32 v16, v16
	v_cndmask_b32_e64 v11, v9, -1, vcc
	v_cmp_lt_i64_e32 vcc, -1, v[14:15]
	s_waitcnt lgkmcnt(0)
	s_barrier
	ds_read2st64_b64 v[4:7], v8 offset1:4
	ds_read2st64_b64 v[0:3], v8 offset0:8 offset1:12
	v_xor_b32_e32 v21, v11, v13
	v_xor_b32_e32 v20, v16, v12
	v_cndmask_b32_e64 v11, v9, -1, vcc
	v_ashrrev_i32_e32 v12, 31, v15
	v_cmp_lt_i64_e32 vcc, -1, v[26:27]
	v_not_b32_e32 v12, v12
	v_xor_b32_e32 v19, v11, v15
	v_cndmask_b32_e64 v11, v9, -1, vcc
	v_cmp_lt_i64_e32 vcc, -1, v[28:29]
	v_xor_b32_e32 v18, v12, v14
	v_ashrrev_i32_e32 v12, 31, v27
	v_xor_b32_e32 v15, v11, v27
	v_cndmask_b32_e64 v9, v9, -1, vcc
	v_ashrrev_i32_e32 v11, 31, v29
	s_add_u32 s2, s38, s28
	v_not_b32_e32 v12, v12
	v_not_b32_e32 v11, v11
	v_xor_b32_e32 v13, v9, v29
	s_addc_u32 s3, s39, s29
	v_mov_b32_e32 v9, 0
	s_mov_b64 s[0:1], -1
	v_xor_b32_e32 v14, v12, v26
	v_xor_b32_e32 v12, v11, v28
	v_lshl_add_u64 v[16:17], s[2:3], 0, v[8:9]
	s_andn2_b64 vcc, exec, s[30:31]
	s_mov_b64 s[6:7], 0
	s_cbranch_vccz .LBB151_40
; %bb.37:
	s_andn2_b64 vcc, exec, s[0:1]
	s_cbranch_vccz .LBB151_41
.LBB151_38:
	s_and_saveexec_b64 s[0:1], s[6:7]
	s_cbranch_execnz .LBB151_54
.LBB151_39:
	s_endpgm
.LBB151_40:
	v_add_co_u32_e32 v22, vcc, 0x1000, v16
	s_add_u32 s0, s42, s28
	s_nop 0
	v_addc_co_u32_e32 v23, vcc, 0, v17, vcc
	s_addc_u32 s1, s43, s29
	global_store_dwordx2 v[16:17], v[20:21], off
	global_store_dwordx2 v[16:17], v[18:19], off offset:2048
	global_store_dwordx2 v[22:23], v[14:15], off
	global_store_dwordx2 v[22:23], v[12:13], off offset:2048
	v_lshl_add_u64 v[22:23], s[0:1], 0, v[8:9]
	v_add_co_u32_e32 v22, vcc, 0x1000, v22
	s_waitcnt lgkmcnt(1)
	global_store_dwordx2 v8, v[4:5], s[0:1]
	global_store_dwordx2 v8, v[6:7], s[0:1] offset:2048
	v_addc_co_u32_e32 v23, vcc, 0, v23, vcc
	s_mov_b64 s[6:7], -1
	s_waitcnt lgkmcnt(0)
	global_store_dwordx2 v[22:23], v[0:1], off
	s_cbranch_execnz .LBB151_38
.LBB151_41:
	v_cmp_gt_u32_e64 s[0:1], s33, v10
	s_and_saveexec_b64 s[2:3], s[0:1]
	s_cbranch_execz .LBB151_43
; %bb.42:
	global_store_dwordx2 v[16:17], v[20:21], off
.LBB151_43:
	s_or_b64 exec, exec, s[2:3]
	v_add_u32_e32 v9, 0x100, v10
	v_cmp_gt_u32_e64 s[2:3], s33, v9
	s_and_saveexec_b64 s[4:5], s[2:3]
	s_cbranch_execz .LBB151_45
; %bb.44:
	global_store_dwordx2 v[16:17], v[18:19], off offset:2048
.LBB151_45:
	s_or_b64 exec, exec, s[4:5]
	v_add_u32_e32 v9, 0x200, v10
	v_cmp_gt_u32_e64 s[4:5], s33, v9
	s_and_saveexec_b64 s[6:7], s[4:5]
	s_cbranch_execz .LBB151_47
; %bb.46:
	v_add_co_u32_e32 v18, vcc, 0x1000, v16
	s_nop 1
	v_addc_co_u32_e32 v19, vcc, 0, v17, vcc
	global_store_dwordx2 v[18:19], v[14:15], off
.LBB151_47:
	s_or_b64 exec, exec, s[6:7]
	v_add_u32_e32 v9, 0x300, v10
	v_cmp_gt_u32_e64 s[6:7], s33, v9
	s_and_saveexec_b64 s[8:9], s[6:7]
	s_cbranch_execz .LBB151_49
; %bb.48:
	v_add_co_u32_e32 v10, vcc, 0x1000, v16
	s_nop 1
	v_addc_co_u32_e32 v11, vcc, 0, v17, vcc
	global_store_dwordx2 v[10:11], v[12:13], off offset:2048
.LBB151_49:
	s_or_b64 exec, exec, s[8:9]
	s_add_u32 s8, s42, s28
	s_addc_u32 s9, s43, s29
	v_mov_b32_e32 v9, 0
	v_lshl_add_u64 v[10:11], s[8:9], 0, v[8:9]
	s_and_saveexec_b64 s[8:9], s[0:1]
	s_cbranch_execnz .LBB151_57
; %bb.50:
	s_or_b64 exec, exec, s[8:9]
	s_and_saveexec_b64 s[0:1], s[2:3]
	s_cbranch_execnz .LBB151_58
.LBB151_51:
	s_or_b64 exec, exec, s[0:1]
	s_and_saveexec_b64 s[0:1], s[4:5]
	s_cbranch_execz .LBB151_53
.LBB151_52:
	s_waitcnt lgkmcnt(1)
	v_add_co_u32_e32 v4, vcc, 0x1000, v10
	s_nop 1
	v_addc_co_u32_e32 v5, vcc, 0, v11, vcc
	s_waitcnt lgkmcnt(0)
	global_store_dwordx2 v[4:5], v[0:1], off
.LBB151_53:
	s_or_b64 exec, exec, s[0:1]
	s_and_saveexec_b64 s[0:1], s[6:7]
	s_cbranch_execz .LBB151_39
.LBB151_54:
	s_add_u32 s0, s42, s28
	s_addc_u32 s1, s43, s29
	v_mov_b32_e32 v9, 0
	s_waitcnt lgkmcnt(0)
	v_lshl_add_u64 v[0:1], s[0:1], 0, v[8:9]
	v_add_co_u32_e32 v0, vcc, 0x1000, v0
	s_nop 1
	v_addc_co_u32_e32 v1, vcc, 0, v1, vcc
	global_store_dwordx2 v[0:1], v[2:3], off offset:2048
	s_endpgm
.LBB151_55:
	global_load_dwordx2 v[42:43], v[16:17], off
	s_or_b64 exec, exec, s[8:9]
	s_and_saveexec_b64 s[8:9], s[2:3]
	s_cbranch_execz .LBB151_13
.LBB151_56:
	global_load_dwordx2 v[44:45], v[16:17], off offset:512
	s_or_b64 exec, exec, s[8:9]
                                        ; implicit-def: $vgpr46_vgpr47
	s_and_saveexec_b64 s[2:3], s[4:5]
	s_cbranch_execnz .LBB151_14
	s_branch .LBB151_15
.LBB151_57:
	s_waitcnt lgkmcnt(1)
	global_store_dwordx2 v[10:11], v[4:5], off
	s_or_b64 exec, exec, s[8:9]
	s_and_saveexec_b64 s[0:1], s[2:3]
	s_cbranch_execz .LBB151_51
.LBB151_58:
	s_waitcnt lgkmcnt(1)
	global_store_dwordx2 v[10:11], v[6:7], off offset:2048
	s_or_b64 exec, exec, s[0:1]
	s_and_saveexec_b64 s[0:1], s[4:5]
	s_cbranch_execnz .LBB151_52
	s_branch .LBB151_53
	.section	.rodata,"a",@progbits
	.p2align	6, 0x0
	.amdhsa_kernel _ZN7rocprim17ROCPRIM_304000_NS6detail28radix_sort_block_sort_kernelINS1_36wrapped_radix_sort_block_sort_configINS0_13kernel_configILj256ELj4ELj4294967295EEEdN2at4cuda3cub6detail10OpaqueTypeILi8EEEEELb0EPKdPdPKSB_PSB_NS0_19identity_decomposerEEEvT1_T2_T3_T4_jT5_jj
		.amdhsa_group_segment_fixed_size 8192
		.amdhsa_private_segment_fixed_size 0
		.amdhsa_kernarg_size 304
		.amdhsa_user_sgpr_count 2
		.amdhsa_user_sgpr_dispatch_ptr 0
		.amdhsa_user_sgpr_queue_ptr 0
		.amdhsa_user_sgpr_kernarg_segment_ptr 1
		.amdhsa_user_sgpr_dispatch_id 0
		.amdhsa_user_sgpr_kernarg_preload_length 0
		.amdhsa_user_sgpr_kernarg_preload_offset 0
		.amdhsa_user_sgpr_private_segment_size 0
		.amdhsa_uses_dynamic_stack 0
		.amdhsa_enable_private_segment 0
		.amdhsa_system_sgpr_workgroup_id_x 1
		.amdhsa_system_sgpr_workgroup_id_y 0
		.amdhsa_system_sgpr_workgroup_id_z 0
		.amdhsa_system_sgpr_workgroup_info 0
		.amdhsa_system_vgpr_workitem_id 2
		.amdhsa_next_free_vgpr 50
		.amdhsa_next_free_sgpr 46
		.amdhsa_accum_offset 52
		.amdhsa_reserve_vcc 1
		.amdhsa_float_round_mode_32 0
		.amdhsa_float_round_mode_16_64 0
		.amdhsa_float_denorm_mode_32 3
		.amdhsa_float_denorm_mode_16_64 3
		.amdhsa_dx10_clamp 1
		.amdhsa_ieee_mode 1
		.amdhsa_fp16_overflow 0
		.amdhsa_tg_split 0
		.amdhsa_exception_fp_ieee_invalid_op 0
		.amdhsa_exception_fp_denorm_src 0
		.amdhsa_exception_fp_ieee_div_zero 0
		.amdhsa_exception_fp_ieee_overflow 0
		.amdhsa_exception_fp_ieee_underflow 0
		.amdhsa_exception_fp_ieee_inexact 0
		.amdhsa_exception_int_div_zero 0
	.end_amdhsa_kernel
	.section	.text._ZN7rocprim17ROCPRIM_304000_NS6detail28radix_sort_block_sort_kernelINS1_36wrapped_radix_sort_block_sort_configINS0_13kernel_configILj256ELj4ELj4294967295EEEdN2at4cuda3cub6detail10OpaqueTypeILi8EEEEELb0EPKdPdPKSB_PSB_NS0_19identity_decomposerEEEvT1_T2_T3_T4_jT5_jj,"axG",@progbits,_ZN7rocprim17ROCPRIM_304000_NS6detail28radix_sort_block_sort_kernelINS1_36wrapped_radix_sort_block_sort_configINS0_13kernel_configILj256ELj4ELj4294967295EEEdN2at4cuda3cub6detail10OpaqueTypeILi8EEEEELb0EPKdPdPKSB_PSB_NS0_19identity_decomposerEEEvT1_T2_T3_T4_jT5_jj,comdat
.Lfunc_end151:
	.size	_ZN7rocprim17ROCPRIM_304000_NS6detail28radix_sort_block_sort_kernelINS1_36wrapped_radix_sort_block_sort_configINS0_13kernel_configILj256ELj4ELj4294967295EEEdN2at4cuda3cub6detail10OpaqueTypeILi8EEEEELb0EPKdPdPKSB_PSB_NS0_19identity_decomposerEEEvT1_T2_T3_T4_jT5_jj, .Lfunc_end151-_ZN7rocprim17ROCPRIM_304000_NS6detail28radix_sort_block_sort_kernelINS1_36wrapped_radix_sort_block_sort_configINS0_13kernel_configILj256ELj4ELj4294967295EEEdN2at4cuda3cub6detail10OpaqueTypeILi8EEEEELb0EPKdPdPKSB_PSB_NS0_19identity_decomposerEEEvT1_T2_T3_T4_jT5_jj
                                        ; -- End function
	.set _ZN7rocprim17ROCPRIM_304000_NS6detail28radix_sort_block_sort_kernelINS1_36wrapped_radix_sort_block_sort_configINS0_13kernel_configILj256ELj4ELj4294967295EEEdN2at4cuda3cub6detail10OpaqueTypeILi8EEEEELb0EPKdPdPKSB_PSB_NS0_19identity_decomposerEEEvT1_T2_T3_T4_jT5_jj.num_vgpr, 50
	.set _ZN7rocprim17ROCPRIM_304000_NS6detail28radix_sort_block_sort_kernelINS1_36wrapped_radix_sort_block_sort_configINS0_13kernel_configILj256ELj4ELj4294967295EEEdN2at4cuda3cub6detail10OpaqueTypeILi8EEEEELb0EPKdPdPKSB_PSB_NS0_19identity_decomposerEEEvT1_T2_T3_T4_jT5_jj.num_agpr, 0
	.set _ZN7rocprim17ROCPRIM_304000_NS6detail28radix_sort_block_sort_kernelINS1_36wrapped_radix_sort_block_sort_configINS0_13kernel_configILj256ELj4ELj4294967295EEEdN2at4cuda3cub6detail10OpaqueTypeILi8EEEEELb0EPKdPdPKSB_PSB_NS0_19identity_decomposerEEEvT1_T2_T3_T4_jT5_jj.numbered_sgpr, 46
	.set _ZN7rocprim17ROCPRIM_304000_NS6detail28radix_sort_block_sort_kernelINS1_36wrapped_radix_sort_block_sort_configINS0_13kernel_configILj256ELj4ELj4294967295EEEdN2at4cuda3cub6detail10OpaqueTypeILi8EEEEELb0EPKdPdPKSB_PSB_NS0_19identity_decomposerEEEvT1_T2_T3_T4_jT5_jj.num_named_barrier, 0
	.set _ZN7rocprim17ROCPRIM_304000_NS6detail28radix_sort_block_sort_kernelINS1_36wrapped_radix_sort_block_sort_configINS0_13kernel_configILj256ELj4ELj4294967295EEEdN2at4cuda3cub6detail10OpaqueTypeILi8EEEEELb0EPKdPdPKSB_PSB_NS0_19identity_decomposerEEEvT1_T2_T3_T4_jT5_jj.private_seg_size, 0
	.set _ZN7rocprim17ROCPRIM_304000_NS6detail28radix_sort_block_sort_kernelINS1_36wrapped_radix_sort_block_sort_configINS0_13kernel_configILj256ELj4ELj4294967295EEEdN2at4cuda3cub6detail10OpaqueTypeILi8EEEEELb0EPKdPdPKSB_PSB_NS0_19identity_decomposerEEEvT1_T2_T3_T4_jT5_jj.uses_vcc, 1
	.set _ZN7rocprim17ROCPRIM_304000_NS6detail28radix_sort_block_sort_kernelINS1_36wrapped_radix_sort_block_sort_configINS0_13kernel_configILj256ELj4ELj4294967295EEEdN2at4cuda3cub6detail10OpaqueTypeILi8EEEEELb0EPKdPdPKSB_PSB_NS0_19identity_decomposerEEEvT1_T2_T3_T4_jT5_jj.uses_flat_scratch, 0
	.set _ZN7rocprim17ROCPRIM_304000_NS6detail28radix_sort_block_sort_kernelINS1_36wrapped_radix_sort_block_sort_configINS0_13kernel_configILj256ELj4ELj4294967295EEEdN2at4cuda3cub6detail10OpaqueTypeILi8EEEEELb0EPKdPdPKSB_PSB_NS0_19identity_decomposerEEEvT1_T2_T3_T4_jT5_jj.has_dyn_sized_stack, 0
	.set _ZN7rocprim17ROCPRIM_304000_NS6detail28radix_sort_block_sort_kernelINS1_36wrapped_radix_sort_block_sort_configINS0_13kernel_configILj256ELj4ELj4294967295EEEdN2at4cuda3cub6detail10OpaqueTypeILi8EEEEELb0EPKdPdPKSB_PSB_NS0_19identity_decomposerEEEvT1_T2_T3_T4_jT5_jj.has_recursion, 0
	.set _ZN7rocprim17ROCPRIM_304000_NS6detail28radix_sort_block_sort_kernelINS1_36wrapped_radix_sort_block_sort_configINS0_13kernel_configILj256ELj4ELj4294967295EEEdN2at4cuda3cub6detail10OpaqueTypeILi8EEEEELb0EPKdPdPKSB_PSB_NS0_19identity_decomposerEEEvT1_T2_T3_T4_jT5_jj.has_indirect_call, 0
	.section	.AMDGPU.csdata,"",@progbits
; Kernel info:
; codeLenInByte = 4136
; TotalNumSgprs: 52
; NumVgprs: 50
; NumAgprs: 0
; TotalNumVgprs: 50
; ScratchSize: 0
; MemoryBound: 1
; FloatMode: 240
; IeeeMode: 1
; LDSByteSize: 8192 bytes/workgroup (compile time only)
; SGPRBlocks: 6
; VGPRBlocks: 6
; NumSGPRsForWavesPerEU: 52
; NumVGPRsForWavesPerEU: 50
; AccumOffset: 52
; Occupancy: 8
; WaveLimiterHint : 1
; COMPUTE_PGM_RSRC2:SCRATCH_EN: 0
; COMPUTE_PGM_RSRC2:USER_SGPR: 2
; COMPUTE_PGM_RSRC2:TRAP_HANDLER: 0
; COMPUTE_PGM_RSRC2:TGID_X_EN: 1
; COMPUTE_PGM_RSRC2:TGID_Y_EN: 0
; COMPUTE_PGM_RSRC2:TGID_Z_EN: 0
; COMPUTE_PGM_RSRC2:TIDIG_COMP_CNT: 2
; COMPUTE_PGM_RSRC3_GFX90A:ACCUM_OFFSET: 12
; COMPUTE_PGM_RSRC3_GFX90A:TG_SPLIT: 0
	.section	.text._ZN7rocprim17ROCPRIM_304000_NS6detail45device_block_merge_mergepath_partition_kernelINS1_37wrapped_merge_sort_block_merge_configINS0_14default_configEdN2at4cuda3cub6detail10OpaqueTypeILi8EEEEEPdjNS1_19radix_merge_compareILb0ELb0EdNS0_19identity_decomposerEEEEEvT0_T1_jPSH_T2_SH_,"axG",@progbits,_ZN7rocprim17ROCPRIM_304000_NS6detail45device_block_merge_mergepath_partition_kernelINS1_37wrapped_merge_sort_block_merge_configINS0_14default_configEdN2at4cuda3cub6detail10OpaqueTypeILi8EEEEEPdjNS1_19radix_merge_compareILb0ELb0EdNS0_19identity_decomposerEEEEEvT0_T1_jPSH_T2_SH_,comdat
	.protected	_ZN7rocprim17ROCPRIM_304000_NS6detail45device_block_merge_mergepath_partition_kernelINS1_37wrapped_merge_sort_block_merge_configINS0_14default_configEdN2at4cuda3cub6detail10OpaqueTypeILi8EEEEEPdjNS1_19radix_merge_compareILb0ELb0EdNS0_19identity_decomposerEEEEEvT0_T1_jPSH_T2_SH_ ; -- Begin function _ZN7rocprim17ROCPRIM_304000_NS6detail45device_block_merge_mergepath_partition_kernelINS1_37wrapped_merge_sort_block_merge_configINS0_14default_configEdN2at4cuda3cub6detail10OpaqueTypeILi8EEEEEPdjNS1_19radix_merge_compareILb0ELb0EdNS0_19identity_decomposerEEEEEvT0_T1_jPSH_T2_SH_
	.globl	_ZN7rocprim17ROCPRIM_304000_NS6detail45device_block_merge_mergepath_partition_kernelINS1_37wrapped_merge_sort_block_merge_configINS0_14default_configEdN2at4cuda3cub6detail10OpaqueTypeILi8EEEEEPdjNS1_19radix_merge_compareILb0ELb0EdNS0_19identity_decomposerEEEEEvT0_T1_jPSH_T2_SH_
	.p2align	8
	.type	_ZN7rocprim17ROCPRIM_304000_NS6detail45device_block_merge_mergepath_partition_kernelINS1_37wrapped_merge_sort_block_merge_configINS0_14default_configEdN2at4cuda3cub6detail10OpaqueTypeILi8EEEEEPdjNS1_19radix_merge_compareILb0ELb0EdNS0_19identity_decomposerEEEEEvT0_T1_jPSH_T2_SH_,@function
_ZN7rocprim17ROCPRIM_304000_NS6detail45device_block_merge_mergepath_partition_kernelINS1_37wrapped_merge_sort_block_merge_configINS0_14default_configEdN2at4cuda3cub6detail10OpaqueTypeILi8EEEEEPdjNS1_19radix_merge_compareILb0ELb0EdNS0_19identity_decomposerEEEEEvT0_T1_jPSH_T2_SH_: ; @_ZN7rocprim17ROCPRIM_304000_NS6detail45device_block_merge_mergepath_partition_kernelINS1_37wrapped_merge_sort_block_merge_configINS0_14default_configEdN2at4cuda3cub6detail10OpaqueTypeILi8EEEEEPdjNS1_19radix_merge_compareILb0ELb0EdNS0_19identity_decomposerEEEEEvT0_T1_jPSH_T2_SH_
; %bb.0:
	s_load_dwordx2 s[4:5], s[0:1], 0x8
	v_lshl_or_b32 v0, s2, 7, v0
	s_waitcnt lgkmcnt(0)
	v_cmp_gt_u32_e32 vcc, s5, v0
	s_and_saveexec_b64 s[2:3], vcc
	s_cbranch_execz .LBB152_6
; %bb.1:
	s_load_dword s3, s[0:1], 0x1c
	s_mov_b32 s2, 0
	s_waitcnt lgkmcnt(0)
	s_lshr_b32 s5, s3, 9
	s_and_b32 s5, s5, 0x7ffffe
	s_add_i32 s6, s5, -1
	s_sub_i32 s5, 0, s5
	v_and_b32_e32 v1, s5, v0
	v_lshlrev_b32_e32 v1, 10, v1
	v_min_u32_e32 v2, s4, v1
	v_add_u32_e32 v1, s3, v1
	v_min_u32_e32 v4, s4, v1
	v_add_u32_e32 v1, s3, v4
	v_and_b32_e32 v3, s6, v0
	v_min_u32_e32 v1, s4, v1
	v_sub_u32_e32 v5, v1, v2
	v_lshlrev_b32_e32 v3, 10, v3
	v_min_u32_e32 v10, v5, v3
	v_sub_u32_e32 v3, v4, v2
	v_sub_u32_e32 v1, v1, v4
	v_sub_u32_e64 v1, v10, v1 clamp
	v_min_u32_e32 v11, v10, v3
	v_cmp_lt_u32_e32 vcc, v1, v11
	s_and_saveexec_b64 s[4:5], vcc
	s_cbranch_execz .LBB152_5
; %bb.2:
	s_load_dwordx2 s[8:9], s[0:1], 0x0
	v_mov_b32_e32 v5, 0
	v_mov_b32_e32 v3, v5
	s_mov_b64 s[6:7], 0
	s_brev_b32 s3, 1
	s_waitcnt lgkmcnt(0)
	v_lshl_add_u64 v[6:7], v[2:3], 3, s[8:9]
	v_lshl_add_u64 v[8:9], v[4:5], 3, s[8:9]
	v_bfrev_b32_e32 v3, 1
.LBB152_3:                              ; =>This Inner Loop Header: Depth=1
	v_add_u32_e32 v4, v11, v1
	v_lshrrev_b32_e32 v4, 1, v4
	v_mov_b32_e32 v13, v5
	v_xad_u32 v12, v4, -1, v10
	v_lshl_add_u64 v[14:15], v[4:5], 3, v[6:7]
	global_load_dwordx2 v[14:15], v[14:15], off
	v_lshl_add_u64 v[12:13], v[12:13], 3, v[8:9]
	global_load_dwordx2 v[12:13], v[12:13], off
	v_add_u32_e32 v16, 1, v4
	s_waitcnt vmcnt(1)
	v_cmp_ne_u64_e32 vcc, s[2:3], v[14:15]
	s_nop 1
	v_cndmask_b32_e32 v15, 0, v15, vcc
	v_cndmask_b32_e32 v14, 0, v14, vcc
	s_waitcnt vmcnt(0)
	v_cmp_ne_u64_e32 vcc, s[2:3], v[12:13]
	v_ashrrev_i32_e32 v17, 31, v15
	s_nop 0
	v_cndmask_b32_e32 v13, 0, v13, vcc
	v_cndmask_b32_e32 v12, 0, v12, vcc
	v_cmp_lt_i64_e32 vcc, -1, v[14:15]
	v_xor_b32_e32 v14, v17, v14
	v_ashrrev_i32_e32 v17, 31, v13
	v_cndmask_b32_e32 v18, -1, v3, vcc
	v_cmp_lt_i64_e32 vcc, -1, v[12:13]
	v_xor_b32_e32 v15, v18, v15
	v_xor_b32_e32 v12, v17, v12
	v_cndmask_b32_e32 v18, -1, v3, vcc
	v_xor_b32_e32 v13, v18, v13
	v_cmp_gt_u64_e32 vcc, v[14:15], v[12:13]
	s_nop 1
	v_cndmask_b32_e32 v11, v11, v4, vcc
	v_cndmask_b32_e32 v1, v16, v1, vcc
	v_cmp_ge_u32_e32 vcc, v1, v11
	s_or_b64 s[6:7], vcc, s[6:7]
	s_andn2_b64 exec, exec, s[6:7]
	s_cbranch_execnz .LBB152_3
; %bb.4:
	s_or_b64 exec, exec, s[6:7]
.LBB152_5:
	s_or_b64 exec, exec, s[4:5]
	s_load_dwordx2 s[0:1], s[0:1], 0x10
	v_add_u32_e32 v2, v1, v2
	v_mov_b32_e32 v1, 0
	s_waitcnt lgkmcnt(0)
	v_lshl_add_u64 v[0:1], v[0:1], 2, s[0:1]
	global_store_dword v[0:1], v2, off
.LBB152_6:
	s_endpgm
	.section	.rodata,"a",@progbits
	.p2align	6, 0x0
	.amdhsa_kernel _ZN7rocprim17ROCPRIM_304000_NS6detail45device_block_merge_mergepath_partition_kernelINS1_37wrapped_merge_sort_block_merge_configINS0_14default_configEdN2at4cuda3cub6detail10OpaqueTypeILi8EEEEEPdjNS1_19radix_merge_compareILb0ELb0EdNS0_19identity_decomposerEEEEEvT0_T1_jPSH_T2_SH_
		.amdhsa_group_segment_fixed_size 0
		.amdhsa_private_segment_fixed_size 0
		.amdhsa_kernarg_size 32
		.amdhsa_user_sgpr_count 2
		.amdhsa_user_sgpr_dispatch_ptr 0
		.amdhsa_user_sgpr_queue_ptr 0
		.amdhsa_user_sgpr_kernarg_segment_ptr 1
		.amdhsa_user_sgpr_dispatch_id 0
		.amdhsa_user_sgpr_kernarg_preload_length 0
		.amdhsa_user_sgpr_kernarg_preload_offset 0
		.amdhsa_user_sgpr_private_segment_size 0
		.amdhsa_uses_dynamic_stack 0
		.amdhsa_enable_private_segment 0
		.amdhsa_system_sgpr_workgroup_id_x 1
		.amdhsa_system_sgpr_workgroup_id_y 0
		.amdhsa_system_sgpr_workgroup_id_z 0
		.amdhsa_system_sgpr_workgroup_info 0
		.amdhsa_system_vgpr_workitem_id 0
		.amdhsa_next_free_vgpr 19
		.amdhsa_next_free_sgpr 10
		.amdhsa_accum_offset 20
		.amdhsa_reserve_vcc 1
		.amdhsa_float_round_mode_32 0
		.amdhsa_float_round_mode_16_64 0
		.amdhsa_float_denorm_mode_32 3
		.amdhsa_float_denorm_mode_16_64 3
		.amdhsa_dx10_clamp 1
		.amdhsa_ieee_mode 1
		.amdhsa_fp16_overflow 0
		.amdhsa_tg_split 0
		.amdhsa_exception_fp_ieee_invalid_op 0
		.amdhsa_exception_fp_denorm_src 0
		.amdhsa_exception_fp_ieee_div_zero 0
		.amdhsa_exception_fp_ieee_overflow 0
		.amdhsa_exception_fp_ieee_underflow 0
		.amdhsa_exception_fp_ieee_inexact 0
		.amdhsa_exception_int_div_zero 0
	.end_amdhsa_kernel
	.section	.text._ZN7rocprim17ROCPRIM_304000_NS6detail45device_block_merge_mergepath_partition_kernelINS1_37wrapped_merge_sort_block_merge_configINS0_14default_configEdN2at4cuda3cub6detail10OpaqueTypeILi8EEEEEPdjNS1_19radix_merge_compareILb0ELb0EdNS0_19identity_decomposerEEEEEvT0_T1_jPSH_T2_SH_,"axG",@progbits,_ZN7rocprim17ROCPRIM_304000_NS6detail45device_block_merge_mergepath_partition_kernelINS1_37wrapped_merge_sort_block_merge_configINS0_14default_configEdN2at4cuda3cub6detail10OpaqueTypeILi8EEEEEPdjNS1_19radix_merge_compareILb0ELb0EdNS0_19identity_decomposerEEEEEvT0_T1_jPSH_T2_SH_,comdat
.Lfunc_end152:
	.size	_ZN7rocprim17ROCPRIM_304000_NS6detail45device_block_merge_mergepath_partition_kernelINS1_37wrapped_merge_sort_block_merge_configINS0_14default_configEdN2at4cuda3cub6detail10OpaqueTypeILi8EEEEEPdjNS1_19radix_merge_compareILb0ELb0EdNS0_19identity_decomposerEEEEEvT0_T1_jPSH_T2_SH_, .Lfunc_end152-_ZN7rocprim17ROCPRIM_304000_NS6detail45device_block_merge_mergepath_partition_kernelINS1_37wrapped_merge_sort_block_merge_configINS0_14default_configEdN2at4cuda3cub6detail10OpaqueTypeILi8EEEEEPdjNS1_19radix_merge_compareILb0ELb0EdNS0_19identity_decomposerEEEEEvT0_T1_jPSH_T2_SH_
                                        ; -- End function
	.set _ZN7rocprim17ROCPRIM_304000_NS6detail45device_block_merge_mergepath_partition_kernelINS1_37wrapped_merge_sort_block_merge_configINS0_14default_configEdN2at4cuda3cub6detail10OpaqueTypeILi8EEEEEPdjNS1_19radix_merge_compareILb0ELb0EdNS0_19identity_decomposerEEEEEvT0_T1_jPSH_T2_SH_.num_vgpr, 19
	.set _ZN7rocprim17ROCPRIM_304000_NS6detail45device_block_merge_mergepath_partition_kernelINS1_37wrapped_merge_sort_block_merge_configINS0_14default_configEdN2at4cuda3cub6detail10OpaqueTypeILi8EEEEEPdjNS1_19radix_merge_compareILb0ELb0EdNS0_19identity_decomposerEEEEEvT0_T1_jPSH_T2_SH_.num_agpr, 0
	.set _ZN7rocprim17ROCPRIM_304000_NS6detail45device_block_merge_mergepath_partition_kernelINS1_37wrapped_merge_sort_block_merge_configINS0_14default_configEdN2at4cuda3cub6detail10OpaqueTypeILi8EEEEEPdjNS1_19radix_merge_compareILb0ELb0EdNS0_19identity_decomposerEEEEEvT0_T1_jPSH_T2_SH_.numbered_sgpr, 10
	.set _ZN7rocprim17ROCPRIM_304000_NS6detail45device_block_merge_mergepath_partition_kernelINS1_37wrapped_merge_sort_block_merge_configINS0_14default_configEdN2at4cuda3cub6detail10OpaqueTypeILi8EEEEEPdjNS1_19radix_merge_compareILb0ELb0EdNS0_19identity_decomposerEEEEEvT0_T1_jPSH_T2_SH_.num_named_barrier, 0
	.set _ZN7rocprim17ROCPRIM_304000_NS6detail45device_block_merge_mergepath_partition_kernelINS1_37wrapped_merge_sort_block_merge_configINS0_14default_configEdN2at4cuda3cub6detail10OpaqueTypeILi8EEEEEPdjNS1_19radix_merge_compareILb0ELb0EdNS0_19identity_decomposerEEEEEvT0_T1_jPSH_T2_SH_.private_seg_size, 0
	.set _ZN7rocprim17ROCPRIM_304000_NS6detail45device_block_merge_mergepath_partition_kernelINS1_37wrapped_merge_sort_block_merge_configINS0_14default_configEdN2at4cuda3cub6detail10OpaqueTypeILi8EEEEEPdjNS1_19radix_merge_compareILb0ELb0EdNS0_19identity_decomposerEEEEEvT0_T1_jPSH_T2_SH_.uses_vcc, 1
	.set _ZN7rocprim17ROCPRIM_304000_NS6detail45device_block_merge_mergepath_partition_kernelINS1_37wrapped_merge_sort_block_merge_configINS0_14default_configEdN2at4cuda3cub6detail10OpaqueTypeILi8EEEEEPdjNS1_19radix_merge_compareILb0ELb0EdNS0_19identity_decomposerEEEEEvT0_T1_jPSH_T2_SH_.uses_flat_scratch, 0
	.set _ZN7rocprim17ROCPRIM_304000_NS6detail45device_block_merge_mergepath_partition_kernelINS1_37wrapped_merge_sort_block_merge_configINS0_14default_configEdN2at4cuda3cub6detail10OpaqueTypeILi8EEEEEPdjNS1_19radix_merge_compareILb0ELb0EdNS0_19identity_decomposerEEEEEvT0_T1_jPSH_T2_SH_.has_dyn_sized_stack, 0
	.set _ZN7rocprim17ROCPRIM_304000_NS6detail45device_block_merge_mergepath_partition_kernelINS1_37wrapped_merge_sort_block_merge_configINS0_14default_configEdN2at4cuda3cub6detail10OpaqueTypeILi8EEEEEPdjNS1_19radix_merge_compareILb0ELb0EdNS0_19identity_decomposerEEEEEvT0_T1_jPSH_T2_SH_.has_recursion, 0
	.set _ZN7rocprim17ROCPRIM_304000_NS6detail45device_block_merge_mergepath_partition_kernelINS1_37wrapped_merge_sort_block_merge_configINS0_14default_configEdN2at4cuda3cub6detail10OpaqueTypeILi8EEEEEPdjNS1_19radix_merge_compareILb0ELb0EdNS0_19identity_decomposerEEEEEvT0_T1_jPSH_T2_SH_.has_indirect_call, 0
	.section	.AMDGPU.csdata,"",@progbits
; Kernel info:
; codeLenInByte = 408
; TotalNumSgprs: 16
; NumVgprs: 19
; NumAgprs: 0
; TotalNumVgprs: 19
; ScratchSize: 0
; MemoryBound: 0
; FloatMode: 240
; IeeeMode: 1
; LDSByteSize: 0 bytes/workgroup (compile time only)
; SGPRBlocks: 1
; VGPRBlocks: 2
; NumSGPRsForWavesPerEU: 16
; NumVGPRsForWavesPerEU: 19
; AccumOffset: 20
; Occupancy: 8
; WaveLimiterHint : 0
; COMPUTE_PGM_RSRC2:SCRATCH_EN: 0
; COMPUTE_PGM_RSRC2:USER_SGPR: 2
; COMPUTE_PGM_RSRC2:TRAP_HANDLER: 0
; COMPUTE_PGM_RSRC2:TGID_X_EN: 1
; COMPUTE_PGM_RSRC2:TGID_Y_EN: 0
; COMPUTE_PGM_RSRC2:TGID_Z_EN: 0
; COMPUTE_PGM_RSRC2:TIDIG_COMP_CNT: 0
; COMPUTE_PGM_RSRC3_GFX90A:ACCUM_OFFSET: 4
; COMPUTE_PGM_RSRC3_GFX90A:TG_SPLIT: 0
	.section	.text._ZN7rocprim17ROCPRIM_304000_NS6detail35device_block_merge_mergepath_kernelINS1_37wrapped_merge_sort_block_merge_configINS0_14default_configEdN2at4cuda3cub6detail10OpaqueTypeILi8EEEEEPdSC_PSA_SD_jNS1_19radix_merge_compareILb0ELb0EdNS0_19identity_decomposerEEEEEvT0_T1_T2_T3_T4_SL_jT5_PKSL_NS1_7vsmem_tE,"axG",@progbits,_ZN7rocprim17ROCPRIM_304000_NS6detail35device_block_merge_mergepath_kernelINS1_37wrapped_merge_sort_block_merge_configINS0_14default_configEdN2at4cuda3cub6detail10OpaqueTypeILi8EEEEEPdSC_PSA_SD_jNS1_19radix_merge_compareILb0ELb0EdNS0_19identity_decomposerEEEEEvT0_T1_T2_T3_T4_SL_jT5_PKSL_NS1_7vsmem_tE,comdat
	.protected	_ZN7rocprim17ROCPRIM_304000_NS6detail35device_block_merge_mergepath_kernelINS1_37wrapped_merge_sort_block_merge_configINS0_14default_configEdN2at4cuda3cub6detail10OpaqueTypeILi8EEEEEPdSC_PSA_SD_jNS1_19radix_merge_compareILb0ELb0EdNS0_19identity_decomposerEEEEEvT0_T1_T2_T3_T4_SL_jT5_PKSL_NS1_7vsmem_tE ; -- Begin function _ZN7rocprim17ROCPRIM_304000_NS6detail35device_block_merge_mergepath_kernelINS1_37wrapped_merge_sort_block_merge_configINS0_14default_configEdN2at4cuda3cub6detail10OpaqueTypeILi8EEEEEPdSC_PSA_SD_jNS1_19radix_merge_compareILb0ELb0EdNS0_19identity_decomposerEEEEEvT0_T1_T2_T3_T4_SL_jT5_PKSL_NS1_7vsmem_tE
	.globl	_ZN7rocprim17ROCPRIM_304000_NS6detail35device_block_merge_mergepath_kernelINS1_37wrapped_merge_sort_block_merge_configINS0_14default_configEdN2at4cuda3cub6detail10OpaqueTypeILi8EEEEEPdSC_PSA_SD_jNS1_19radix_merge_compareILb0ELb0EdNS0_19identity_decomposerEEEEEvT0_T1_T2_T3_T4_SL_jT5_PKSL_NS1_7vsmem_tE
	.p2align	8
	.type	_ZN7rocprim17ROCPRIM_304000_NS6detail35device_block_merge_mergepath_kernelINS1_37wrapped_merge_sort_block_merge_configINS0_14default_configEdN2at4cuda3cub6detail10OpaqueTypeILi8EEEEEPdSC_PSA_SD_jNS1_19radix_merge_compareILb0ELb0EdNS0_19identity_decomposerEEEEEvT0_T1_T2_T3_T4_SL_jT5_PKSL_NS1_7vsmem_tE,@function
_ZN7rocprim17ROCPRIM_304000_NS6detail35device_block_merge_mergepath_kernelINS1_37wrapped_merge_sort_block_merge_configINS0_14default_configEdN2at4cuda3cub6detail10OpaqueTypeILi8EEEEEPdSC_PSA_SD_jNS1_19radix_merge_compareILb0ELb0EdNS0_19identity_decomposerEEEEEvT0_T1_T2_T3_T4_SL_jT5_PKSL_NS1_7vsmem_tE: ; @_ZN7rocprim17ROCPRIM_304000_NS6detail35device_block_merge_mergepath_kernelINS1_37wrapped_merge_sort_block_merge_configINS0_14default_configEdN2at4cuda3cub6detail10OpaqueTypeILi8EEEEEPdSC_PSA_SD_jNS1_19radix_merge_compareILb0ELb0EdNS0_19identity_decomposerEEEEEvT0_T1_T2_T3_T4_SL_jT5_PKSL_NS1_7vsmem_tE
; %bb.0:
	s_load_dwordx2 s[30:31], s[0:1], 0x40
	s_load_dwordx4 s[12:15], s[0:1], 0x20
	s_add_u32 s28, s0, 64
	s_addc_u32 s29, s1, 0
	s_waitcnt lgkmcnt(0)
	s_mul_i32 s4, s31, s4
	s_add_i32 s3, s4, s3
	s_mul_i32 s3, s3, s30
	s_add_i32 s26, s3, s2
	s_cmp_ge_u32 s26, s14
	s_cbranch_scc1 .LBB153_133
; %bb.1:
	s_load_dwordx8 s[4:11], s[0:1], 0x0
	s_load_dwordx2 s[14:15], s[0:1], 0x30
	s_lshr_b32 s31, s12, 10
	s_cmp_lg_u32 s26, s31
	s_mov_b32 s27, 0
	s_cselect_b64 s[16:17], -1, 0
	s_lshl_b64 s[0:1], s[26:27], 2
	s_waitcnt lgkmcnt(0)
	s_add_u32 s0, s14, s0
	s_addc_u32 s1, s15, s1
	s_load_dwordx2 s[18:19], s[0:1], 0x0
	s_lshr_b32 s0, s13, 9
	s_and_b32 s0, s0, 0x7ffffe
	s_sub_i32 s0, 0, s0
	s_and_b32 s1, s26, s0
	s_lshl_b32 s3, s1, 10
	s_lshl_b32 s14, s26, 10
	;; [unrolled: 1-line block ×3, first 2 shown]
	s_sub_i32 s15, s14, s3
	s_add_i32 s1, s1, s13
	s_add_i32 s15, s1, s15
	s_waitcnt lgkmcnt(0)
	s_sub_i32 s20, s15, s18
	s_sub_i32 s15, s15, s19
	;; [unrolled: 1-line block ×3, first 2 shown]
	s_min_u32 s20, s12, s20
	s_addk_i32 s15, 0x400
	s_or_b32 s0, s26, s0
	s_min_u32 s3, s12, s1
	s_add_i32 s1, s1, s13
	s_cmp_eq_u32 s0, -1
	s_cselect_b32 s0, s1, s15
	s_cselect_b32 s1, s3, s19
	s_min_u32 s0, s0, s12
	s_mov_b32 s19, s27
	s_sub_i32 s15, s1, s18
	s_sub_i32 s33, s0, s20
	s_lshl_b64 s[22:23], s[18:19], 3
	s_add_u32 s0, s4, s22
	s_mov_b32 s21, s27
	s_addc_u32 s1, s5, s23
	s_lshl_b64 s[24:25], s[20:21], 3
	s_add_u32 s4, s4, s24
	s_addc_u32 s5, s5, s25
	s_cmp_lt_u32 s2, s30
	v_mov_b32_e32 v19, 0
	s_cselect_b32 s2, 12, 18
	global_load_dword v1, v19, s[28:29] offset:14
	s_add_u32 s2, s28, s2
	s_addc_u32 s3, s29, 0
	global_load_ushort v2, v19, s[2:3]
	v_cmp_gt_u32_e32 vcc, s15, v0
	s_cmp_eq_u32 s26, s31
	v_lshlrev_b32_e32 v18, 3, v0
	s_waitcnt vmcnt(1)
	v_lshrrev_b32_e32 v3, 16, v1
	v_and_b32_e32 v1, 0xffff, v1
	v_mul_lo_u32 v1, v1, v3
	s_waitcnt vmcnt(0)
	v_mul_lo_u32 v1, v1, v2
	v_add_u32_e32 v20, v1, v0
	s_cbranch_scc1 .LBB153_3
; %bb.2:
	v_subrev_u32_e32 v4, s15, v0
	v_lshlrev_b32_e32 v4, 3, v4
	v_mov_b32_e32 v5, v19
	v_lshl_add_u64 v[2:3], s[0:1], 0, v[18:19]
	v_lshl_add_u64 v[4:5], s[4:5], 0, v[4:5]
	v_cndmask_b32_e32 v3, v5, v3, vcc
	v_cndmask_b32_e32 v2, v4, v2, vcc
	v_mov_b32_e32 v21, v19
	v_subrev_co_u32_e32 v6, vcc, s15, v20
	v_mov_b32_e32 v7, v19
	v_lshl_add_u64 v[4:5], v[20:21], 3, s[0:1]
	v_lshl_add_u64 v[6:7], v[6:7], 3, s[4:5]
	v_add_u32_e32 v8, v20, v1
	v_cndmask_b32_e32 v5, v7, v5, vcc
	v_cndmask_b32_e32 v4, v6, v4, vcc
	v_mov_b32_e32 v9, v19
	v_subrev_co_u32_e32 v10, vcc, s15, v8
	v_mov_b32_e32 v11, v19
	v_lshl_add_u64 v[6:7], v[8:9], 3, s[0:1]
	v_lshl_add_u64 v[10:11], v[10:11], 3, s[4:5]
	v_cndmask_b32_e32 v6, v10, v6, vcc
	v_add_u32_e32 v10, v8, v1
	v_cndmask_b32_e32 v7, v11, v7, vcc
	v_mov_b32_e32 v11, v19
	v_subrev_co_u32_e32 v12, vcc, s15, v10
	v_mov_b32_e32 v13, v19
	v_lshl_add_u64 v[8:9], v[10:11], 3, s[0:1]
	v_lshl_add_u64 v[12:13], v[12:13], 3, s[4:5]
	v_cndmask_b32_e32 v8, v12, v8, vcc
	v_add_u32_e32 v12, v10, v1
	v_cndmask_b32_e32 v9, v13, v9, vcc
	v_mov_b32_e32 v13, v19
	v_subrev_co_u32_e32 v14, vcc, s15, v12
	v_mov_b32_e32 v15, v19
	v_lshl_add_u64 v[10:11], v[12:13], 3, s[0:1]
	v_lshl_add_u64 v[14:15], v[14:15], 3, s[4:5]
	v_cndmask_b32_e32 v10, v14, v10, vcc
	v_add_u32_e32 v14, v12, v1
	v_cndmask_b32_e32 v11, v15, v11, vcc
	v_mov_b32_e32 v15, v19
	v_subrev_co_u32_e32 v16, vcc, s15, v14
	v_mov_b32_e32 v17, v19
	v_lshl_add_u64 v[12:13], v[14:15], 3, s[0:1]
	v_lshl_add_u64 v[16:17], v[16:17], 3, s[4:5]
	v_cndmask_b32_e32 v12, v16, v12, vcc
	v_add_u32_e32 v16, v14, v1
	v_cndmask_b32_e32 v13, v17, v13, vcc
	v_mov_b32_e32 v17, v19
	v_subrev_co_u32_e32 v22, vcc, s15, v16
	v_mov_b32_e32 v23, v19
	v_lshl_add_u64 v[14:15], v[16:17], 3, s[0:1]
	v_lshl_add_u64 v[22:23], v[22:23], 3, s[4:5]
	v_add_u32_e32 v16, v16, v1
	v_cndmask_b32_e32 v15, v23, v15, vcc
	v_cndmask_b32_e32 v14, v22, v14, vcc
	v_lshl_add_u64 v[22:23], v[16:17], 3, s[0:1]
	v_subrev_co_u32_e32 v16, vcc, s15, v16
	v_lshl_add_u64 v[16:17], v[16:17], 3, s[4:5]
	s_nop 0
	v_cndmask_b32_e32 v17, v17, v23, vcc
	v_cndmask_b32_e32 v16, v16, v22, vcc
	global_load_dwordx2 v[2:3], v[2:3], off
	s_add_i32 s13, s33, s15
	global_load_dwordx2 v[4:5], v[4:5], off
	s_nop 0
	global_load_dwordx2 v[6:7], v[6:7], off
	s_nop 0
	;; [unrolled: 2-line block ×6, first 2 shown]
	global_load_dwordx2 v[16:17], v[16:17], off
	s_cbranch_execz .LBB153_4
	s_branch .LBB153_21
.LBB153_3:
                                        ; implicit-def: $vgpr2_vgpr3_vgpr4_vgpr5_vgpr6_vgpr7_vgpr8_vgpr9_vgpr10_vgpr11_vgpr12_vgpr13_vgpr14_vgpr15_vgpr16_vgpr17
                                        ; implicit-def: $sgpr13
.LBB153_4:
	s_add_i32 s13, s33, s15
	s_waitcnt vmcnt(7)
	v_mov_b32_e32 v2, 0
	v_cmp_gt_u32_e32 vcc, s13, v0
	v_mov_b32_e32 v3, v2
	s_waitcnt vmcnt(6)
	v_mov_b32_e32 v4, v2
	v_mov_b32_e32 v5, v2
	s_waitcnt vmcnt(5)
	v_mov_b32_e32 v6, v2
	;; [unrolled: 3-line block ×7, first 2 shown]
	v_mov_b32_e32 v17, v2
	s_and_saveexec_b64 s[2:3], vcc
	s_cbranch_execz .LBB153_6
; %bb.5:
	v_subrev_u32_e32 v3, s15, v0
	v_mov_b32_e32 v19, v2
	v_lshlrev_b32_e32 v6, 3, v3
	v_mov_b32_e32 v7, v2
	v_lshl_add_u64 v[4:5], s[0:1], 0, v[18:19]
	v_lshl_add_u64 v[6:7], s[4:5], 0, v[6:7]
	v_cmp_gt_u32_e32 vcc, s15, v0
	v_mov_b32_e32 v24, v2
	v_mov_b32_e32 v25, v2
	v_cndmask_b32_e32 v5, v7, v5, vcc
	v_cndmask_b32_e32 v4, v6, v4, vcc
	global_load_dwordx2 v[22:23], v[4:5], off
	v_mov_b32_e32 v26, v2
	v_mov_b32_e32 v27, v2
	;; [unrolled: 1-line block ×12, first 2 shown]
	s_waitcnt vmcnt(0)
	v_mov_b64_e32 v[2:3], v[22:23]
	v_mov_b64_e32 v[4:5], v[24:25]
	;; [unrolled: 1-line block ×8, first 2 shown]
.LBB153_6:
	s_or_b64 exec, exec, s[2:3]
	v_cmp_gt_u32_e32 vcc, s13, v20
	s_and_saveexec_b64 s[2:3], vcc
	s_cbranch_execz .LBB153_8
; %bb.7:
	v_mov_b32_e32 v21, 0
	v_subrev_co_u32_e32 v22, vcc, s15, v20
	v_mov_b32_e32 v23, v21
	v_lshl_add_u64 v[4:5], v[20:21], 3, s[0:1]
	v_lshl_add_u64 v[22:23], v[22:23], 3, s[4:5]
	v_cndmask_b32_e32 v5, v23, v5, vcc
	v_cndmask_b32_e32 v4, v22, v4, vcc
	global_load_dwordx2 v[4:5], v[4:5], off
.LBB153_8:
	s_or_b64 exec, exec, s[2:3]
	v_add_u32_e32 v20, v20, v1
	v_cmp_gt_u32_e32 vcc, s13, v20
	s_and_saveexec_b64 s[2:3], vcc
	s_cbranch_execz .LBB153_10
; %bb.9:
	v_mov_b32_e32 v21, 0
	v_subrev_co_u32_e32 v22, vcc, s15, v20
	v_mov_b32_e32 v23, v21
	v_lshl_add_u64 v[6:7], v[20:21], 3, s[0:1]
	v_lshl_add_u64 v[22:23], v[22:23], 3, s[4:5]
	v_cndmask_b32_e32 v7, v23, v7, vcc
	v_cndmask_b32_e32 v6, v22, v6, vcc
	global_load_dwordx2 v[6:7], v[6:7], off
.LBB153_10:
	s_or_b64 exec, exec, s[2:3]
	v_add_u32_e32 v20, v20, v1
	;; [unrolled: 15-line block ×6, first 2 shown]
	v_cmp_gt_u32_e32 vcc, s13, v20
	s_and_saveexec_b64 s[2:3], vcc
	s_cbranch_execz .LBB153_20
; %bb.19:
	v_mov_b32_e32 v21, 0
	v_lshl_add_u64 v[16:17], v[20:21], 3, s[0:1]
	v_subrev_co_u32_e32 v20, vcc, s15, v20
	v_lshl_add_u64 v[20:21], v[20:21], 3, s[4:5]
	s_nop 0
	v_cndmask_b32_e32 v17, v21, v17, vcc
	v_cndmask_b32_e32 v16, v20, v16, vcc
	global_load_dwordx2 v[16:17], v[16:17], off
.LBB153_20:
	s_or_b64 exec, exec, s[2:3]
.LBB153_21:
	v_min_u32_e32 v1, s13, v18
	v_sub_u32_e64 v19, v1, s33 clamp
	v_min_u32_e32 v20, s15, v1
	v_cmp_lt_u32_e32 vcc, v19, v20
	s_waitcnt vmcnt(0)
	ds_write2st64_b64 v18, v[2:3], v[4:5] offset1:2
	ds_write2st64_b64 v18, v[6:7], v[8:9] offset0:4 offset1:6
	ds_write2st64_b64 v18, v[10:11], v[12:13] offset0:8 offset1:10
	;; [unrolled: 1-line block ×3, first 2 shown]
	s_waitcnt lgkmcnt(0)
	s_barrier
	s_and_saveexec_b64 s[0:1], vcc
	s_cbranch_execz .LBB153_25
; %bb.22:
	v_lshlrev_b32_e32 v21, 3, v1
	s_mov_b32 s4, 0
	v_lshl_add_u32 v21, s15, 3, v21
	s_mov_b64 s[2:3], 0
	s_brev_b32 s5, 1
	v_bfrev_b32_e32 v22, 1
.LBB153_23:                             ; =>This Inner Loop Header: Depth=1
	v_add_u32_e32 v23, v20, v19
	v_lshrrev_b32_e32 v23, 1, v23
	v_not_b32_e32 v26, v23
	v_lshlrev_b32_e32 v24, 3, v23
	ds_read_b64 v[24:25], v24
	v_lshl_add_u32 v26, v26, 3, v21
	ds_read_b64 v[26:27], v26
	v_add_u32_e32 v28, 1, v23
	s_waitcnt lgkmcnt(1)
	v_cmp_ne_u64_e32 vcc, s[4:5], v[24:25]
	s_nop 1
	v_cndmask_b32_e32 v25, 0, v25, vcc
	v_cndmask_b32_e32 v24, 0, v24, vcc
	s_waitcnt lgkmcnt(0)
	v_cmp_ne_u64_e32 vcc, s[4:5], v[26:27]
	v_ashrrev_i32_e32 v29, 31, v25
	s_nop 0
	v_cndmask_b32_e32 v27, 0, v27, vcc
	v_cndmask_b32_e32 v26, 0, v26, vcc
	v_cmp_lt_i64_e32 vcc, -1, v[24:25]
	v_xor_b32_e32 v24, v29, v24
	v_ashrrev_i32_e32 v29, 31, v27
	v_cndmask_b32_e32 v30, -1, v22, vcc
	v_cmp_lt_i64_e32 vcc, -1, v[26:27]
	v_xor_b32_e32 v25, v30, v25
	v_xor_b32_e32 v26, v29, v26
	v_cndmask_b32_e32 v30, -1, v22, vcc
	v_xor_b32_e32 v27, v30, v27
	v_cmp_gt_u64_e32 vcc, v[24:25], v[26:27]
	s_nop 1
	v_cndmask_b32_e32 v20, v20, v23, vcc
	v_cndmask_b32_e32 v19, v28, v19, vcc
	v_cmp_ge_u32_e32 vcc, v19, v20
	s_or_b64 s[2:3], vcc, s[2:3]
	s_andn2_b64 exec, exec, s[2:3]
	s_cbranch_execnz .LBB153_23
; %bb.24:
	s_or_b64 exec, exec, s[2:3]
.LBB153_25:
	s_or_b64 exec, exec, s[0:1]
	v_sub_u32_e32 v1, v1, v19
	v_add_u32_e32 v20, s15, v1
	v_cmp_ge_u32_e32 vcc, s15, v19
	v_cmp_ge_u32_e64 s[0:1], s13, v20
	s_or_b64 s[0:1], vcc, s[0:1]
	v_mov_b32_e32 v24, 0
	v_mov_b32_e32 v41, 0
	;; [unrolled: 1-line block ×8, first 2 shown]
	s_and_saveexec_b64 s[2:3], s[0:1]
	s_cbranch_execz .LBB153_61
; %bb.26:
	v_cmp_le_u32_e32 vcc, s15, v19
	v_cmp_gt_u32_e64 s[0:1], s15, v19
                                        ; implicit-def: $vgpr2_vgpr3
	s_and_saveexec_b64 s[4:5], s[0:1]
; %bb.27:
	v_lshlrev_b32_e32 v1, 3, v19
	ds_read_b64 v[2:3], v1
; %bb.28:
	s_or_b64 exec, exec, s[4:5]
	v_cmp_le_u32_e64 s[4:5], s13, v20
	v_cmp_gt_u32_e64 s[0:1], s13, v20
                                        ; implicit-def: $vgpr4_vgpr5
	s_and_saveexec_b64 s[26:27], s[0:1]
; %bb.29:
	v_lshlrev_b32_e32 v1, 3, v20
	ds_read_b64 v[4:5], v1
; %bb.30:
	s_or_b64 exec, exec, s[26:27]
	s_nor_b64 s[26:27], vcc, s[4:5]
	s_and_saveexec_b64 s[0:1], s[26:27]
	s_cbranch_execz .LBB153_32
; %bb.31:
	s_mov_b32 s26, 0
	s_brev_b32 s27, 1
	s_waitcnt lgkmcnt(0)
	v_cmp_ne_u64_e32 vcc, s[26:27], v[2:3]
	v_bfrev_b32_e32 v1, 1
	s_andn2_b64 s[4:5], s[4:5], exec
	v_cndmask_b32_e32 v7, 0, v3, vcc
	v_cndmask_b32_e32 v6, 0, v2, vcc
	v_cmp_ne_u64_e32 vcc, s[26:27], v[4:5]
	v_ashrrev_i32_e32 v11, 31, v7
	s_nop 0
	v_cndmask_b32_e32 v9, 0, v5, vcc
	v_cndmask_b32_e32 v8, 0, v4, vcc
	v_cmp_lt_i64_e32 vcc, -1, v[6:7]
	v_xor_b32_e32 v6, v11, v6
	s_nop 0
	v_cndmask_b32_e32 v10, -1, v1, vcc
	v_cmp_lt_i64_e32 vcc, -1, v[8:9]
	v_xor_b32_e32 v7, v10, v7
	v_ashrrev_i32_e32 v10, 31, v9
	v_cndmask_b32_e32 v1, -1, v1, vcc
	v_xor_b32_e32 v9, v1, v9
	v_xor_b32_e32 v8, v10, v8
	v_cmp_le_u64_e32 vcc, v[6:7], v[8:9]
	s_and_b64 s[26:27], vcc, exec
	s_or_b64 s[4:5], s[4:5], s[26:27]
.LBB153_32:
	s_or_b64 exec, exec, s[0:1]
	v_mov_b32_e32 v6, s13
	v_mov_b32_e32 v7, s15
	v_cndmask_b32_e64 v1, v20, v19, s[4:5]
	v_cndmask_b32_e64 v6, v6, v7, s[4:5]
	v_add_u32_e32 v10, 1, v1
	v_add_u32_e32 v6, -1, v6
	v_min_u32_e32 v6, v10, v6
	v_lshlrev_b32_e32 v6, 3, v6
	ds_read_b64 v[8:9], v6
	v_cndmask_b32_e64 v14, v10, v20, s[4:5]
	v_cndmask_b32_e64 v15, v19, v10, s[4:5]
	v_cmp_gt_u32_e32 vcc, s13, v14
	s_mov_b64 s[0:1], -1
	s_waitcnt lgkmcnt(0)
	v_cndmask_b32_e64 v7, v9, v5, s[4:5]
	v_cndmask_b32_e64 v6, v8, v4, s[4:5]
	;; [unrolled: 1-line block ×4, first 2 shown]
	s_mov_b64 s[26:27], -1
	s_and_saveexec_b64 s[28:29], vcc
	s_cbranch_execz .LBB153_36
; %bb.33:
	v_cmp_gt_u32_e32 vcc, s15, v15
	s_mov_b64 s[30:31], 0
	s_and_saveexec_b64 s[26:27], vcc
	s_cbranch_execz .LBB153_35
; %bb.34:
	s_mov_b32 s30, 0
	s_brev_b32 s31, 1
	v_cmp_ne_u64_e32 vcc, s[30:31], v[8:9]
	v_bfrev_b32_e32 v16, 1
	s_nop 0
	v_cndmask_b32_e32 v11, 0, v9, vcc
	v_cndmask_b32_e32 v10, 0, v8, vcc
	v_cmp_ne_u64_e32 vcc, s[30:31], v[6:7]
	v_ashrrev_i32_e32 v19, 31, v11
	s_nop 0
	v_cndmask_b32_e32 v13, 0, v7, vcc
	v_cndmask_b32_e32 v12, 0, v6, vcc
	v_cmp_lt_i64_e32 vcc, -1, v[10:11]
	v_xor_b32_e32 v10, v19, v10
	s_nop 0
	v_cndmask_b32_e32 v17, -1, v16, vcc
	v_cmp_lt_i64_e32 vcc, -1, v[12:13]
	v_xor_b32_e32 v11, v17, v11
	v_ashrrev_i32_e32 v17, 31, v13
	v_cndmask_b32_e32 v16, -1, v16, vcc
	v_xor_b32_e32 v13, v16, v13
	v_xor_b32_e32 v12, v17, v12
	v_cmp_le_u64_e32 vcc, v[10:11], v[12:13]
	s_and_b64 s[30:31], vcc, exec
.LBB153_35:
	s_or_b64 exec, exec, s[26:27]
	s_orn2_b64 s[26:27], s[30:31], exec
.LBB153_36:
	s_or_b64 exec, exec, s[28:29]
	v_mov_b32_e32 v10, s13
	v_mov_b32_e32 v11, s15
	v_cndmask_b32_e64 v36, v14, v15, s[26:27]
	v_cndmask_b32_e64 v10, v10, v11, s[26:27]
	v_add_u32_e32 v16, 1, v36
	v_add_u32_e32 v10, -1, v10
	v_min_u32_e32 v10, v16, v10
	v_lshlrev_b32_e32 v10, 3, v10
	ds_read_b64 v[12:13], v10
	v_cndmask_b32_e64 v19, v16, v14, s[26:27]
	v_cndmask_b32_e64 v20, v15, v16, s[26:27]
	v_cmp_gt_u32_e32 vcc, s13, v19
	s_waitcnt lgkmcnt(0)
	v_cndmask_b32_e64 v11, v13, v7, s[26:27]
	v_cndmask_b32_e64 v10, v12, v6, s[26:27]
	;; [unrolled: 1-line block ×4, first 2 shown]
	s_and_saveexec_b64 s[28:29], vcc
	s_cbranch_execz .LBB153_40
; %bb.37:
	v_cmp_gt_u32_e32 vcc, s15, v20
	s_mov_b64 s[30:31], 0
	s_and_saveexec_b64 s[0:1], vcc
	s_cbranch_execz .LBB153_39
; %bb.38:
	s_mov_b32 s30, 0
	s_brev_b32 s31, 1
	v_cmp_ne_u64_e32 vcc, s[30:31], v[12:13]
	v_bfrev_b32_e32 v21, 1
	s_nop 0
	v_cndmask_b32_e32 v15, 0, v13, vcc
	v_cndmask_b32_e32 v14, 0, v12, vcc
	v_cmp_ne_u64_e32 vcc, s[30:31], v[10:11]
	v_ashrrev_i32_e32 v23, 31, v15
	s_nop 0
	v_cndmask_b32_e32 v17, 0, v11, vcc
	v_cndmask_b32_e32 v16, 0, v10, vcc
	v_cmp_lt_i64_e32 vcc, -1, v[14:15]
	v_xor_b32_e32 v14, v23, v14
	s_nop 0
	v_cndmask_b32_e32 v22, -1, v21, vcc
	v_cmp_lt_i64_e32 vcc, -1, v[16:17]
	v_xor_b32_e32 v15, v22, v15
	v_ashrrev_i32_e32 v22, 31, v17
	v_cndmask_b32_e32 v21, -1, v21, vcc
	v_xor_b32_e32 v17, v21, v17
	v_xor_b32_e32 v16, v22, v16
	v_cmp_le_u64_e32 vcc, v[14:15], v[16:17]
	s_and_b64 s[30:31], vcc, exec
.LBB153_39:
	s_or_b64 exec, exec, s[0:1]
	s_orn2_b64 s[0:1], s[30:31], exec
.LBB153_40:
	s_or_b64 exec, exec, s[28:29]
	v_mov_b32_e32 v14, s13
	v_mov_b32_e32 v15, s15
	v_cndmask_b32_e64 v37, v19, v20, s[0:1]
	v_cndmask_b32_e64 v14, v14, v15, s[0:1]
	v_add_u32_e32 v21, 1, v37
	v_add_u32_e32 v14, -1, v14
	v_min_u32_e32 v14, v21, v14
	v_lshlrev_b32_e32 v14, 3, v14
	ds_read_b64 v[16:17], v14
	v_cndmask_b32_e64 v19, v21, v19, s[0:1]
	v_cndmask_b32_e64 v24, v20, v21, s[0:1]
	v_cmp_gt_u32_e32 vcc, s13, v19
	s_mov_b64 s[28:29], -1
	s_waitcnt lgkmcnt(0)
	v_cndmask_b32_e64 v15, v17, v11, s[0:1]
	v_cndmask_b32_e64 v14, v16, v10, s[0:1]
	;; [unrolled: 1-line block ×4, first 2 shown]
	s_mov_b64 s[30:31], -1
	s_and_saveexec_b64 s[34:35], vcc
	s_cbranch_execz .LBB153_44
; %bb.41:
	v_cmp_gt_u32_e32 vcc, s15, v24
	s_mov_b64 s[36:37], 0
	s_and_saveexec_b64 s[30:31], vcc
	s_cbranch_execz .LBB153_43
; %bb.42:
	s_mov_b32 s36, 0
	s_brev_b32 s37, 1
	v_cmp_ne_u64_e32 vcc, s[36:37], v[16:17]
	v_bfrev_b32_e32 v25, 1
	s_nop 0
	v_cndmask_b32_e32 v21, 0, v17, vcc
	v_cndmask_b32_e32 v20, 0, v16, vcc
	v_cmp_ne_u64_e32 vcc, s[36:37], v[14:15]
	v_ashrrev_i32_e32 v27, 31, v21
	s_nop 0
	v_cndmask_b32_e32 v23, 0, v15, vcc
	v_cndmask_b32_e32 v22, 0, v14, vcc
	v_cmp_lt_i64_e32 vcc, -1, v[20:21]
	v_xor_b32_e32 v20, v27, v20
	s_nop 0
	v_cndmask_b32_e32 v26, -1, v25, vcc
	v_cmp_lt_i64_e32 vcc, -1, v[22:23]
	v_xor_b32_e32 v21, v26, v21
	v_ashrrev_i32_e32 v26, 31, v23
	v_cndmask_b32_e32 v25, -1, v25, vcc
	v_xor_b32_e32 v23, v25, v23
	v_xor_b32_e32 v22, v26, v22
	v_cmp_le_u64_e32 vcc, v[20:21], v[22:23]
	s_and_b64 s[36:37], vcc, exec
.LBB153_43:
	s_or_b64 exec, exec, s[30:31]
	s_orn2_b64 s[30:31], s[36:37], exec
.LBB153_44:
	s_or_b64 exec, exec, s[34:35]
	v_mov_b32_e32 v20, s13
	v_mov_b32_e32 v21, s15
	v_cndmask_b32_e64 v38, v19, v24, s[30:31]
	v_cndmask_b32_e64 v20, v20, v21, s[30:31]
	v_add_u32_e32 v25, 1, v38
	v_add_u32_e32 v20, -1, v20
	v_min_u32_e32 v20, v25, v20
	v_lshlrev_b32_e32 v20, 3, v20
	ds_read_b64 v[22:23], v20
	v_cndmask_b32_e64 v19, v25, v19, s[30:31]
	v_cndmask_b32_e64 v28, v24, v25, s[30:31]
	v_cmp_gt_u32_e32 vcc, s13, v19
	s_waitcnt lgkmcnt(0)
	v_cndmask_b32_e64 v21, v23, v15, s[30:31]
	v_cndmask_b32_e64 v20, v22, v14, s[30:31]
	;; [unrolled: 1-line block ×4, first 2 shown]
	s_and_saveexec_b64 s[34:35], vcc
	s_cbranch_execz .LBB153_48
; %bb.45:
	v_cmp_gt_u32_e32 vcc, s15, v28
	s_mov_b64 s[36:37], 0
	s_and_saveexec_b64 s[28:29], vcc
	s_cbranch_execz .LBB153_47
; %bb.46:
	s_mov_b32 s36, 0
	s_brev_b32 s37, 1
	v_cmp_ne_u64_e32 vcc, s[36:37], v[22:23]
	v_bfrev_b32_e32 v29, 1
	s_nop 0
	v_cndmask_b32_e32 v25, 0, v23, vcc
	v_cndmask_b32_e32 v24, 0, v22, vcc
	v_cmp_ne_u64_e32 vcc, s[36:37], v[20:21]
	v_ashrrev_i32_e32 v31, 31, v25
	s_nop 0
	v_cndmask_b32_e32 v27, 0, v21, vcc
	v_cndmask_b32_e32 v26, 0, v20, vcc
	v_cmp_lt_i64_e32 vcc, -1, v[24:25]
	v_xor_b32_e32 v24, v31, v24
	s_nop 0
	v_cndmask_b32_e32 v30, -1, v29, vcc
	v_cmp_lt_i64_e32 vcc, -1, v[26:27]
	v_xor_b32_e32 v25, v30, v25
	v_ashrrev_i32_e32 v30, 31, v27
	v_cndmask_b32_e32 v29, -1, v29, vcc
	v_xor_b32_e32 v27, v29, v27
	v_xor_b32_e32 v26, v30, v26
	v_cmp_le_u64_e32 vcc, v[24:25], v[26:27]
	s_and_b64 s[36:37], vcc, exec
.LBB153_47:
	s_or_b64 exec, exec, s[28:29]
	s_orn2_b64 s[28:29], s[36:37], exec
.LBB153_48:
	s_or_b64 exec, exec, s[34:35]
	v_mov_b32_e32 v24, s13
	v_mov_b32_e32 v25, s15
	v_cndmask_b32_e64 v39, v19, v28, s[28:29]
	v_cndmask_b32_e64 v24, v24, v25, s[28:29]
	v_add_u32_e32 v29, 1, v39
	v_add_u32_e32 v24, -1, v24
	v_min_u32_e32 v24, v29, v24
	v_lshlrev_b32_e32 v24, 3, v24
	ds_read_b64 v[26:27], v24
	v_cndmask_b32_e64 v19, v29, v19, s[28:29]
	v_cndmask_b32_e64 v32, v28, v29, s[28:29]
	v_cmp_gt_u32_e32 vcc, s13, v19
	s_mov_b64 s[34:35], -1
	s_waitcnt lgkmcnt(0)
	v_cndmask_b32_e64 v25, v27, v21, s[28:29]
	v_cndmask_b32_e64 v24, v26, v20, s[28:29]
	;; [unrolled: 1-line block ×4, first 2 shown]
	s_mov_b64 s[36:37], -1
	s_and_saveexec_b64 s[38:39], vcc
	s_cbranch_execz .LBB153_52
; %bb.49:
	v_cmp_gt_u32_e32 vcc, s15, v32
	s_mov_b64 s[40:41], 0
	s_and_saveexec_b64 s[36:37], vcc
	s_cbranch_execz .LBB153_51
; %bb.50:
	s_mov_b32 s40, 0
	s_brev_b32 s41, 1
	v_cmp_ne_u64_e32 vcc, s[40:41], v[26:27]
	v_bfrev_b32_e32 v33, 1
	s_nop 0
	v_cndmask_b32_e32 v29, 0, v27, vcc
	v_cndmask_b32_e32 v28, 0, v26, vcc
	v_cmp_ne_u64_e32 vcc, s[40:41], v[24:25]
	v_ashrrev_i32_e32 v35, 31, v29
	s_nop 0
	v_cndmask_b32_e32 v31, 0, v25, vcc
	v_cndmask_b32_e32 v30, 0, v24, vcc
	v_cmp_lt_i64_e32 vcc, -1, v[28:29]
	v_xor_b32_e32 v28, v35, v28
	s_nop 0
	v_cndmask_b32_e32 v34, -1, v33, vcc
	v_cmp_lt_i64_e32 vcc, -1, v[30:31]
	v_xor_b32_e32 v29, v34, v29
	v_ashrrev_i32_e32 v34, 31, v31
	v_cndmask_b32_e32 v33, -1, v33, vcc
	v_xor_b32_e32 v31, v33, v31
	v_xor_b32_e32 v30, v34, v30
	v_cmp_le_u64_e32 vcc, v[28:29], v[30:31]
	s_and_b64 s[40:41], vcc, exec
.LBB153_51:
	s_or_b64 exec, exec, s[36:37]
	s_orn2_b64 s[36:37], s[40:41], exec
.LBB153_52:
	s_or_b64 exec, exec, s[38:39]
	v_mov_b32_e32 v28, s13
	v_mov_b32_e32 v29, s15
	v_cndmask_b32_e64 v40, v19, v32, s[36:37]
	v_cndmask_b32_e64 v28, v28, v29, s[36:37]
	v_add_u32_e32 v33, 1, v40
	v_add_u32_e32 v28, -1, v28
	v_min_u32_e32 v28, v33, v28
	v_lshlrev_b32_e32 v28, 3, v28
	ds_read_b64 v[30:31], v28
	v_cndmask_b32_e64 v19, v33, v19, s[36:37]
	v_cndmask_b32_e64 v42, v32, v33, s[36:37]
	v_cmp_gt_u32_e32 vcc, s13, v19
	s_waitcnt lgkmcnt(0)
	v_cndmask_b32_e64 v29, v31, v25, s[36:37]
	v_cndmask_b32_e64 v28, v30, v24, s[36:37]
	v_cndmask_b32_e64 v31, v27, v31, s[36:37]
	v_cndmask_b32_e64 v30, v26, v30, s[36:37]
	s_and_saveexec_b64 s[38:39], vcc
	s_cbranch_execz .LBB153_56
; %bb.53:
	v_cmp_gt_u32_e32 vcc, s15, v42
	s_mov_b64 s[40:41], 0
	s_and_saveexec_b64 s[34:35], vcc
	s_cbranch_execz .LBB153_55
; %bb.54:
	s_mov_b32 s40, 0
	s_brev_b32 s41, 1
	v_cmp_ne_u64_e32 vcc, s[40:41], v[30:31]
	v_bfrev_b32_e32 v41, 1
	s_nop 0
	v_cndmask_b32_e32 v33, 0, v31, vcc
	v_cndmask_b32_e32 v32, 0, v30, vcc
	v_cmp_ne_u64_e32 vcc, s[40:41], v[28:29]
	v_ashrrev_i32_e32 v44, 31, v33
	s_nop 0
	v_cndmask_b32_e32 v35, 0, v29, vcc
	v_cndmask_b32_e32 v34, 0, v28, vcc
	v_cmp_lt_i64_e32 vcc, -1, v[32:33]
	v_xor_b32_e32 v32, v44, v32
	s_nop 0
	v_cndmask_b32_e32 v43, -1, v41, vcc
	v_cmp_lt_i64_e32 vcc, -1, v[34:35]
	v_xor_b32_e32 v33, v43, v33
	v_ashrrev_i32_e32 v43, 31, v35
	v_cndmask_b32_e32 v41, -1, v41, vcc
	v_xor_b32_e32 v35, v41, v35
	v_xor_b32_e32 v34, v43, v34
	v_cmp_le_u64_e32 vcc, v[32:33], v[34:35]
	s_and_b64 s[40:41], vcc, exec
.LBB153_55:
	s_or_b64 exec, exec, s[34:35]
	s_orn2_b64 s[34:35], s[40:41], exec
.LBB153_56:
	s_or_b64 exec, exec, s[38:39]
	v_mov_b32_e32 v32, s13
	v_mov_b32_e32 v33, s15
	v_cndmask_b32_e64 v41, v19, v42, s[34:35]
	v_cndmask_b32_e64 v32, v32, v33, s[34:35]
	v_add_u32_e32 v43, 1, v41
	v_add_u32_e32 v32, -1, v32
	v_min_u32_e32 v32, v43, v32
	v_lshlrev_b32_e32 v32, 3, v32
	ds_read_b64 v[34:35], v32
	v_cndmask_b32_e64 v19, v43, v19, s[34:35]
	v_cndmask_b32_e64 v42, v42, v43, s[34:35]
	v_cmp_gt_u32_e32 vcc, s13, v19
	s_mov_b64 s[40:41], -1
	s_waitcnt lgkmcnt(0)
	v_cndmask_b32_e64 v33, v35, v29, s[34:35]
	v_cndmask_b32_e64 v32, v34, v28, s[34:35]
	;; [unrolled: 1-line block ×4, first 2 shown]
	s_and_saveexec_b64 s[38:39], vcc
	s_cbranch_execz .LBB153_60
; %bb.57:
	v_cmp_gt_u32_e32 vcc, s15, v42
	s_mov_b64 s[42:43], 0
	s_and_saveexec_b64 s[40:41], vcc
	s_cbranch_execz .LBB153_59
; %bb.58:
	s_mov_b32 s42, 0
	s_brev_b32 s43, 1
	v_cmp_ne_u64_e32 vcc, s[42:43], v[34:35]
	v_bfrev_b32_e32 v43, 1
	s_nop 0
	v_cndmask_b32_e32 v45, 0, v35, vcc
	v_cndmask_b32_e32 v44, 0, v34, vcc
	v_cmp_ne_u64_e32 vcc, s[42:43], v[32:33]
	v_ashrrev_i32_e32 v49, 31, v45
	s_nop 0
	v_cndmask_b32_e32 v47, 0, v33, vcc
	v_cndmask_b32_e32 v46, 0, v32, vcc
	v_cmp_lt_i64_e32 vcc, -1, v[44:45]
	v_xor_b32_e32 v44, v49, v44
	s_nop 0
	v_cndmask_b32_e32 v48, -1, v43, vcc
	v_cmp_lt_i64_e32 vcc, -1, v[46:47]
	v_xor_b32_e32 v45, v48, v45
	v_ashrrev_i32_e32 v48, 31, v47
	v_cndmask_b32_e32 v43, -1, v43, vcc
	v_xor_b32_e32 v47, v43, v47
	v_xor_b32_e32 v46, v48, v46
	v_cmp_le_u64_e32 vcc, v[44:45], v[46:47]
	s_and_b64 s[42:43], vcc, exec
.LBB153_59:
	s_or_b64 exec, exec, s[40:41]
	s_orn2_b64 s[40:41], s[42:43], exec
.LBB153_60:
	s_or_b64 exec, exec, s[38:39]
	v_cndmask_b32_e64 v3, v5, v3, s[4:5]
	v_cndmask_b32_e64 v2, v4, v2, s[4:5]
	;; [unrolled: 1-line block ×17, first 2 shown]
.LBB153_61:
	s_or_b64 exec, exec, s[2:3]
	s_add_u32 s26, s8, s22
	s_addc_u32 s27, s9, s23
	s_add_u32 s22, s8, s24
	v_cndmask_b32_e64 v19, 0, 1, s[16:17]
	v_mov_b32_e32 v21, 0
	s_addc_u32 s23, s9, s25
	v_cmp_gt_u32_e64 s[4:5], s15, v0
	v_cmp_ne_u32_e64 s[0:1], 1, v19
	s_andn2_b64 vcc, exec, s[16:17]
	v_cmp_le_u32_e64 s[2:3], s15, v0
	s_barrier
	s_cbranch_vccnz .LBB153_63
; %bb.62:
	v_subrev_u32_e32 v19, s15, v0
	v_lshlrev_b32_e32 v20, 3, v19
	v_mov_b32_e32 v19, v21
	v_lshl_add_u64 v[26:27], s[26:27], 0, v[18:19]
	v_or_b32_e32 v19, 0x80, v0
	v_lshl_add_u64 v[22:23], s[22:23], 0, v[20:21]
	v_subrev_u32_e32 v20, s15, v19
	v_cndmask_b32_e64 v23, v23, v27, s[4:5]
	v_cndmask_b32_e64 v22, v22, v26, s[4:5]
	v_min_u32_e32 v20, v19, v20
	v_mov_b32_e32 v25, s23
	v_mov_b32_e32 v46, s27
	v_cmp_gt_u32_e32 vcc, s15, v19
	v_mov_b32_e32 v47, s22
	v_mov_b32_e32 v48, s26
	global_load_dwordx2 v[26:27], v[22:23], off
	v_cndmask_b32_e32 v23, v25, v46, vcc
	v_cndmask_b32_e32 v22, v47, v48, vcc
	v_lshlrev_b32_e32 v20, 3, v20
	v_or_b32_e32 v19, 0x100, v0
	v_lshl_add_u64 v[22:23], v[22:23], 0, v[20:21]
	v_subrev_u32_e32 v20, s15, v19
	v_min_u32_e32 v20, v19, v20
	v_cmp_gt_u32_e32 vcc, s15, v19
	global_load_dwordx2 v[28:29], v[22:23], off
	v_lshlrev_b32_e32 v20, 3, v20
	v_cndmask_b32_e32 v23, v25, v46, vcc
	v_cndmask_b32_e32 v22, v47, v48, vcc
	v_or_b32_e32 v19, 0x180, v0
	v_lshl_add_u64 v[22:23], v[22:23], 0, v[20:21]
	v_subrev_u32_e32 v20, s15, v19
	v_min_u32_e32 v20, v19, v20
	v_cmp_gt_u32_e32 vcc, s15, v19
	global_load_dwordx2 v[30:31], v[22:23], off
	v_lshlrev_b32_e32 v20, 3, v20
	v_cndmask_b32_e32 v23, v25, v46, vcc
	v_cndmask_b32_e32 v22, v47, v48, vcc
	;; [unrolled: 9-line block ×5, first 2 shown]
	v_lshl_add_u64 v[20:21], v[22:23], 0, v[20:21]
	global_load_dwordx2 v[44:45], v[20:21], off
	v_or_b32_e32 v19, 0x380, v0
	v_subrev_u32_e32 v20, s15, v19
	v_cmp_gt_u32_e32 vcc, s15, v19
	v_min_u32_e32 v22, v19, v20
	s_nop 0
	v_cndmask_b32_e32 v21, v25, v46, vcc
	v_cndmask_b32_e32 v20, v47, v48, vcc
	s_mov_b64 s[4:5], -1
	s_waitcnt vmcnt(5)
	ds_write2st64_b64 v18, v[26:27], v[28:29] offset1:2
	s_waitcnt vmcnt(3)
	ds_write2st64_b64 v18, v[30:31], v[32:33] offset0:4 offset1:6
	s_waitcnt vmcnt(1)
	ds_write2st64_b64 v18, v[34:35], v[42:43] offset0:8 offset1:10
	s_waitcnt vmcnt(0)
	ds_write_b64 v18, v[44:45] offset:6144
	s_cbranch_execz .LBB153_64
	s_branch .LBB153_95
.LBB153_63:
	s_mov_b64 s[4:5], 0
                                        ; implicit-def: $vgpr19
                                        ; implicit-def: $vgpr20_vgpr21
                                        ; implicit-def: $vgpr22
.LBB153_64:
	s_mov_b64 s[4:5], 0
                                        ; implicit-def: $vgpr20_vgpr21
	s_and_saveexec_b64 s[24:25], s[2:3]
	s_xor_b64 s[2:3], exec, s[24:25]
	s_cbranch_execnz .LBB153_134
; %bb.65:
	s_andn2_saveexec_b64 s[2:3], s[2:3]
	s_cbranch_execnz .LBB153_137
.LBB153_66:
	s_or_b64 exec, exec, s[2:3]
	s_and_saveexec_b64 s[2:3], s[4:5]
	s_cbranch_execz .LBB153_68
.LBB153_67:
	global_load_dwordx2 v[20:21], v[20:21], off
	s_waitcnt vmcnt(0)
	ds_write_b64 v18, v[20:21]
.LBB153_68:
	s_or_b64 exec, exec, s[2:3]
	v_or_b32_e32 v19, 0x80, v0
	v_cmp_le_u32_e32 vcc, s15, v19
	s_mov_b64 s[2:3], -1
	v_mov_b64_e32 v[20:21], s[18:19]
	s_and_saveexec_b64 s[4:5], vcc
; %bb.69:
	v_subrev_u32_e32 v19, s15, v19
	v_cmp_gt_u32_e32 vcc, s33, v19
	v_mov_b64_e32 v[20:21], s[20:21]
	s_orn2_b64 s[2:3], vcc, exec
; %bb.70:
	s_or_b64 exec, exec, s[4:5]
	s_and_saveexec_b64 s[4:5], s[2:3]
	s_cbranch_execz .LBB153_72
; %bb.71:
	v_lshl_add_u64 v[20:21], v[20:21], 3, s[8:9]
	v_lshlrev_b32_e32 v22, 3, v19
	v_mov_b32_e32 v23, 0
	v_lshl_add_u64 v[20:21], v[20:21], 0, v[22:23]
	global_load_dwordx2 v[20:21], v[20:21], off
	s_waitcnt vmcnt(0)
	ds_write_b64 v18, v[20:21] offset:1024
.LBB153_72:
	s_or_b64 exec, exec, s[4:5]
	v_or_b32_e32 v19, 0x100, v0
	v_cmp_le_u32_e32 vcc, s15, v19
	s_mov_b64 s[2:3], -1
	v_mov_b64_e32 v[20:21], s[18:19]
	s_and_saveexec_b64 s[4:5], vcc
; %bb.73:
	v_subrev_u32_e32 v19, s15, v19
	v_cmp_gt_u32_e32 vcc, s33, v19
	v_mov_b64_e32 v[20:21], s[20:21]
	s_orn2_b64 s[2:3], vcc, exec
; %bb.74:
	s_or_b64 exec, exec, s[4:5]
	s_and_saveexec_b64 s[4:5], s[2:3]
	s_cbranch_execz .LBB153_76
; %bb.75:
	v_lshl_add_u64 v[20:21], v[20:21], 3, s[8:9]
	v_lshlrev_b32_e32 v22, 3, v19
	v_mov_b32_e32 v23, 0
	v_lshl_add_u64 v[20:21], v[20:21], 0, v[22:23]
	global_load_dwordx2 v[20:21], v[20:21], off
	s_waitcnt vmcnt(0)
	ds_write_b64 v18, v[20:21] offset:2048
.LBB153_76:
	;; [unrolled: 24-line block ×6, first 2 shown]
	s_or_b64 exec, exec, s[4:5]
	v_or_b32_e32 v19, 0x380, v0
	v_cmp_le_u32_e32 vcc, s15, v19
	s_mov_b64 s[4:5], -1
	v_mov_b64_e32 v[20:21], s[26:27]
	v_mov_b32_e32 v22, v19
	s_and_saveexec_b64 s[2:3], vcc
; %bb.93:
	v_subrev_u32_e32 v22, s15, v19
	v_cmp_gt_u32_e32 vcc, s33, v22
	v_mov_b64_e32 v[20:21], s[22:23]
	s_orn2_b64 s[4:5], vcc, exec
; %bb.94:
	s_or_b64 exec, exec, s[2:3]
.LBB153_95:
	s_and_saveexec_b64 s[2:3], s[4:5]
	s_cbranch_execz .LBB153_97
; %bb.96:
	v_mov_b32_e32 v23, 0
	v_lshl_add_u64 v[20:21], v[22:23], 3, v[20:21]
	global_load_dwordx2 v[20:21], v[20:21], off
	v_lshlrev_b32_e32 v19, 3, v19
	s_waitcnt vmcnt(0)
	ds_write_b64 v19, v[20:21]
.LBB153_97:
	s_or_b64 exec, exec, s[2:3]
	s_and_b64 vcc, exec, s[0:1]
	v_add_u32_e32 v20, s14, v18
	s_waitcnt lgkmcnt(0)
	s_barrier
	s_cbranch_vccnz .LBB153_99
; %bb.98:
	v_lshlrev_b32_e32 v19, 3, v1
	v_lshlrev_b32_e32 v22, 3, v36
	;; [unrolled: 1-line block ×4, first 2 shown]
	ds_read_b64 v[28:29], v19
	ds_read_b64 v[30:31], v22
	;; [unrolled: 1-line block ×4, first 2 shown]
	v_lshlrev_b32_e32 v19, 3, v39
	v_lshlrev_b32_e32 v22, 3, v40
	;; [unrolled: 1-line block ×3, first 2 shown]
	ds_read_b64 v[42:43], v19
	ds_read_b64 v[44:45], v22
	;; [unrolled: 1-line block ×3, first 2 shown]
	v_mov_b32_e32 v21, 0
	v_lshl_add_u64 v[26:27], v[20:21], 3, s[10:11]
	s_mov_b64 s[0:1], -1
	s_waitcnt lgkmcnt(5)
	global_store_dwordx4 v[26:27], v[28:31], off
	s_waitcnt lgkmcnt(3)
	global_store_dwordx4 v[26:27], v[32:35], off offset:16
	s_waitcnt lgkmcnt(1)
	global_store_dwordx4 v[26:27], v[42:45], off offset:32
	s_waitcnt lgkmcnt(0)
	global_store_dwordx2 v[26:27], v[22:23], off offset:48
	s_cbranch_execz .LBB153_100
	s_branch .LBB153_117
.LBB153_99:
	s_mov_b64 s[0:1], 0
.LBB153_100:
	v_cmp_gt_u32_e32 vcc, s13, v18
	s_and_saveexec_b64 s[2:3], vcc
	s_cbranch_execz .LBB153_102
; %bb.101:
	v_lshlrev_b32_e32 v1, 3, v1
	ds_read_b64 v[22:23], v1
	v_mov_b32_e32 v21, 0
	v_lshl_add_u64 v[26:27], v[20:21], 3, s[10:11]
	s_waitcnt lgkmcnt(0)
	global_store_dwordx2 v[26:27], v[22:23], off
.LBB153_102:
	s_or_b64 exec, exec, s[2:3]
	v_or_b32_e32 v1, 1, v18
	v_cmp_gt_u32_e32 vcc, s13, v1
	s_and_saveexec_b64 s[2:3], vcc
	s_cbranch_execz .LBB153_104
; %bb.103:
	v_lshlrev_b32_e32 v1, 3, v36
	ds_read_b64 v[22:23], v1
	v_mov_b32_e32 v21, 0
	v_lshl_add_u64 v[26:27], v[20:21], 3, s[10:11]
	s_waitcnt lgkmcnt(0)
	global_store_dwordx2 v[26:27], v[22:23], off offset:8
.LBB153_104:
	s_or_b64 exec, exec, s[2:3]
	v_or_b32_e32 v1, 2, v18
	v_cmp_gt_u32_e32 vcc, s13, v1
	s_and_saveexec_b64 s[2:3], vcc
	s_cbranch_execz .LBB153_106
; %bb.105:
	v_lshlrev_b32_e32 v1, 3, v37
	ds_read_b64 v[22:23], v1
	v_mov_b32_e32 v21, 0
	v_lshl_add_u64 v[26:27], v[20:21], 3, s[10:11]
	s_waitcnt lgkmcnt(0)
	global_store_dwordx2 v[26:27], v[22:23], off offset:16
.LBB153_106:
	;; [unrolled: 13-line block ×6, first 2 shown]
	s_or_b64 exec, exec, s[2:3]
	v_or_b32_e32 v1, 7, v18
	v_cmp_gt_u32_e32 vcc, s13, v1
	s_and_saveexec_b64 s[2:3], vcc
; %bb.115:
	v_mov_b32_e32 v21, 0
	s_or_b64 s[0:1], s[0:1], exec
; %bb.116:
	s_or_b64 exec, exec, s[2:3]
.LBB153_117:
	s_and_saveexec_b64 s[2:3], s[0:1]
	s_cbranch_execz .LBB153_119
; %bb.118:
	v_lshlrev_b32_e32 v1, 3, v24
	ds_read_b64 v[22:23], v1
	v_lshl_add_u64 v[20:21], v[20:21], 3, s[10:11]
	s_waitcnt lgkmcnt(0)
	global_store_dwordx2 v[20:21], v[22:23], off offset:56
.LBB153_119:
	s_or_b64 exec, exec, s[2:3]
	v_lshrrev_b32_e32 v1, 2, v0
	v_lshlrev_b32_e32 v19, 3, v18
	v_lshl_add_u32 v19, v1, 3, v19
	v_and_b32_e32 v1, 24, v1
	v_or_b32_e32 v23, 0x80, v0
	v_add_u32_e32 v24, v1, v18
	v_lshrrev_b32_e32 v1, 2, v23
	v_and_b32_e32 v1, 56, v1
	v_or_b32_e32 v22, 0x100, v0
	s_barrier
	s_barrier
	ds_write2_b64 v19, v[2:3], v[4:5] offset1:1
	ds_write2_b64 v19, v[6:7], v[8:9] offset0:2 offset1:3
	ds_write2_b64 v19, v[10:11], v[12:13] offset0:4 offset1:5
	;; [unrolled: 1-line block ×3, first 2 shown]
	v_add_u32_e32 v4, v1, v18
	v_lshrrev_b32_e32 v1, 2, v22
	v_and_b32_e32 v1, 0x58, v1
	v_or_b32_e32 v21, 0x180, v0
	v_add_u32_e32 v5, v1, v18
	v_lshrrev_b32_e32 v1, 2, v21
	v_and_b32_e32 v1, 0x78, v1
	v_or_b32_e32 v20, 0x200, v0
	;; [unrolled: 4-line block ×4, first 2 shown]
	v_add_u32_e32 v25, v1, v18
	v_lshrrev_b32_e32 v1, 2, v16
	s_mov_b32 s15, 0
	v_and_b32_e32 v1, 0xd8, v1
	s_lshl_b64 s[0:1], s[14:15], 3
	v_add_u32_e32 v26, v1, v18
	v_or_b32_e32 v1, 0x380, v0
	s_add_u32 s0, s6, s0
	v_lshrrev_b32_e32 v2, 2, v1
	s_addc_u32 s1, s7, s1
	v_and_b32_e32 v2, 0xf8, v2
	v_mov_b32_e32 v19, 0
	v_add_u32_e32 v27, v2, v18
	v_lshl_add_u64 v[2:3], s[0:1], 0, v[18:19]
	s_and_b64 vcc, exec, s[16:17]
	s_waitcnt lgkmcnt(0)
	s_cbranch_vccz .LBB153_121
; %bb.120:
	s_barrier
	ds_read_b64 v[8:9], v24
	ds_read_b64 v[10:11], v4 offset:1024
	ds_read_b64 v[12:13], v5 offset:2048
	;; [unrolled: 1-line block ×7, first 2 shown]
	s_waitcnt lgkmcnt(7)
	global_store_dwordx2 v[2:3], v[8:9], off
	s_waitcnt lgkmcnt(6)
	global_store_dwordx2 v[2:3], v[10:11], off offset:1024
	s_waitcnt lgkmcnt(5)
	global_store_dwordx2 v[2:3], v[12:13], off offset:2048
	;; [unrolled: 2-line block ×3, first 2 shown]
	v_add_co_u32_e32 v8, vcc, 0x1000, v2
	s_nop 1
	v_addc_co_u32_e32 v9, vcc, 0, v3, vcc
	s_waitcnt lgkmcnt(3)
	global_store_dwordx2 v[8:9], v[28:29], off
	s_waitcnt lgkmcnt(2)
	global_store_dwordx2 v[8:9], v[30:31], off offset:1024
	s_waitcnt lgkmcnt(1)
	global_store_dwordx2 v[8:9], v[32:33], off offset:2048
	s_mov_b64 s[0:1], -1
	s_cbranch_execz .LBB153_122
	s_branch .LBB153_131
.LBB153_121:
	s_mov_b64 s[0:1], 0
                                        ; implicit-def: $vgpr18_vgpr19
.LBB153_122:
	s_barrier
	s_waitcnt lgkmcnt(0)
	ds_read_b64 v[14:15], v4 offset:1024
	ds_read_b64 v[12:13], v5 offset:2048
	;; [unrolled: 1-line block ×7, first 2 shown]
	s_sub_i32 s2, s12, s14
	v_cmp_gt_u32_e32 vcc, s2, v0
	s_and_saveexec_b64 s[0:1], vcc
	s_cbranch_execnz .LBB153_138
; %bb.123:
	s_or_b64 exec, exec, s[0:1]
	v_cmp_gt_u32_e32 vcc, s2, v23
	s_and_saveexec_b64 s[0:1], vcc
	s_cbranch_execnz .LBB153_139
.LBB153_124:
	s_or_b64 exec, exec, s[0:1]
	v_cmp_gt_u32_e32 vcc, s2, v22
	s_and_saveexec_b64 s[0:1], vcc
	s_cbranch_execnz .LBB153_140
.LBB153_125:
	s_or_b64 exec, exec, s[0:1]
	v_cmp_gt_u32_e32 vcc, s2, v21
	s_and_saveexec_b64 s[0:1], vcc
	s_cbranch_execnz .LBB153_141
.LBB153_126:
	s_or_b64 exec, exec, s[0:1]
	v_cmp_gt_u32_e32 vcc, s2, v20
	s_and_saveexec_b64 s[0:1], vcc
	s_cbranch_execnz .LBB153_142
.LBB153_127:
	s_or_b64 exec, exec, s[0:1]
	v_cmp_gt_u32_e32 vcc, s2, v17
	s_and_saveexec_b64 s[0:1], vcc
	s_cbranch_execnz .LBB153_143
.LBB153_128:
	s_or_b64 exec, exec, s[0:1]
	v_cmp_gt_u32_e32 vcc, s2, v16
	s_and_saveexec_b64 s[0:1], vcc
	s_cbranch_execz .LBB153_130
.LBB153_129:
	s_waitcnt lgkmcnt(2)
	v_add_co_u32_e32 v6, vcc, 0x1000, v2
	s_nop 1
	v_addc_co_u32_e32 v7, vcc, 0, v3, vcc
	s_waitcnt lgkmcnt(1)
	global_store_dwordx2 v[6:7], v[4:5], off offset:2048
.LBB153_130:
	s_or_b64 exec, exec, s[0:1]
	v_cmp_gt_u32_e64 s[0:1], s2, v1
.LBB153_131:
	s_and_saveexec_b64 s[2:3], s[0:1]
	s_cbranch_execz .LBB153_133
; %bb.132:
	v_add_co_u32_e32 v0, vcc, 0x1000, v2
	s_nop 1
	v_addc_co_u32_e32 v1, vcc, 0, v3, vcc
	s_waitcnt lgkmcnt(0)
	global_store_dwordx2 v[0:1], v[18:19], off offset:3072
.LBB153_133:
	s_endpgm
.LBB153_134:
	v_subrev_u32_e32 v19, s15, v0
	v_cmp_gt_u32_e32 vcc, s33, v19
                                        ; implicit-def: $vgpr20_vgpr21
	s_and_saveexec_b64 s[24:25], vcc
	s_xor_b64 s[24:25], exec, s[24:25]
; %bb.135:
	v_lshlrev_b32_e32 v20, 3, v19
	v_mov_b32_e32 v21, 0
	s_mov_b64 s[4:5], exec
	v_lshl_add_u64 v[20:21], s[22:23], 0, v[20:21]
; %bb.136:
	s_or_b64 exec, exec, s[24:25]
	s_and_b64 s[4:5], s[4:5], exec
	s_andn2_saveexec_b64 s[2:3], s[2:3]
	s_cbranch_execz .LBB153_66
.LBB153_137:
	v_mov_b32_e32 v19, 0
	v_lshl_add_u64 v[20:21], s[26:27], 0, v[18:19]
	s_or_b64 s[4:5], s[4:5], exec
	s_or_b64 exec, exec, s[2:3]
	s_and_saveexec_b64 s[2:3], s[4:5]
	s_cbranch_execnz .LBB153_67
	s_branch .LBB153_68
.LBB153_138:
	ds_read_b64 v[24:25], v24
	s_waitcnt lgkmcnt(0)
	global_store_dwordx2 v[2:3], v[24:25], off
	s_or_b64 exec, exec, s[0:1]
	v_cmp_gt_u32_e32 vcc, s2, v23
	s_and_saveexec_b64 s[0:1], vcc
	s_cbranch_execz .LBB153_124
.LBB153_139:
	s_waitcnt lgkmcnt(6)
	global_store_dwordx2 v[2:3], v[14:15], off offset:1024
	s_or_b64 exec, exec, s[0:1]
	v_cmp_gt_u32_e32 vcc, s2, v22
	s_and_saveexec_b64 s[0:1], vcc
	s_cbranch_execz .LBB153_125
.LBB153_140:
	s_waitcnt lgkmcnt(5)
	global_store_dwordx2 v[2:3], v[12:13], off offset:2048
	s_or_b64 exec, exec, s[0:1]
	v_cmp_gt_u32_e32 vcc, s2, v21
	s_and_saveexec_b64 s[0:1], vcc
	s_cbranch_execz .LBB153_126
.LBB153_141:
	s_waitcnt lgkmcnt(4)
	global_store_dwordx2 v[2:3], v[10:11], off offset:3072
	s_or_b64 exec, exec, s[0:1]
	v_cmp_gt_u32_e32 vcc, s2, v20
	s_and_saveexec_b64 s[0:1], vcc
	s_cbranch_execz .LBB153_127
.LBB153_142:
	s_waitcnt lgkmcnt(4)
	v_add_co_u32_e32 v10, vcc, 0x1000, v2
	s_nop 1
	v_addc_co_u32_e32 v11, vcc, 0, v3, vcc
	s_waitcnt lgkmcnt(3)
	global_store_dwordx2 v[10:11], v[8:9], off
	s_or_b64 exec, exec, s[0:1]
	v_cmp_gt_u32_e32 vcc, s2, v17
	s_and_saveexec_b64 s[0:1], vcc
	s_cbranch_execz .LBB153_128
.LBB153_143:
	s_waitcnt lgkmcnt(3)
	v_add_co_u32_e32 v8, vcc, 0x1000, v2
	s_nop 1
	v_addc_co_u32_e32 v9, vcc, 0, v3, vcc
	s_waitcnt lgkmcnt(2)
	global_store_dwordx2 v[8:9], v[6:7], off offset:1024
	s_or_b64 exec, exec, s[0:1]
	v_cmp_gt_u32_e32 vcc, s2, v16
	s_and_saveexec_b64 s[0:1], vcc
	s_cbranch_execnz .LBB153_129
	s_branch .LBB153_130
	.section	.rodata,"a",@progbits
	.p2align	6, 0x0
	.amdhsa_kernel _ZN7rocprim17ROCPRIM_304000_NS6detail35device_block_merge_mergepath_kernelINS1_37wrapped_merge_sort_block_merge_configINS0_14default_configEdN2at4cuda3cub6detail10OpaqueTypeILi8EEEEEPdSC_PSA_SD_jNS1_19radix_merge_compareILb0ELb0EdNS0_19identity_decomposerEEEEEvT0_T1_T2_T3_T4_SL_jT5_PKSL_NS1_7vsmem_tE
		.amdhsa_group_segment_fixed_size 8448
		.amdhsa_private_segment_fixed_size 0
		.amdhsa_kernarg_size 320
		.amdhsa_user_sgpr_count 2
		.amdhsa_user_sgpr_dispatch_ptr 0
		.amdhsa_user_sgpr_queue_ptr 0
		.amdhsa_user_sgpr_kernarg_segment_ptr 1
		.amdhsa_user_sgpr_dispatch_id 0
		.amdhsa_user_sgpr_kernarg_preload_length 0
		.amdhsa_user_sgpr_kernarg_preload_offset 0
		.amdhsa_user_sgpr_private_segment_size 0
		.amdhsa_uses_dynamic_stack 0
		.amdhsa_enable_private_segment 0
		.amdhsa_system_sgpr_workgroup_id_x 1
		.amdhsa_system_sgpr_workgroup_id_y 1
		.amdhsa_system_sgpr_workgroup_id_z 1
		.amdhsa_system_sgpr_workgroup_info 0
		.amdhsa_system_vgpr_workitem_id 0
		.amdhsa_next_free_vgpr 50
		.amdhsa_next_free_sgpr 44
		.amdhsa_accum_offset 52
		.amdhsa_reserve_vcc 1
		.amdhsa_float_round_mode_32 0
		.amdhsa_float_round_mode_16_64 0
		.amdhsa_float_denorm_mode_32 3
		.amdhsa_float_denorm_mode_16_64 3
		.amdhsa_dx10_clamp 1
		.amdhsa_ieee_mode 1
		.amdhsa_fp16_overflow 0
		.amdhsa_tg_split 0
		.amdhsa_exception_fp_ieee_invalid_op 0
		.amdhsa_exception_fp_denorm_src 0
		.amdhsa_exception_fp_ieee_div_zero 0
		.amdhsa_exception_fp_ieee_overflow 0
		.amdhsa_exception_fp_ieee_underflow 0
		.amdhsa_exception_fp_ieee_inexact 0
		.amdhsa_exception_int_div_zero 0
	.end_amdhsa_kernel
	.section	.text._ZN7rocprim17ROCPRIM_304000_NS6detail35device_block_merge_mergepath_kernelINS1_37wrapped_merge_sort_block_merge_configINS0_14default_configEdN2at4cuda3cub6detail10OpaqueTypeILi8EEEEEPdSC_PSA_SD_jNS1_19radix_merge_compareILb0ELb0EdNS0_19identity_decomposerEEEEEvT0_T1_T2_T3_T4_SL_jT5_PKSL_NS1_7vsmem_tE,"axG",@progbits,_ZN7rocprim17ROCPRIM_304000_NS6detail35device_block_merge_mergepath_kernelINS1_37wrapped_merge_sort_block_merge_configINS0_14default_configEdN2at4cuda3cub6detail10OpaqueTypeILi8EEEEEPdSC_PSA_SD_jNS1_19radix_merge_compareILb0ELb0EdNS0_19identity_decomposerEEEEEvT0_T1_T2_T3_T4_SL_jT5_PKSL_NS1_7vsmem_tE,comdat
.Lfunc_end153:
	.size	_ZN7rocprim17ROCPRIM_304000_NS6detail35device_block_merge_mergepath_kernelINS1_37wrapped_merge_sort_block_merge_configINS0_14default_configEdN2at4cuda3cub6detail10OpaqueTypeILi8EEEEEPdSC_PSA_SD_jNS1_19radix_merge_compareILb0ELb0EdNS0_19identity_decomposerEEEEEvT0_T1_T2_T3_T4_SL_jT5_PKSL_NS1_7vsmem_tE, .Lfunc_end153-_ZN7rocprim17ROCPRIM_304000_NS6detail35device_block_merge_mergepath_kernelINS1_37wrapped_merge_sort_block_merge_configINS0_14default_configEdN2at4cuda3cub6detail10OpaqueTypeILi8EEEEEPdSC_PSA_SD_jNS1_19radix_merge_compareILb0ELb0EdNS0_19identity_decomposerEEEEEvT0_T1_T2_T3_T4_SL_jT5_PKSL_NS1_7vsmem_tE
                                        ; -- End function
	.set _ZN7rocprim17ROCPRIM_304000_NS6detail35device_block_merge_mergepath_kernelINS1_37wrapped_merge_sort_block_merge_configINS0_14default_configEdN2at4cuda3cub6detail10OpaqueTypeILi8EEEEEPdSC_PSA_SD_jNS1_19radix_merge_compareILb0ELb0EdNS0_19identity_decomposerEEEEEvT0_T1_T2_T3_T4_SL_jT5_PKSL_NS1_7vsmem_tE.num_vgpr, 50
	.set _ZN7rocprim17ROCPRIM_304000_NS6detail35device_block_merge_mergepath_kernelINS1_37wrapped_merge_sort_block_merge_configINS0_14default_configEdN2at4cuda3cub6detail10OpaqueTypeILi8EEEEEPdSC_PSA_SD_jNS1_19radix_merge_compareILb0ELb0EdNS0_19identity_decomposerEEEEEvT0_T1_T2_T3_T4_SL_jT5_PKSL_NS1_7vsmem_tE.num_agpr, 0
	.set _ZN7rocprim17ROCPRIM_304000_NS6detail35device_block_merge_mergepath_kernelINS1_37wrapped_merge_sort_block_merge_configINS0_14default_configEdN2at4cuda3cub6detail10OpaqueTypeILi8EEEEEPdSC_PSA_SD_jNS1_19radix_merge_compareILb0ELb0EdNS0_19identity_decomposerEEEEEvT0_T1_T2_T3_T4_SL_jT5_PKSL_NS1_7vsmem_tE.numbered_sgpr, 44
	.set _ZN7rocprim17ROCPRIM_304000_NS6detail35device_block_merge_mergepath_kernelINS1_37wrapped_merge_sort_block_merge_configINS0_14default_configEdN2at4cuda3cub6detail10OpaqueTypeILi8EEEEEPdSC_PSA_SD_jNS1_19radix_merge_compareILb0ELb0EdNS0_19identity_decomposerEEEEEvT0_T1_T2_T3_T4_SL_jT5_PKSL_NS1_7vsmem_tE.num_named_barrier, 0
	.set _ZN7rocprim17ROCPRIM_304000_NS6detail35device_block_merge_mergepath_kernelINS1_37wrapped_merge_sort_block_merge_configINS0_14default_configEdN2at4cuda3cub6detail10OpaqueTypeILi8EEEEEPdSC_PSA_SD_jNS1_19radix_merge_compareILb0ELb0EdNS0_19identity_decomposerEEEEEvT0_T1_T2_T3_T4_SL_jT5_PKSL_NS1_7vsmem_tE.private_seg_size, 0
	.set _ZN7rocprim17ROCPRIM_304000_NS6detail35device_block_merge_mergepath_kernelINS1_37wrapped_merge_sort_block_merge_configINS0_14default_configEdN2at4cuda3cub6detail10OpaqueTypeILi8EEEEEPdSC_PSA_SD_jNS1_19radix_merge_compareILb0ELb0EdNS0_19identity_decomposerEEEEEvT0_T1_T2_T3_T4_SL_jT5_PKSL_NS1_7vsmem_tE.uses_vcc, 1
	.set _ZN7rocprim17ROCPRIM_304000_NS6detail35device_block_merge_mergepath_kernelINS1_37wrapped_merge_sort_block_merge_configINS0_14default_configEdN2at4cuda3cub6detail10OpaqueTypeILi8EEEEEPdSC_PSA_SD_jNS1_19radix_merge_compareILb0ELb0EdNS0_19identity_decomposerEEEEEvT0_T1_T2_T3_T4_SL_jT5_PKSL_NS1_7vsmem_tE.uses_flat_scratch, 0
	.set _ZN7rocprim17ROCPRIM_304000_NS6detail35device_block_merge_mergepath_kernelINS1_37wrapped_merge_sort_block_merge_configINS0_14default_configEdN2at4cuda3cub6detail10OpaqueTypeILi8EEEEEPdSC_PSA_SD_jNS1_19radix_merge_compareILb0ELb0EdNS0_19identity_decomposerEEEEEvT0_T1_T2_T3_T4_SL_jT5_PKSL_NS1_7vsmem_tE.has_dyn_sized_stack, 0
	.set _ZN7rocprim17ROCPRIM_304000_NS6detail35device_block_merge_mergepath_kernelINS1_37wrapped_merge_sort_block_merge_configINS0_14default_configEdN2at4cuda3cub6detail10OpaqueTypeILi8EEEEEPdSC_PSA_SD_jNS1_19radix_merge_compareILb0ELb0EdNS0_19identity_decomposerEEEEEvT0_T1_T2_T3_T4_SL_jT5_PKSL_NS1_7vsmem_tE.has_recursion, 0
	.set _ZN7rocprim17ROCPRIM_304000_NS6detail35device_block_merge_mergepath_kernelINS1_37wrapped_merge_sort_block_merge_configINS0_14default_configEdN2at4cuda3cub6detail10OpaqueTypeILi8EEEEEPdSC_PSA_SD_jNS1_19radix_merge_compareILb0ELb0EdNS0_19identity_decomposerEEEEEvT0_T1_T2_T3_T4_SL_jT5_PKSL_NS1_7vsmem_tE.has_indirect_call, 0
	.section	.AMDGPU.csdata,"",@progbits
; Kernel info:
; codeLenInByte = 6708
; TotalNumSgprs: 50
; NumVgprs: 50
; NumAgprs: 0
; TotalNumVgprs: 50
; ScratchSize: 0
; MemoryBound: 1
; FloatMode: 240
; IeeeMode: 1
; LDSByteSize: 8448 bytes/workgroup (compile time only)
; SGPRBlocks: 6
; VGPRBlocks: 6
; NumSGPRsForWavesPerEU: 50
; NumVGPRsForWavesPerEU: 50
; AccumOffset: 52
; Occupancy: 8
; WaveLimiterHint : 1
; COMPUTE_PGM_RSRC2:SCRATCH_EN: 0
; COMPUTE_PGM_RSRC2:USER_SGPR: 2
; COMPUTE_PGM_RSRC2:TRAP_HANDLER: 0
; COMPUTE_PGM_RSRC2:TGID_X_EN: 1
; COMPUTE_PGM_RSRC2:TGID_Y_EN: 1
; COMPUTE_PGM_RSRC2:TGID_Z_EN: 1
; COMPUTE_PGM_RSRC2:TIDIG_COMP_CNT: 0
; COMPUTE_PGM_RSRC3_GFX90A:ACCUM_OFFSET: 12
; COMPUTE_PGM_RSRC3_GFX90A:TG_SPLIT: 0
	.section	.text._ZN7rocprim17ROCPRIM_304000_NS6detail33device_block_merge_oddeven_kernelINS1_37wrapped_merge_sort_block_merge_configINS0_14default_configEdN2at4cuda3cub6detail10OpaqueTypeILi8EEEEEPdSC_PSA_SD_jNS1_19radix_merge_compareILb0ELb0EdNS0_19identity_decomposerEEEEEvT0_T1_T2_T3_T4_SL_T5_,"axG",@progbits,_ZN7rocprim17ROCPRIM_304000_NS6detail33device_block_merge_oddeven_kernelINS1_37wrapped_merge_sort_block_merge_configINS0_14default_configEdN2at4cuda3cub6detail10OpaqueTypeILi8EEEEEPdSC_PSA_SD_jNS1_19radix_merge_compareILb0ELb0EdNS0_19identity_decomposerEEEEEvT0_T1_T2_T3_T4_SL_T5_,comdat
	.protected	_ZN7rocprim17ROCPRIM_304000_NS6detail33device_block_merge_oddeven_kernelINS1_37wrapped_merge_sort_block_merge_configINS0_14default_configEdN2at4cuda3cub6detail10OpaqueTypeILi8EEEEEPdSC_PSA_SD_jNS1_19radix_merge_compareILb0ELb0EdNS0_19identity_decomposerEEEEEvT0_T1_T2_T3_T4_SL_T5_ ; -- Begin function _ZN7rocprim17ROCPRIM_304000_NS6detail33device_block_merge_oddeven_kernelINS1_37wrapped_merge_sort_block_merge_configINS0_14default_configEdN2at4cuda3cub6detail10OpaqueTypeILi8EEEEEPdSC_PSA_SD_jNS1_19radix_merge_compareILb0ELb0EdNS0_19identity_decomposerEEEEEvT0_T1_T2_T3_T4_SL_T5_
	.globl	_ZN7rocprim17ROCPRIM_304000_NS6detail33device_block_merge_oddeven_kernelINS1_37wrapped_merge_sort_block_merge_configINS0_14default_configEdN2at4cuda3cub6detail10OpaqueTypeILi8EEEEEPdSC_PSA_SD_jNS1_19radix_merge_compareILb0ELb0EdNS0_19identity_decomposerEEEEEvT0_T1_T2_T3_T4_SL_T5_
	.p2align	8
	.type	_ZN7rocprim17ROCPRIM_304000_NS6detail33device_block_merge_oddeven_kernelINS1_37wrapped_merge_sort_block_merge_configINS0_14default_configEdN2at4cuda3cub6detail10OpaqueTypeILi8EEEEEPdSC_PSA_SD_jNS1_19radix_merge_compareILb0ELb0EdNS0_19identity_decomposerEEEEEvT0_T1_T2_T3_T4_SL_T5_,@function
_ZN7rocprim17ROCPRIM_304000_NS6detail33device_block_merge_oddeven_kernelINS1_37wrapped_merge_sort_block_merge_configINS0_14default_configEdN2at4cuda3cub6detail10OpaqueTypeILi8EEEEEPdSC_PSA_SD_jNS1_19radix_merge_compareILb0ELb0EdNS0_19identity_decomposerEEEEEvT0_T1_T2_T3_T4_SL_T5_: ; @_ZN7rocprim17ROCPRIM_304000_NS6detail33device_block_merge_oddeven_kernelINS1_37wrapped_merge_sort_block_merge_configINS0_14default_configEdN2at4cuda3cub6detail10OpaqueTypeILi8EEEEEPdSC_PSA_SD_jNS1_19radix_merge_compareILb0ELb0EdNS0_19identity_decomposerEEEEEvT0_T1_T2_T3_T4_SL_T5_
; %bb.0:
	s_load_dwordx2 s[16:17], s[0:1], 0x20
	s_waitcnt lgkmcnt(0)
	s_lshr_b32 s3, s16, 8
	s_cmp_eq_u32 s2, s3
	s_cselect_b64 s[6:7], -1, 0
	s_cmp_lg_u32 s2, s3
	s_cselect_b64 s[8:9], -1, 0
	s_lshl_b32 s18, s2, 8
	s_sub_i32 s3, s16, s18
	v_cmp_gt_u32_e64 s[4:5], s3, v0
	s_or_b64 s[8:9], s[8:9], s[4:5]
	s_and_saveexec_b64 s[10:11], s[8:9]
	s_cbranch_execz .LBB154_24
; %bb.1:
	s_load_dwordx8 s[8:15], s[0:1], 0x0
	s_mov_b32 s19, 0
	s_lshl_b64 s[0:1], s[18:19], 3
	v_lshlrev_b32_e32 v1, 3, v0
	v_add_u32_e32 v0, s18, v0
	s_waitcnt lgkmcnt(0)
	s_add_u32 s20, s8, s0
	s_addc_u32 s21, s9, s1
	s_add_u32 s0, s12, s0
	s_addc_u32 s1, s13, s1
	global_load_dwordx2 v[2:3], v1, s[0:1]
	global_load_dwordx2 v[4:5], v1, s[20:21]
	s_lshr_b32 s0, s17, 8
	s_sub_i32 s1, 0, s0
	s_and_b32 s1, s2, s1
	s_and_b32 s0, s1, s0
	s_lshl_b32 s19, s1, 8
	s_sub_i32 s12, 0, s17
	s_cmp_eq_u32 s0, 0
	s_cselect_b64 s[0:1], -1, 0
	s_and_b64 s[2:3], s[0:1], exec
	s_cselect_b32 s12, s17, s12
	s_add_i32 s12, s12, s19
	s_mov_b64 s[2:3], -1
	s_cmp_gt_u32 s16, s12
	s_cbranch_scc1 .LBB154_9
; %bb.2:
	s_and_b64 vcc, exec, s[6:7]
	s_cbranch_vccz .LBB154_6
; %bb.3:
	v_cmp_gt_u32_e32 vcc, s16, v0
	s_and_saveexec_b64 s[2:3], vcc
	s_cbranch_execz .LBB154_5
; %bb.4:
	v_mov_b32_e32 v1, 0
	v_lshlrev_b64 v[6:7], 3, v[0:1]
	v_lshl_add_u64 v[8:9], s[14:15], 0, v[6:7]
	v_lshl_add_u64 v[6:7], s[10:11], 0, v[6:7]
	s_waitcnt vmcnt(0)
	global_store_dwordx2 v[6:7], v[4:5], off
	global_store_dwordx2 v[8:9], v[2:3], off
.LBB154_5:
	s_or_b64 exec, exec, s[2:3]
	s_mov_b64 s[2:3], 0
.LBB154_6:
	s_andn2_b64 vcc, exec, s[2:3]
	s_cbranch_vccnz .LBB154_8
; %bb.7:
	v_mov_b32_e32 v1, 0
	v_lshlrev_b64 v[6:7], 3, v[0:1]
	v_lshl_add_u64 v[8:9], s[10:11], 0, v[6:7]
	v_lshl_add_u64 v[6:7], s[14:15], 0, v[6:7]
	s_waitcnt vmcnt(0)
	global_store_dwordx2 v[8:9], v[4:5], off
	global_store_dwordx2 v[6:7], v[2:3], off
.LBB154_8:
	s_mov_b64 s[2:3], 0
.LBB154_9:
	s_andn2_b64 vcc, exec, s[2:3]
	s_cbranch_vccnz .LBB154_24
; %bb.10:
	s_min_u32 s13, s12, s16
	s_add_i32 s2, s13, s17
	s_min_u32 s16, s2, s16
	s_min_u32 s2, s19, s13
	s_add_i32 s19, s19, s13
	v_subrev_u32_e32 v0, s19, v0
	v_add_u32_e32 v8, s2, v0
	s_mov_b32 s2, 0
	s_brev_b32 s3, 1
	s_waitcnt vmcnt(0)
	v_cmp_ne_u64_e32 vcc, s[2:3], v[4:5]
	v_bfrev_b32_e32 v6, 1
	s_mov_b64 s[2:3], -1
	v_cndmask_b32_e32 v1, 0, v5, vcc
	v_cndmask_b32_e32 v0, 0, v4, vcc
	v_cmp_lt_i64_e32 vcc, -1, v[0:1]
	v_ashrrev_i32_e32 v7, 31, v1
	v_xor_b32_e32 v0, v7, v0
	v_cndmask_b32_e32 v6, -1, v6, vcc
	v_xor_b32_e32 v1, v6, v1
	s_and_b64 vcc, exec, s[6:7]
	s_cbranch_vccz .LBB154_18
; %bb.11:
	s_and_saveexec_b64 s[2:3], s[4:5]
	s_cbranch_execz .LBB154_17
; %bb.12:
	s_cmp_ge_u32 s12, s16
	v_mov_b32_e32 v9, s13
	s_cbranch_scc1 .LBB154_16
; %bb.13:
	s_mov_b32 s6, 0
	s_mov_b64 s[4:5], 0
	v_mov_b32_e32 v10, s16
	v_mov_b32_e32 v9, s13
	;; [unrolled: 1-line block ×3, first 2 shown]
	s_brev_b32 s7, 1
	v_bfrev_b32_e32 v11, 1
.LBB154_14:                             ; =>This Inner Loop Header: Depth=1
	v_add_u32_e32 v6, v9, v10
	v_lshrrev_b32_e32 v6, 1, v6
	v_lshl_add_u64 v[12:13], v[6:7], 3, s[8:9]
	global_load_dwordx2 v[12:13], v[12:13], off
	v_add_u32_e32 v14, 1, v6
	s_waitcnt vmcnt(0)
	v_cmp_ne_u64_e32 vcc, s[6:7], v[12:13]
	s_nop 1
	v_cndmask_b32_e32 v13, 0, v13, vcc
	v_cndmask_b32_e32 v12, 0, v12, vcc
	v_cmp_lt_i64_e32 vcc, -1, v[12:13]
	v_ashrrev_i32_e32 v15, 31, v13
	v_xor_b32_e32 v12, v15, v12
	v_cndmask_b32_e32 v16, -1, v11, vcc
	v_xor_b32_e32 v13, v16, v13
	v_cmp_gt_u64_e32 vcc, v[0:1], v[12:13]
	s_nop 1
	v_cndmask_b32_e64 v15, 0, 1, vcc
	v_cmp_le_u64_e32 vcc, v[12:13], v[0:1]
	s_nop 1
	v_cndmask_b32_e64 v12, 0, 1, vcc
	v_cndmask_b32_e64 v12, v12, v15, s[0:1]
	v_and_b32_e32 v12, 1, v12
	v_cmp_eq_u32_e32 vcc, 1, v12
	s_nop 1
	v_cndmask_b32_e32 v10, v6, v10, vcc
	v_cndmask_b32_e32 v9, v9, v14, vcc
	v_cmp_ge_u32_e32 vcc, v9, v10
	s_or_b64 s[4:5], vcc, s[4:5]
	s_andn2_b64 exec, exec, s[4:5]
	s_cbranch_execnz .LBB154_14
; %bb.15:
	s_or_b64 exec, exec, s[4:5]
.LBB154_16:
	v_add_u32_e32 v6, v9, v8
	v_mov_b32_e32 v7, 0
	v_lshlrev_b64 v[6:7], 3, v[6:7]
	v_lshl_add_u64 v[10:11], s[10:11], 0, v[6:7]
	v_lshl_add_u64 v[6:7], s[14:15], 0, v[6:7]
	global_store_dwordx2 v[10:11], v[4:5], off
	global_store_dwordx2 v[6:7], v[2:3], off
.LBB154_17:
	s_or_b64 exec, exec, s[2:3]
	s_mov_b64 s[2:3], 0
.LBB154_18:
	s_andn2_b64 vcc, exec, s[2:3]
	s_cbranch_vccnz .LBB154_24
; %bb.19:
	s_cmp_ge_u32 s12, s16
	v_mov_b32_e32 v9, s13
	s_cbranch_scc1 .LBB154_23
; %bb.20:
	s_mov_b32 s4, 0
	s_mov_b64 s[2:3], 0
	v_mov_b32_e32 v10, s16
	v_mov_b32_e32 v9, s13
	;; [unrolled: 1-line block ×3, first 2 shown]
	s_brev_b32 s5, 1
	v_bfrev_b32_e32 v11, 1
.LBB154_21:                             ; =>This Inner Loop Header: Depth=1
	v_add_u32_e32 v6, v9, v10
	v_lshrrev_b32_e32 v6, 1, v6
	v_lshl_add_u64 v[12:13], v[6:7], 3, s[8:9]
	global_load_dwordx2 v[12:13], v[12:13], off
	v_add_u32_e32 v14, 1, v6
	s_waitcnt vmcnt(0)
	v_cmp_ne_u64_e32 vcc, s[4:5], v[12:13]
	s_nop 1
	v_cndmask_b32_e32 v13, 0, v13, vcc
	v_cndmask_b32_e32 v12, 0, v12, vcc
	v_cmp_lt_i64_e32 vcc, -1, v[12:13]
	v_ashrrev_i32_e32 v15, 31, v13
	v_xor_b32_e32 v12, v15, v12
	v_cndmask_b32_e32 v16, -1, v11, vcc
	v_xor_b32_e32 v13, v16, v13
	v_cmp_gt_u64_e32 vcc, v[0:1], v[12:13]
	s_nop 1
	v_cndmask_b32_e64 v15, 0, 1, vcc
	v_cmp_le_u64_e32 vcc, v[12:13], v[0:1]
	s_nop 1
	v_cndmask_b32_e64 v12, 0, 1, vcc
	v_cndmask_b32_e64 v12, v12, v15, s[0:1]
	v_and_b32_e32 v12, 1, v12
	v_cmp_eq_u32_e32 vcc, 1, v12
	s_nop 1
	v_cndmask_b32_e32 v10, v6, v10, vcc
	v_cndmask_b32_e32 v9, v9, v14, vcc
	v_cmp_ge_u32_e32 vcc, v9, v10
	s_or_b64 s[2:3], vcc, s[2:3]
	s_andn2_b64 exec, exec, s[2:3]
	s_cbranch_execnz .LBB154_21
; %bb.22:
	s_or_b64 exec, exec, s[2:3]
.LBB154_23:
	v_add_u32_e32 v0, v9, v8
	v_mov_b32_e32 v1, 0
	v_lshlrev_b64 v[0:1], 3, v[0:1]
	v_lshl_add_u64 v[6:7], s[10:11], 0, v[0:1]
	v_lshl_add_u64 v[0:1], s[14:15], 0, v[0:1]
	global_store_dwordx2 v[6:7], v[4:5], off
	global_store_dwordx2 v[0:1], v[2:3], off
.LBB154_24:
	s_endpgm
	.section	.rodata,"a",@progbits
	.p2align	6, 0x0
	.amdhsa_kernel _ZN7rocprim17ROCPRIM_304000_NS6detail33device_block_merge_oddeven_kernelINS1_37wrapped_merge_sort_block_merge_configINS0_14default_configEdN2at4cuda3cub6detail10OpaqueTypeILi8EEEEEPdSC_PSA_SD_jNS1_19radix_merge_compareILb0ELb0EdNS0_19identity_decomposerEEEEEvT0_T1_T2_T3_T4_SL_T5_
		.amdhsa_group_segment_fixed_size 0
		.amdhsa_private_segment_fixed_size 0
		.amdhsa_kernarg_size 44
		.amdhsa_user_sgpr_count 2
		.amdhsa_user_sgpr_dispatch_ptr 0
		.amdhsa_user_sgpr_queue_ptr 0
		.amdhsa_user_sgpr_kernarg_segment_ptr 1
		.amdhsa_user_sgpr_dispatch_id 0
		.amdhsa_user_sgpr_kernarg_preload_length 0
		.amdhsa_user_sgpr_kernarg_preload_offset 0
		.amdhsa_user_sgpr_private_segment_size 0
		.amdhsa_uses_dynamic_stack 0
		.amdhsa_enable_private_segment 0
		.amdhsa_system_sgpr_workgroup_id_x 1
		.amdhsa_system_sgpr_workgroup_id_y 0
		.amdhsa_system_sgpr_workgroup_id_z 0
		.amdhsa_system_sgpr_workgroup_info 0
		.amdhsa_system_vgpr_workitem_id 0
		.amdhsa_next_free_vgpr 17
		.amdhsa_next_free_sgpr 22
		.amdhsa_accum_offset 20
		.amdhsa_reserve_vcc 1
		.amdhsa_float_round_mode_32 0
		.amdhsa_float_round_mode_16_64 0
		.amdhsa_float_denorm_mode_32 3
		.amdhsa_float_denorm_mode_16_64 3
		.amdhsa_dx10_clamp 1
		.amdhsa_ieee_mode 1
		.amdhsa_fp16_overflow 0
		.amdhsa_tg_split 0
		.amdhsa_exception_fp_ieee_invalid_op 0
		.amdhsa_exception_fp_denorm_src 0
		.amdhsa_exception_fp_ieee_div_zero 0
		.amdhsa_exception_fp_ieee_overflow 0
		.amdhsa_exception_fp_ieee_underflow 0
		.amdhsa_exception_fp_ieee_inexact 0
		.amdhsa_exception_int_div_zero 0
	.end_amdhsa_kernel
	.section	.text._ZN7rocprim17ROCPRIM_304000_NS6detail33device_block_merge_oddeven_kernelINS1_37wrapped_merge_sort_block_merge_configINS0_14default_configEdN2at4cuda3cub6detail10OpaqueTypeILi8EEEEEPdSC_PSA_SD_jNS1_19radix_merge_compareILb0ELb0EdNS0_19identity_decomposerEEEEEvT0_T1_T2_T3_T4_SL_T5_,"axG",@progbits,_ZN7rocprim17ROCPRIM_304000_NS6detail33device_block_merge_oddeven_kernelINS1_37wrapped_merge_sort_block_merge_configINS0_14default_configEdN2at4cuda3cub6detail10OpaqueTypeILi8EEEEEPdSC_PSA_SD_jNS1_19radix_merge_compareILb0ELb0EdNS0_19identity_decomposerEEEEEvT0_T1_T2_T3_T4_SL_T5_,comdat
.Lfunc_end154:
	.size	_ZN7rocprim17ROCPRIM_304000_NS6detail33device_block_merge_oddeven_kernelINS1_37wrapped_merge_sort_block_merge_configINS0_14default_configEdN2at4cuda3cub6detail10OpaqueTypeILi8EEEEEPdSC_PSA_SD_jNS1_19radix_merge_compareILb0ELb0EdNS0_19identity_decomposerEEEEEvT0_T1_T2_T3_T4_SL_T5_, .Lfunc_end154-_ZN7rocprim17ROCPRIM_304000_NS6detail33device_block_merge_oddeven_kernelINS1_37wrapped_merge_sort_block_merge_configINS0_14default_configEdN2at4cuda3cub6detail10OpaqueTypeILi8EEEEEPdSC_PSA_SD_jNS1_19radix_merge_compareILb0ELb0EdNS0_19identity_decomposerEEEEEvT0_T1_T2_T3_T4_SL_T5_
                                        ; -- End function
	.set _ZN7rocprim17ROCPRIM_304000_NS6detail33device_block_merge_oddeven_kernelINS1_37wrapped_merge_sort_block_merge_configINS0_14default_configEdN2at4cuda3cub6detail10OpaqueTypeILi8EEEEEPdSC_PSA_SD_jNS1_19radix_merge_compareILb0ELb0EdNS0_19identity_decomposerEEEEEvT0_T1_T2_T3_T4_SL_T5_.num_vgpr, 17
	.set _ZN7rocprim17ROCPRIM_304000_NS6detail33device_block_merge_oddeven_kernelINS1_37wrapped_merge_sort_block_merge_configINS0_14default_configEdN2at4cuda3cub6detail10OpaqueTypeILi8EEEEEPdSC_PSA_SD_jNS1_19radix_merge_compareILb0ELb0EdNS0_19identity_decomposerEEEEEvT0_T1_T2_T3_T4_SL_T5_.num_agpr, 0
	.set _ZN7rocprim17ROCPRIM_304000_NS6detail33device_block_merge_oddeven_kernelINS1_37wrapped_merge_sort_block_merge_configINS0_14default_configEdN2at4cuda3cub6detail10OpaqueTypeILi8EEEEEPdSC_PSA_SD_jNS1_19radix_merge_compareILb0ELb0EdNS0_19identity_decomposerEEEEEvT0_T1_T2_T3_T4_SL_T5_.numbered_sgpr, 22
	.set _ZN7rocprim17ROCPRIM_304000_NS6detail33device_block_merge_oddeven_kernelINS1_37wrapped_merge_sort_block_merge_configINS0_14default_configEdN2at4cuda3cub6detail10OpaqueTypeILi8EEEEEPdSC_PSA_SD_jNS1_19radix_merge_compareILb0ELb0EdNS0_19identity_decomposerEEEEEvT0_T1_T2_T3_T4_SL_T5_.num_named_barrier, 0
	.set _ZN7rocprim17ROCPRIM_304000_NS6detail33device_block_merge_oddeven_kernelINS1_37wrapped_merge_sort_block_merge_configINS0_14default_configEdN2at4cuda3cub6detail10OpaqueTypeILi8EEEEEPdSC_PSA_SD_jNS1_19radix_merge_compareILb0ELb0EdNS0_19identity_decomposerEEEEEvT0_T1_T2_T3_T4_SL_T5_.private_seg_size, 0
	.set _ZN7rocprim17ROCPRIM_304000_NS6detail33device_block_merge_oddeven_kernelINS1_37wrapped_merge_sort_block_merge_configINS0_14default_configEdN2at4cuda3cub6detail10OpaqueTypeILi8EEEEEPdSC_PSA_SD_jNS1_19radix_merge_compareILb0ELb0EdNS0_19identity_decomposerEEEEEvT0_T1_T2_T3_T4_SL_T5_.uses_vcc, 1
	.set _ZN7rocprim17ROCPRIM_304000_NS6detail33device_block_merge_oddeven_kernelINS1_37wrapped_merge_sort_block_merge_configINS0_14default_configEdN2at4cuda3cub6detail10OpaqueTypeILi8EEEEEPdSC_PSA_SD_jNS1_19radix_merge_compareILb0ELb0EdNS0_19identity_decomposerEEEEEvT0_T1_T2_T3_T4_SL_T5_.uses_flat_scratch, 0
	.set _ZN7rocprim17ROCPRIM_304000_NS6detail33device_block_merge_oddeven_kernelINS1_37wrapped_merge_sort_block_merge_configINS0_14default_configEdN2at4cuda3cub6detail10OpaqueTypeILi8EEEEEPdSC_PSA_SD_jNS1_19radix_merge_compareILb0ELb0EdNS0_19identity_decomposerEEEEEvT0_T1_T2_T3_T4_SL_T5_.has_dyn_sized_stack, 0
	.set _ZN7rocprim17ROCPRIM_304000_NS6detail33device_block_merge_oddeven_kernelINS1_37wrapped_merge_sort_block_merge_configINS0_14default_configEdN2at4cuda3cub6detail10OpaqueTypeILi8EEEEEPdSC_PSA_SD_jNS1_19radix_merge_compareILb0ELb0EdNS0_19identity_decomposerEEEEEvT0_T1_T2_T3_T4_SL_T5_.has_recursion, 0
	.set _ZN7rocprim17ROCPRIM_304000_NS6detail33device_block_merge_oddeven_kernelINS1_37wrapped_merge_sort_block_merge_configINS0_14default_configEdN2at4cuda3cub6detail10OpaqueTypeILi8EEEEEPdSC_PSA_SD_jNS1_19radix_merge_compareILb0ELb0EdNS0_19identity_decomposerEEEEEvT0_T1_T2_T3_T4_SL_T5_.has_indirect_call, 0
	.section	.AMDGPU.csdata,"",@progbits
; Kernel info:
; codeLenInByte = 908
; TotalNumSgprs: 28
; NumVgprs: 17
; NumAgprs: 0
; TotalNumVgprs: 17
; ScratchSize: 0
; MemoryBound: 0
; FloatMode: 240
; IeeeMode: 1
; LDSByteSize: 0 bytes/workgroup (compile time only)
; SGPRBlocks: 3
; VGPRBlocks: 2
; NumSGPRsForWavesPerEU: 28
; NumVGPRsForWavesPerEU: 17
; AccumOffset: 20
; Occupancy: 8
; WaveLimiterHint : 0
; COMPUTE_PGM_RSRC2:SCRATCH_EN: 0
; COMPUTE_PGM_RSRC2:USER_SGPR: 2
; COMPUTE_PGM_RSRC2:TRAP_HANDLER: 0
; COMPUTE_PGM_RSRC2:TGID_X_EN: 1
; COMPUTE_PGM_RSRC2:TGID_Y_EN: 0
; COMPUTE_PGM_RSRC2:TGID_Z_EN: 0
; COMPUTE_PGM_RSRC2:TIDIG_COMP_CNT: 0
; COMPUTE_PGM_RSRC3_GFX90A:ACCUM_OFFSET: 4
; COMPUTE_PGM_RSRC3_GFX90A:TG_SPLIT: 0
	.section	.text._ZN7rocprim17ROCPRIM_304000_NS6detail26onesweep_histograms_kernelINS1_34wrapped_radix_sort_onesweep_configINS0_14default_configEdN2at4cuda3cub6detail10OpaqueTypeILi8EEEEELb0EPKdmNS0_19identity_decomposerEEEvT1_PT2_SG_SG_T3_jj,"axG",@progbits,_ZN7rocprim17ROCPRIM_304000_NS6detail26onesweep_histograms_kernelINS1_34wrapped_radix_sort_onesweep_configINS0_14default_configEdN2at4cuda3cub6detail10OpaqueTypeILi8EEEEELb0EPKdmNS0_19identity_decomposerEEEvT1_PT2_SG_SG_T3_jj,comdat
	.protected	_ZN7rocprim17ROCPRIM_304000_NS6detail26onesweep_histograms_kernelINS1_34wrapped_radix_sort_onesweep_configINS0_14default_configEdN2at4cuda3cub6detail10OpaqueTypeILi8EEEEELb0EPKdmNS0_19identity_decomposerEEEvT1_PT2_SG_SG_T3_jj ; -- Begin function _ZN7rocprim17ROCPRIM_304000_NS6detail26onesweep_histograms_kernelINS1_34wrapped_radix_sort_onesweep_configINS0_14default_configEdN2at4cuda3cub6detail10OpaqueTypeILi8EEEEELb0EPKdmNS0_19identity_decomposerEEEvT1_PT2_SG_SG_T3_jj
	.globl	_ZN7rocprim17ROCPRIM_304000_NS6detail26onesweep_histograms_kernelINS1_34wrapped_radix_sort_onesweep_configINS0_14default_configEdN2at4cuda3cub6detail10OpaqueTypeILi8EEEEELb0EPKdmNS0_19identity_decomposerEEEvT1_PT2_SG_SG_T3_jj
	.p2align	8
	.type	_ZN7rocprim17ROCPRIM_304000_NS6detail26onesweep_histograms_kernelINS1_34wrapped_radix_sort_onesweep_configINS0_14default_configEdN2at4cuda3cub6detail10OpaqueTypeILi8EEEEELb0EPKdmNS0_19identity_decomposerEEEvT1_PT2_SG_SG_T3_jj,@function
_ZN7rocprim17ROCPRIM_304000_NS6detail26onesweep_histograms_kernelINS1_34wrapped_radix_sort_onesweep_configINS0_14default_configEdN2at4cuda3cub6detail10OpaqueTypeILi8EEEEELb0EPKdmNS0_19identity_decomposerEEEvT1_PT2_SG_SG_T3_jj: ; @_ZN7rocprim17ROCPRIM_304000_NS6detail26onesweep_histograms_kernelINS1_34wrapped_radix_sort_onesweep_configINS0_14default_configEdN2at4cuda3cub6detail10OpaqueTypeILi8EEEEELb0EPKdmNS0_19identity_decomposerEEEvT1_PT2_SG_SG_T3_jj
; %bb.0:
	s_load_dwordx8 s[12:19], s[0:1], 0x0
	s_load_dwordx2 s[20:21], s[0:1], 0x24
	v_mov_b32_e32 v2, s2
	v_mov_b32_e32 v3, 0
	s_mul_hi_u32 s0, s2, 0xc000
	s_mul_i32 s2, s2, 0xc000
	s_waitcnt lgkmcnt(0)
	v_cmp_le_u64_e32 vcc, s[18:19], v[2:3]
	s_add_u32 s12, s12, s2
	s_addc_u32 s13, s13, s0
	s_mov_b64 s[0:1], -1
	v_lshlrev_b32_e32 v2, 3, v0
	s_cbranch_vccz .LBB155_44
; %bb.1:
	s_mul_i32 s0, s18, 0xffffe800
	s_add_i32 s16, s0, s16
	v_lshl_add_u64 v[16:17], s[12:13], 0, v[2:3]
	v_cmp_gt_u32_e64 s[10:11], s16, v0
                                        ; implicit-def: $vgpr14_vgpr15
	s_and_saveexec_b64 s[0:1], s[10:11]
	s_cbranch_execz .LBB155_3
; %bb.2:
	global_load_dwordx2 v[14:15], v[16:17], off
.LBB155_3:
	s_or_b64 exec, exec, s[0:1]
	v_or_b32_e32 v1, 0x400, v0
	v_cmp_gt_u32_e64 s[8:9], s16, v1
                                        ; implicit-def: $vgpr12_vgpr13
	s_and_saveexec_b64 s[0:1], s[8:9]
	s_cbranch_execz .LBB155_5
; %bb.4:
	v_add_co_u32_e32 v4, vcc, 0x2000, v16
	s_nop 1
	v_addc_co_u32_e32 v5, vcc, 0, v17, vcc
	global_load_dwordx2 v[12:13], v[4:5], off
.LBB155_5:
	s_or_b64 exec, exec, s[0:1]
	v_or_b32_e32 v1, 0x800, v0
	v_cmp_gt_u32_e64 s[6:7], s16, v1
                                        ; implicit-def: $vgpr10_vgpr11
	s_and_saveexec_b64 s[0:1], s[6:7]
	s_cbranch_execz .LBB155_7
; %bb.6:
	v_add_co_u32_e32 v4, vcc, 0x4000, v16
	s_nop 1
	v_addc_co_u32_e32 v5, vcc, 0, v17, vcc
	global_load_dwordx2 v[10:11], v[4:5], off
.LBB155_7:
	s_or_b64 exec, exec, s[0:1]
	v_or_b32_e32 v1, 0xc00, v0
	v_cmp_gt_u32_e64 s[4:5], s16, v1
                                        ; implicit-def: $vgpr8_vgpr9
	s_and_saveexec_b64 s[0:1], s[4:5]
	s_cbranch_execz .LBB155_9
; %bb.8:
	v_add_co_u32_e32 v4, vcc, 0x6000, v16
	s_nop 1
	v_addc_co_u32_e32 v5, vcc, 0, v17, vcc
	global_load_dwordx2 v[8:9], v[4:5], off
.LBB155_9:
	s_or_b64 exec, exec, s[0:1]
	v_or_b32_e32 v1, 0x1000, v0
	v_cmp_gt_u32_e64 s[2:3], s16, v1
                                        ; implicit-def: $vgpr6_vgpr7
	s_and_saveexec_b64 s[0:1], s[2:3]
	s_cbranch_execz .LBB155_11
; %bb.10:
	v_add_co_u32_e32 v4, vcc, 0x8000, v16
	s_nop 1
	v_addc_co_u32_e32 v5, vcc, 0, v17, vcc
	global_load_dwordx2 v[6:7], v[4:5], off
.LBB155_11:
	s_or_b64 exec, exec, s[0:1]
	v_or_b32_e32 v1, 0x1400, v0
	v_cmp_gt_u32_e64 s[0:1], s16, v1
                                        ; implicit-def: $vgpr4_vgpr5
	s_and_saveexec_b64 s[16:17], s[0:1]
	s_cbranch_execz .LBB155_13
; %bb.12:
	v_add_co_u32_e32 v4, vcc, 0xa000, v16
	s_nop 1
	v_addc_co_u32_e32 v5, vcc, 0, v17, vcc
	global_load_dwordx2 v[4:5], v[4:5], off
.LBB155_13:
	s_or_b64 exec, exec, s[16:17]
	s_cmp_gt_u32 s21, s20
	v_lshlrev_b32_e32 v1, 2, v0
	v_mov_b32_e32 v3, 0
	s_cselect_b64 s[16:17], -1, 0
	s_cmp_le_u32 s21, s20
	ds_write2st64_b32 v1, v3, v3 offset1:16
	ds_write2st64_b32 v1, v3, v3 offset0:32 offset1:48
	ds_write2st64_b32 v1, v3, v3 offset0:64 offset1:80
	;; [unrolled: 1-line block ×3, first 2 shown]
	s_waitcnt lgkmcnt(0)
	s_barrier
	s_cbranch_scc1 .LBB155_38
; %bb.14:
	v_bfrev_b32_e32 v3, 1
	s_waitcnt vmcnt(0)
	v_cmp_lt_i64_e32 vcc, -1, v[14:15]
	s_mov_b32 s18, -1
	v_ashrrev_i32_e32 v17, 31, v15
	v_cndmask_b32_e32 v16, -1, v3, vcc
	v_and_b32_e32 v1, 3, v0
	s_brev_b32 s19, -2
	v_xor_b32_e32 v15, v16, v15
	v_xor_b32_e32 v14, v17, v14
	v_cmp_ne_u64_e32 vcc, s[18:19], v[14:15]
	v_lshlrev_b32_e32 v1, 2, v1
	s_sub_i32 s22, s21, s20
	v_cndmask_b32_e32 v15, v3, v15, vcc
	v_cndmask_b32_e32 v14, 0, v14, vcc
	v_mov_b32_e32 v3, 1
	s_mov_b32 s23, s22
	v_mov_b32_e32 v16, v1
	s_mov_b32 s24, s20
	s_branch .LBB155_16
.LBB155_15:                             ;   in Loop: Header=BB155_16 Depth=1
	s_or_b64 exec, exec, s[18:19]
	s_add_i32 s24, s24, 8
	s_add_i32 s23, s23, -8
	s_cmp_ge_u32 s24, s21
	v_add_u32_e32 v16, 0x1000, v16
	s_cbranch_scc1 .LBB155_18
.LBB155_16:                             ; =>This Inner Loop Header: Depth=1
	s_and_saveexec_b64 s[18:19], s[10:11]
	s_cbranch_execz .LBB155_15
; %bb.17:                               ;   in Loop: Header=BB155_16 Depth=1
	s_min_u32 s25, s23, 8
	v_lshrrev_b64 v[18:19], s24, v[14:15]
	v_bfe_u32 v17, v18, 0, s25
	v_lshl_add_u32 v17, v17, 4, v16
	ds_add_u32 v17, v3
	s_branch .LBB155_15
.LBB155_18:
	v_bfrev_b32_e32 v3, 1
	v_cmp_lt_i64_e32 vcc, -1, v[12:13]
	s_mov_b32 s10, -1
	v_ashrrev_i32_e32 v15, 31, v13
	v_cndmask_b32_e32 v14, -1, v3, vcc
	s_brev_b32 s11, -2
	v_xor_b32_e32 v13, v14, v13
	v_xor_b32_e32 v12, v15, v12
	v_cmp_ne_u64_e32 vcc, s[10:11], v[12:13]
	s_mov_b32 s18, s22
	v_mov_b32_e32 v14, v1
	v_cndmask_b32_e32 v13, v3, v13, vcc
	v_cndmask_b32_e32 v12, 0, v12, vcc
	v_mov_b32_e32 v3, 1
	s_mov_b32 s19, s20
	s_branch .LBB155_20
.LBB155_19:                             ;   in Loop: Header=BB155_20 Depth=1
	s_or_b64 exec, exec, s[10:11]
	s_add_i32 s19, s19, 8
	s_add_i32 s18, s18, -8
	s_cmp_lt_u32 s19, s21
	v_add_u32_e32 v14, 0x1000, v14
	s_cbranch_scc0 .LBB155_22
.LBB155_20:                             ; =>This Inner Loop Header: Depth=1
	s_and_saveexec_b64 s[10:11], s[8:9]
	s_cbranch_execz .LBB155_19
; %bb.21:                               ;   in Loop: Header=BB155_20 Depth=1
	s_min_u32 s23, s18, 8
	v_lshrrev_b64 v[16:17], s19, v[12:13]
	v_bfe_u32 v15, v16, 0, s23
	v_lshl_add_u32 v15, v15, 4, v14
	ds_add_u32 v15, v3
	s_branch .LBB155_19
.LBB155_22:
	v_bfrev_b32_e32 v3, 1
	v_cmp_lt_i64_e32 vcc, -1, v[10:11]
	s_mov_b32 s8, -1
	v_ashrrev_i32_e32 v13, 31, v11
	v_cndmask_b32_e32 v12, -1, v3, vcc
	s_brev_b32 s9, -2
	v_xor_b32_e32 v11, v12, v11
	v_xor_b32_e32 v10, v13, v10
	v_cmp_ne_u64_e32 vcc, s[8:9], v[10:11]
	s_mov_b32 s10, s22
	v_mov_b32_e32 v12, v1
	v_cndmask_b32_e32 v11, v3, v11, vcc
	v_cndmask_b32_e32 v10, 0, v10, vcc
	v_mov_b32_e32 v3, 1
	s_mov_b32 s11, s20
	s_branch .LBB155_24
.LBB155_23:                             ;   in Loop: Header=BB155_24 Depth=1
	s_or_b64 exec, exec, s[8:9]
	s_add_i32 s11, s11, 8
	s_add_i32 s10, s10, -8
	s_cmp_lt_u32 s11, s21
	v_add_u32_e32 v12, 0x1000, v12
	s_cbranch_scc0 .LBB155_26
.LBB155_24:                             ; =>This Inner Loop Header: Depth=1
	s_and_saveexec_b64 s[8:9], s[6:7]
	s_cbranch_execz .LBB155_23
; %bb.25:                               ;   in Loop: Header=BB155_24 Depth=1
	s_min_u32 s18, s10, 8
	v_lshrrev_b64 v[14:15], s11, v[10:11]
	v_bfe_u32 v13, v14, 0, s18
	v_lshl_add_u32 v13, v13, 4, v12
	ds_add_u32 v13, v3
	s_branch .LBB155_23
.LBB155_26:
	;; [unrolled: 34-line block ×4, first 2 shown]
	v_bfrev_b32_e32 v3, 1
	v_cmp_lt_i64_e32 vcc, -1, v[4:5]
	s_mov_b32 s2, -1
	v_ashrrev_i32_e32 v7, 31, v5
	v_cndmask_b32_e32 v6, -1, v3, vcc
	s_brev_b32 s3, -2
	v_xor_b32_e32 v5, v6, v5
	v_xor_b32_e32 v4, v7, v4
	v_cmp_ne_u64_e32 vcc, s[2:3], v[4:5]
	s_mov_b32 s4, s20
	s_nop 0
	v_cndmask_b32_e32 v5, v3, v5, vcc
	v_cndmask_b32_e32 v4, 0, v4, vcc
	v_mov_b32_e32 v3, 1
	s_branch .LBB155_36
.LBB155_35:                             ;   in Loop: Header=BB155_36 Depth=1
	s_or_b64 exec, exec, s[2:3]
	s_add_i32 s4, s4, 8
	s_add_i32 s22, s22, -8
	s_cmp_lt_u32 s4, s21
	v_add_u32_e32 v1, 0x1000, v1
	s_cbranch_scc0 .LBB155_38
.LBB155_36:                             ; =>This Inner Loop Header: Depth=1
	s_and_saveexec_b64 s[2:3], s[0:1]
	s_cbranch_execz .LBB155_35
; %bb.37:                               ;   in Loop: Header=BB155_36 Depth=1
	s_min_u32 s5, s22, 8
	v_lshrrev_b64 v[6:7], s4, v[4:5]
	v_bfe_u32 v6, v6, 0, s5
	v_lshl_add_u32 v6, v6, 4, v1
	ds_add_u32 v6, v3
	s_branch .LBB155_35
.LBB155_38:
	s_and_b64 vcc, exec, s[16:17]
	s_waitcnt lgkmcnt(0)
	s_barrier
	s_cbranch_vccz .LBB155_43
; %bb.39:
	s_movk_i32 s0, 0x100
	v_cmp_gt_u32_e32 vcc, s0, v0
	v_lshlrev_b32_e32 v1, 4, v0
	s_waitcnt vmcnt(0)
	v_mov_b32_e32 v5, 0
	v_mov_b32_e32 v4, v0
	s_mov_b32 s2, s20
	s_branch .LBB155_41
.LBB155_40:                             ;   in Loop: Header=BB155_41 Depth=1
	s_or_b64 exec, exec, s[0:1]
	s_add_i32 s2, s2, 8
	v_add_u32_e32 v4, 0x100, v4
	s_cmp_lt_u32 s2, s21
	v_add_u32_e32 v1, 0x1000, v1
	s_cbranch_scc0 .LBB155_43
.LBB155_41:                             ; =>This Inner Loop Header: Depth=1
	s_and_saveexec_b64 s[0:1], vcc
	s_cbranch_execz .LBB155_40
; %bb.42:                               ;   in Loop: Header=BB155_41 Depth=1
	ds_read2_b32 v[6:7], v1 offset1:1
	ds_read2_b32 v[8:9], v1 offset0:2 offset1:3
	v_lshl_add_u64 v[10:11], v[4:5], 3, s[14:15]
	s_waitcnt lgkmcnt(1)
	v_add_u32_e32 v3, v7, v6
	s_waitcnt lgkmcnt(0)
	v_add3_u32 v6, v3, v8, v9
	v_mov_b32_e32 v7, v5
	global_atomic_add_x2 v[10:11], v[6:7], off
	s_branch .LBB155_40
.LBB155_43:
	s_mov_b64 s[0:1], 0
.LBB155_44:
	s_and_b64 vcc, exec, s[0:1]
	s_cbranch_vccz .LBB155_68
; %bb.45:
	v_mov_b32_e32 v3, 0
	s_waitcnt vmcnt(0)
	v_lshl_add_u64 v[8:9], s[12:13], 0, v[2:3]
	v_add_co_u32_e32 v14, vcc, 0x2000, v8
	s_cmp_eq_u32 s20, 0
	s_nop 0
	v_addc_co_u32_e32 v15, vcc, 0, v9, vcc
	v_add_co_u32_e32 v16, vcc, 0x4000, v8
	s_cselect_b64 s[0:1], -1, 0
	s_nop 0
	v_addc_co_u32_e32 v17, vcc, 0, v9, vcc
	v_add_co_u32_e32 v18, vcc, 0x6000, v8
	s_cmp_eq_u32 s21, 64
	s_nop 0
	v_addc_co_u32_e32 v19, vcc, 0, v9, vcc
	v_add_co_u32_e32 v20, vcc, 0x8000, v8
	s_cselect_b64 s[2:3], -1, 0
	s_nop 0
	v_addc_co_u32_e32 v21, vcc, 0, v9, vcc
	global_load_dwordx2 v[12:13], v[14:15], off
	global_load_dwordx2 v[10:11], v[16:17], off
	;; [unrolled: 1-line block ×4, first 2 shown]
	v_add_co_u32_e32 v16, vcc, 0xa000, v8
	s_and_b64 s[2:3], s[0:1], s[2:3]
	s_nop 0
	v_addc_co_u32_e32 v17, vcc, 0, v9, vcc
	global_load_dwordx2 v[14:15], v2, s[12:13]
	global_load_dwordx2 v[8:9], v[16:17], off
	s_mov_b64 s[0:1], -1
	s_and_b64 vcc, exec, s[2:3]
	v_lshlrev_b32_e32 v1, 2, v0
	s_cbranch_vccnz .LBB155_65
; %bb.46:
	s_cmp_gt_u32 s21, s20
	s_cselect_b64 s[0:1], -1, 0
	s_and_b64 vcc, exec, s[0:1]
	ds_write2st64_b32 v1, v3, v3 offset1:16
	ds_write2st64_b32 v1, v3, v3 offset0:32 offset1:48
	ds_write2st64_b32 v1, v3, v3 offset0:64 offset1:80
	;; [unrolled: 1-line block ×3, first 2 shown]
	s_waitcnt lgkmcnt(0)
	s_barrier
	s_cbranch_vccz .LBB155_59
; %bb.47:
	v_bfrev_b32_e32 v18, 1
	s_waitcnt vmcnt(1)
	v_cmp_lt_i64_e32 vcc, -1, v[14:15]
	s_mov_b32 s2, -1
	v_ashrrev_i32_e32 v19, 31, v15
	v_cndmask_b32_e32 v16, -1, v18, vcc
	v_and_b32_e32 v3, 3, v0
	s_brev_b32 s3, -2
	v_xor_b32_e32 v17, v16, v15
	v_xor_b32_e32 v16, v19, v14
	v_cmp_ne_u64_e32 vcc, s[2:3], v[16:17]
	v_lshlrev_b32_e32 v3, 2, v3
	s_sub_i32 s2, s21, s20
	v_cndmask_b32_e32 v17, v18, v17, vcc
	v_cndmask_b32_e32 v16, 0, v16, vcc
	v_mov_b32_e32 v18, 1
	s_mov_b32 s3, s2
	v_mov_b32_e32 v19, v3
	s_mov_b32 s4, s20
.LBB155_48:                             ; =>This Inner Loop Header: Depth=1
	s_min_u32 s5, s3, 8
	v_lshrrev_b64 v[20:21], s4, v[16:17]
	v_bfe_u32 v20, v20, 0, s5
	v_lshl_add_u32 v20, v20, 4, v19
	ds_add_u32 v20, v18
	s_add_i32 s4, s4, 8
	s_add_i32 s3, s3, -8
	s_cmp_ge_u32 s4, s21
	v_add_u32_e32 v19, 0x1000, v19
	s_cbranch_scc0 .LBB155_48
; %bb.49:
	v_bfrev_b32_e32 v18, 1
	v_cmp_lt_i64_e32 vcc, -1, v[12:13]
	s_mov_b32 s4, -1
	v_ashrrev_i32_e32 v19, 31, v13
	v_cndmask_b32_e32 v16, -1, v18, vcc
	s_brev_b32 s5, -2
	v_xor_b32_e32 v17, v16, v13
	v_xor_b32_e32 v16, v19, v12
	v_cmp_ne_u64_e32 vcc, s[4:5], v[16:17]
	s_mov_b32 s3, s2
	v_mov_b32_e32 v19, v3
	v_cndmask_b32_e32 v17, v18, v17, vcc
	v_cndmask_b32_e32 v16, 0, v16, vcc
	v_mov_b32_e32 v18, 1
	s_mov_b32 s4, s20
.LBB155_50:                             ; =>This Inner Loop Header: Depth=1
	s_min_u32 s5, s3, 8
	v_lshrrev_b64 v[20:21], s4, v[16:17]
	v_bfe_u32 v20, v20, 0, s5
	v_lshl_add_u32 v20, v20, 4, v19
	ds_add_u32 v20, v18
	s_add_i32 s4, s4, 8
	s_add_i32 s3, s3, -8
	s_cmp_lt_u32 s4, s21
	v_add_u32_e32 v19, 0x1000, v19
	s_cbranch_scc1 .LBB155_50
; %bb.51:
	v_bfrev_b32_e32 v18, 1
	v_cmp_lt_i64_e32 vcc, -1, v[10:11]
	s_mov_b32 s4, -1
	v_ashrrev_i32_e32 v19, 31, v11
	v_cndmask_b32_e32 v16, -1, v18, vcc
	s_brev_b32 s5, -2
	v_xor_b32_e32 v17, v16, v11
	v_xor_b32_e32 v16, v19, v10
	v_cmp_ne_u64_e32 vcc, s[4:5], v[16:17]
	s_mov_b32 s3, s2
	v_mov_b32_e32 v19, v3
	v_cndmask_b32_e32 v17, v18, v17, vcc
	v_cndmask_b32_e32 v16, 0, v16, vcc
	v_mov_b32_e32 v18, 1
	s_mov_b32 s4, s20
.LBB155_52:                             ; =>This Inner Loop Header: Depth=1
	s_min_u32 s5, s3, 8
	v_lshrrev_b64 v[20:21], s4, v[16:17]
	v_bfe_u32 v20, v20, 0, s5
	v_lshl_add_u32 v20, v20, 4, v19
	ds_add_u32 v20, v18
	s_add_i32 s4, s4, 8
	s_add_i32 s3, s3, -8
	s_cmp_lt_u32 s4, s21
	v_add_u32_e32 v19, 0x1000, v19
	s_cbranch_scc1 .LBB155_52
; %bb.53:
	v_bfrev_b32_e32 v18, 1
	v_cmp_lt_i64_e32 vcc, -1, v[6:7]
	s_mov_b32 s4, -1
	v_ashrrev_i32_e32 v19, 31, v7
	v_cndmask_b32_e32 v16, -1, v18, vcc
	s_brev_b32 s5, -2
	v_xor_b32_e32 v17, v16, v7
	v_xor_b32_e32 v16, v19, v6
	v_cmp_ne_u64_e32 vcc, s[4:5], v[16:17]
	s_mov_b32 s3, s2
	v_mov_b32_e32 v19, v3
	v_cndmask_b32_e32 v17, v18, v17, vcc
	v_cndmask_b32_e32 v16, 0, v16, vcc
	v_mov_b32_e32 v18, 1
	s_mov_b32 s4, s20
.LBB155_54:                             ; =>This Inner Loop Header: Depth=1
	s_min_u32 s5, s3, 8
	v_lshrrev_b64 v[20:21], s4, v[16:17]
	v_bfe_u32 v20, v20, 0, s5
	v_lshl_add_u32 v20, v20, 4, v19
	ds_add_u32 v20, v18
	s_add_i32 s4, s4, 8
	s_add_i32 s3, s3, -8
	s_cmp_lt_u32 s4, s21
	v_add_u32_e32 v19, 0x1000, v19
	s_cbranch_scc1 .LBB155_54
; %bb.55:
	v_bfrev_b32_e32 v18, 1
	v_cmp_lt_i64_e32 vcc, -1, v[4:5]
	s_mov_b32 s4, -1
	v_ashrrev_i32_e32 v19, 31, v5
	v_cndmask_b32_e32 v16, -1, v18, vcc
	s_brev_b32 s5, -2
	v_xor_b32_e32 v17, v16, v5
	v_xor_b32_e32 v16, v19, v4
	v_cmp_ne_u64_e32 vcc, s[4:5], v[16:17]
	s_mov_b32 s3, s2
	v_mov_b32_e32 v19, v3
	v_cndmask_b32_e32 v17, v18, v17, vcc
	v_cndmask_b32_e32 v16, 0, v16, vcc
	v_mov_b32_e32 v18, 1
	s_mov_b32 s4, s20
.LBB155_56:                             ; =>This Inner Loop Header: Depth=1
	s_min_u32 s5, s3, 8
	v_lshrrev_b64 v[20:21], s4, v[16:17]
	v_bfe_u32 v20, v20, 0, s5
	v_lshl_add_u32 v20, v20, 4, v19
	ds_add_u32 v20, v18
	s_add_i32 s4, s4, 8
	s_add_i32 s3, s3, -8
	s_cmp_lt_u32 s4, s21
	v_add_u32_e32 v19, 0x1000, v19
	s_cbranch_scc1 .LBB155_56
; %bb.57:
	v_bfrev_b32_e32 v18, 1
	s_waitcnt vmcnt(0)
	v_cmp_lt_i64_e32 vcc, -1, v[8:9]
	s_mov_b32 s4, -1
	v_ashrrev_i32_e32 v19, 31, v9
	v_cndmask_b32_e32 v16, -1, v18, vcc
	s_brev_b32 s5, -2
	v_xor_b32_e32 v17, v16, v9
	v_xor_b32_e32 v16, v19, v8
	v_cmp_ne_u64_e32 vcc, s[4:5], v[16:17]
	s_mov_b32 s3, s20
	s_nop 0
	v_cndmask_b32_e32 v17, v18, v17, vcc
	v_cndmask_b32_e32 v16, 0, v16, vcc
	v_mov_b32_e32 v18, 1
.LBB155_58:                             ; =>This Inner Loop Header: Depth=1
	s_min_u32 s4, s2, 8
	v_lshrrev_b64 v[20:21], s3, v[16:17]
	v_bfe_u32 v19, v20, 0, s4
	v_lshl_add_u32 v19, v19, 4, v3
	ds_add_u32 v19, v18
	s_add_i32 s3, s3, 8
	s_add_i32 s2, s2, -8
	s_cmp_lt_u32 s3, s21
	v_add_u32_e32 v3, 0x1000, v3
	s_cbranch_scc1 .LBB155_58
.LBB155_59:
	s_and_b64 vcc, exec, s[0:1]
	s_waitcnt lgkmcnt(0)
	s_barrier
	s_cbranch_vccz .LBB155_64
; %bb.60:
	s_movk_i32 s0, 0x100
	v_cmp_gt_u32_e32 vcc, s0, v0
	v_lshlrev_b32_e32 v3, 4, v0
	v_mov_b32_e32 v17, 0
	v_mov_b32_e32 v16, v0
	s_branch .LBB155_62
.LBB155_61:                             ;   in Loop: Header=BB155_62 Depth=1
	s_or_b64 exec, exec, s[0:1]
	s_add_i32 s20, s20, 8
	v_add_u32_e32 v16, 0x100, v16
	s_cmp_ge_u32 s20, s21
	v_add_u32_e32 v3, 0x1000, v3
	s_cbranch_scc1 .LBB155_64
.LBB155_62:                             ; =>This Inner Loop Header: Depth=1
	s_and_saveexec_b64 s[0:1], vcc
	s_cbranch_execz .LBB155_61
; %bb.63:                               ;   in Loop: Header=BB155_62 Depth=1
	ds_read2_b32 v[18:19], v3 offset1:1
	ds_read2_b32 v[20:21], v3 offset0:2 offset1:3
	v_lshl_add_u64 v[22:23], v[16:17], 3, s[14:15]
	s_waitcnt lgkmcnt(1)
	v_add_u32_e32 v18, v19, v18
	s_waitcnt lgkmcnt(0)
	v_add3_u32 v18, v18, v20, v21
	v_mov_b32_e32 v19, v17
	global_atomic_add_x2 v[22:23], v[18:19], off
	s_branch .LBB155_61
.LBB155_64:
	s_mov_b64 s[0:1], 0
.LBB155_65:
	s_and_b64 vcc, exec, s[0:1]
	s_cbranch_vccz .LBB155_68
; %bb.66:
	v_mov_b32_e32 v3, 0
	ds_write2st64_b32 v1, v3, v3 offset1:16
	ds_write2st64_b32 v1, v3, v3 offset0:32 offset1:48
	ds_write2st64_b32 v1, v3, v3 offset0:64 offset1:80
	;; [unrolled: 1-line block ×3, first 2 shown]
	v_bfrev_b32_e32 v1, 1
	s_waitcnt vmcnt(1)
	v_cmp_lt_i64_e32 vcc, -1, v[14:15]
	v_ashrrev_i32_e32 v17, 31, v15
	v_xor_b32_e32 v14, v17, v14
	v_cndmask_b32_e32 v16, -1, v1, vcc
	v_cmp_lt_i64_e32 vcc, -1, v[12:13]
	v_xor_b32_e32 v15, v16, v15
	v_ashrrev_i32_e32 v17, 31, v13
	v_cndmask_b32_e32 v16, -1, v1, vcc
	v_cmp_lt_i64_e32 vcc, -1, v[10:11]
	v_xor_b32_e32 v13, v16, v13
	s_mov_b32 s0, -1
	v_cndmask_b32_e32 v16, -1, v1, vcc
	v_cmp_lt_i64_e32 vcc, -1, v[6:7]
	v_xor_b32_e32 v12, v17, v12
	v_ashrrev_i32_e32 v17, 31, v11
	v_xor_b32_e32 v11, v16, v11
	v_cndmask_b32_e32 v16, -1, v1, vcc
	v_ashrrev_i32_e32 v18, 31, v7
	v_cmp_lt_i64_e32 vcc, -1, v[4:5]
	s_brev_b32 s1, -2
	v_xor_b32_e32 v10, v17, v10
	v_xor_b32_e32 v17, v16, v7
	;; [unrolled: 1-line block ×3, first 2 shown]
	v_cndmask_b32_e32 v6, -1, v1, vcc
	v_ashrrev_i32_e32 v18, 31, v5
	s_waitcnt vmcnt(0)
	v_cmp_lt_i64_e32 vcc, -1, v[8:9]
	v_xor_b32_e32 v7, v6, v5
	v_xor_b32_e32 v6, v18, v4
	v_cndmask_b32_e32 v4, -1, v1, vcc
	v_ashrrev_i32_e32 v18, 31, v9
	v_cmp_ne_u64_e32 vcc, s[0:1], v[14:15]
	v_xor_b32_e32 v5, v4, v9
	v_xor_b32_e32 v4, v18, v8
	v_and_b32_e32 v8, 3, v0
	v_cndmask_b32_e32 v14, 0, v14, vcc
	v_cndmask_b32_e32 v9, v1, v15, vcc
	v_lshlrev_b32_e32 v15, 4, v14
	v_lshlrev_b32_e32 v8, 2, v8
	s_movk_i32 s2, 0xff0
	v_and_or_b32 v15, v15, s2, v8
	v_mov_b32_e32 v18, 1
	s_waitcnt lgkmcnt(0)
	s_barrier
	ds_add_u32 v15, v18
	v_bfe_u32 v15, v14, 8, 8
	v_lshl_or_b32 v15, v15, 4, v8
	ds_add_u32 v15, v18 offset:4096
	v_bfe_u32 v15, v14, 16, 8
	v_lshl_or_b32 v15, v15, 4, v8
	ds_add_u32 v15, v18 offset:8192
	v_lshrrev_b32_e32 v15, 24, v14
	v_alignbit_b32 v14, v9, v14, 30
	v_lshl_or_b32 v15, v15, 4, v8
	v_and_b32_e32 v14, 0x3fc, v14
	ds_add_u32 v15, v18 offset:12288
	v_lshl_or_b32 v14, v14, 2, v8
	ds_add_u32 v14, v18 offset:16384
	v_bfe_u32 v14, v9, 8, 8
	v_lshl_or_b32 v14, v14, 4, v8
	ds_add_u32 v14, v18 offset:20480
	v_bfe_u32 v14, v9, 16, 8
	v_lshl_or_b32 v14, v14, 4, v8
	v_lshrrev_b32_e32 v9, 24, v9
	v_cmp_ne_u64_e32 vcc, s[0:1], v[12:13]
	ds_add_u32 v14, v18 offset:24576
	v_lshl_or_b32 v9, v9, 4, v8
	v_cndmask_b32_e32 v12, 0, v12, vcc
	ds_add_u32 v9, v18 offset:28672
	v_cndmask_b32_e32 v9, v1, v13, vcc
	v_lshlrev_b32_e32 v13, 4, v12
	v_and_or_b32 v13, v13, s2, v8
	ds_add_u32 v13, v18
	v_bfe_u32 v13, v12, 8, 8
	v_lshl_or_b32 v13, v13, 4, v8
	ds_add_u32 v13, v18 offset:4096
	v_bfe_u32 v13, v12, 16, 8
	v_lshl_or_b32 v13, v13, 4, v8
	ds_add_u32 v13, v18 offset:8192
	v_lshrrev_b32_e32 v13, 24, v12
	v_alignbit_b32 v12, v9, v12, 30
	v_lshl_or_b32 v13, v13, 4, v8
	v_and_b32_e32 v12, 0x3fc, v12
	ds_add_u32 v13, v18 offset:12288
	v_lshl_or_b32 v12, v12, 2, v8
	ds_add_u32 v12, v18 offset:16384
	v_bfe_u32 v12, v9, 8, 8
	v_lshl_or_b32 v12, v12, 4, v8
	ds_add_u32 v12, v18 offset:20480
	v_bfe_u32 v12, v9, 16, 8
	v_lshl_or_b32 v12, v12, 4, v8
	v_lshrrev_b32_e32 v9, 24, v9
	v_cmp_ne_u64_e32 vcc, s[0:1], v[10:11]
	ds_add_u32 v12, v18 offset:24576
	v_lshl_or_b32 v9, v9, 4, v8
	v_cndmask_b32_e32 v10, 0, v10, vcc
	ds_add_u32 v9, v18 offset:28672
	v_cndmask_b32_e32 v9, v1, v11, vcc
	v_lshlrev_b32_e32 v11, 4, v10
	v_and_or_b32 v11, v11, s2, v8
	ds_add_u32 v11, v18
	v_bfe_u32 v11, v10, 8, 8
	v_lshl_or_b32 v11, v11, 4, v8
	ds_add_u32 v11, v18 offset:4096
	v_bfe_u32 v11, v10, 16, 8
	v_lshl_or_b32 v11, v11, 4, v8
	ds_add_u32 v11, v18 offset:8192
	v_lshrrev_b32_e32 v11, 24, v10
	v_alignbit_b32 v10, v9, v10, 30
	v_lshl_or_b32 v11, v11, 4, v8
	v_and_b32_e32 v10, 0x3fc, v10
	ds_add_u32 v11, v18 offset:12288
	v_lshl_or_b32 v10, v10, 2, v8
	ds_add_u32 v10, v18 offset:16384
	v_bfe_u32 v10, v9, 8, 8
	v_lshl_or_b32 v10, v10, 4, v8
	ds_add_u32 v10, v18 offset:20480
	v_bfe_u32 v10, v9, 16, 8
	v_lshl_or_b32 v10, v10, 4, v8
	v_cmp_ne_u64_e32 vcc, s[0:1], v[16:17]
	ds_add_u32 v10, v18 offset:24576
	v_lshrrev_b32_e32 v9, 24, v9
	v_cndmask_b32_e32 v10, 0, v16, vcc
	v_lshl_or_b32 v9, v9, 4, v8
	v_lshlrev_b32_e32 v11, 4, v10
	ds_add_u32 v9, v18 offset:28672
	v_and_or_b32 v11, v11, s2, v8
	ds_add_u32 v11, v18
	v_bfe_u32 v11, v10, 8, 8
	v_lshl_or_b32 v11, v11, 4, v8
	ds_add_u32 v11, v18 offset:4096
	v_bfe_u32 v11, v10, 16, 8
	v_cndmask_b32_e32 v9, v1, v17, vcc
	v_lshl_or_b32 v11, v11, 4, v8
	ds_add_u32 v11, v18 offset:8192
	v_lshrrev_b32_e32 v11, 24, v10
	v_alignbit_b32 v10, v9, v10, 30
	v_lshl_or_b32 v11, v11, 4, v8
	v_and_b32_e32 v10, 0x3fc, v10
	ds_add_u32 v11, v18 offset:12288
	v_lshl_or_b32 v10, v10, 2, v8
	ds_add_u32 v10, v18 offset:16384
	v_bfe_u32 v10, v9, 8, 8
	v_lshl_or_b32 v10, v10, 4, v8
	ds_add_u32 v10, v18 offset:20480
	v_bfe_u32 v10, v9, 16, 8
	v_lshl_or_b32 v10, v10, 4, v8
	v_lshrrev_b32_e32 v9, 24, v9
	v_cmp_ne_u64_e32 vcc, s[0:1], v[6:7]
	ds_add_u32 v10, v18 offset:24576
	v_lshl_or_b32 v9, v9, 4, v8
	v_cndmask_b32_e32 v6, 0, v6, vcc
	ds_add_u32 v9, v18 offset:28672
	v_lshlrev_b32_e32 v9, 4, v6
	v_and_or_b32 v9, v9, s2, v8
	ds_add_u32 v9, v18
	v_bfe_u32 v9, v6, 8, 8
	v_lshl_or_b32 v9, v9, 4, v8
	ds_add_u32 v9, v18 offset:4096
	v_bfe_u32 v9, v6, 16, 8
	v_cndmask_b32_e32 v7, v1, v7, vcc
	v_lshl_or_b32 v9, v9, 4, v8
	ds_add_u32 v9, v18 offset:8192
	v_lshrrev_b32_e32 v9, 24, v6
	v_alignbit_b32 v6, v7, v6, 30
	v_lshl_or_b32 v9, v9, 4, v8
	v_and_b32_e32 v6, 0x3fc, v6
	ds_add_u32 v9, v18 offset:12288
	v_lshl_or_b32 v6, v6, 2, v8
	ds_add_u32 v6, v18 offset:16384
	v_bfe_u32 v6, v7, 8, 8
	v_lshl_or_b32 v6, v6, 4, v8
	ds_add_u32 v6, v18 offset:20480
	v_bfe_u32 v6, v7, 16, 8
	v_lshl_or_b32 v6, v6, 4, v8
	v_cmp_ne_u64_e32 vcc, s[0:1], v[4:5]
	ds_add_u32 v6, v18 offset:24576
	v_lshrrev_b32_e32 v6, 24, v7
	v_cndmask_b32_e32 v4, 0, v4, vcc
	v_lshl_or_b32 v6, v6, 4, v8
	v_cndmask_b32_e32 v1, v1, v5, vcc
	v_lshlrev_b32_e32 v5, 4, v4
	ds_add_u32 v6, v18 offset:28672
	v_and_or_b32 v5, v5, s2, v8
	ds_add_u32 v5, v18
	v_bfe_u32 v5, v4, 8, 8
	v_lshl_or_b32 v5, v5, 4, v8
	ds_add_u32 v5, v18 offset:4096
	v_bfe_u32 v5, v4, 16, 8
	v_lshl_or_b32 v5, v5, 4, v8
	ds_add_u32 v5, v18 offset:8192
	v_lshrrev_b32_e32 v5, 24, v4
	v_alignbit_b32 v4, v1, v4, 30
	v_lshl_or_b32 v5, v5, 4, v8
	v_and_b32_e32 v4, 0x3fc, v4
	ds_add_u32 v5, v18 offset:12288
	v_lshl_or_b32 v4, v4, 2, v8
	ds_add_u32 v4, v18 offset:16384
	v_bfe_u32 v4, v1, 8, 8
	v_lshl_or_b32 v4, v4, 4, v8
	ds_add_u32 v4, v18 offset:20480
	v_bfe_u32 v4, v1, 16, 8
	v_lshl_or_b32 v4, v4, 4, v8
	v_lshrrev_b32_e32 v1, 24, v1
	ds_add_u32 v4, v18 offset:24576
	v_lshl_or_b32 v1, v1, 4, v8
	ds_add_u32 v1, v18 offset:28672
	s_movk_i32 s0, 0x100
	v_cmp_gt_u32_e32 vcc, s0, v0
	s_waitcnt lgkmcnt(0)
	s_barrier
	s_and_saveexec_b64 s[0:1], vcc
	s_cbranch_execz .LBB155_68
; %bb.67:
	v_lshlrev_b32_e32 v12, 4, v0
	ds_read2_b32 v[0:1], v12 offset1:1
	ds_read2_b32 v[4:5], v12 offset0:2 offset1:3
	v_mov_b32_e32 v7, v3
	v_add_u32_e32 v8, 0x1000, v12
	v_add_u32_e32 v9, 0x1008, v12
	s_waitcnt lgkmcnt(1)
	v_add_u32_e32 v0, v1, v0
	s_waitcnt lgkmcnt(0)
	v_add3_u32 v6, v0, v4, v5
	global_atomic_add_x2 v2, v[6:7], s[14:15]
	ds_read2_b32 v[0:1], v8 offset1:1
	ds_read2_b32 v[4:5], v9 offset1:1
	v_add_u32_e32 v8, 0x2000, v12
	v_add_u32_e32 v9, 0x2008, v12
	s_movk_i32 s1, 0x2000
	s_waitcnt lgkmcnt(1)
	v_add_u32_e32 v0, v1, v0
	s_waitcnt lgkmcnt(0)
	v_add3_u32 v6, v0, v4, v5
	global_atomic_add_x2 v2, v[6:7], s[14:15] offset:2048
	ds_read2_b32 v[0:1], v8 offset1:1
	ds_read2_b32 v[4:5], v9 offset1:1
	v_lshl_add_u64 v[6:7], s[14:15], 0, v[2:3]
	v_add_u32_e32 v8, 0x3008, v12
	s_movk_i32 s0, 0x1000
	s_waitcnt lgkmcnt(1)
	v_add_u32_e32 v0, v1, v0
	s_waitcnt lgkmcnt(0)
	v_add3_u32 v2, v0, v4, v5
	v_add_co_u32_e32 v0, vcc, s1, v6
	s_nop 1
	v_addc_co_u32_e32 v1, vcc, 0, v7, vcc
	global_atomic_add_x2 v[0:1], v[2:3], off offset:-4096
	v_add_u32_e32 v2, 0x3000, v12
	ds_read2_b32 v[4:5], v2 offset1:1
	ds_read2_b32 v[8:9], v8 offset1:1
	v_add_co_u32_e32 v10, vcc, s0, v6
	s_movk_i32 s0, 0x3000
	s_waitcnt lgkmcnt(1)
	v_add_u32_e32 v2, v5, v4
	v_addc_co_u32_e32 v11, vcc, 0, v7, vcc
	s_waitcnt lgkmcnt(0)
	v_add3_u32 v2, v2, v8, v9
	global_atomic_add_x2 v[10:11], v[2:3], off offset:2048
	v_or_b32_e32 v2, 0x4000, v12
	v_or_b32_e32 v8, 0x4008, v12
	ds_read2_b32 v[4:5], v2 offset1:1
	ds_read2_b32 v[8:9], v8 offset1:1
	s_waitcnt lgkmcnt(1)
	v_add_u32_e32 v2, v5, v4
	s_waitcnt lgkmcnt(0)
	v_add3_u32 v2, v2, v8, v9
	global_atomic_add_x2 v[0:1], v[2:3], off
	v_add_u32_e32 v2, 0x5000, v12
	v_add_u32_e32 v8, 0x5008, v12
	ds_read2_b32 v[4:5], v2 offset1:1
	ds_read2_b32 v[8:9], v8 offset1:1
	s_waitcnt lgkmcnt(1)
	v_add_u32_e32 v2, v5, v4
	s_waitcnt lgkmcnt(0)
	v_add3_u32 v2, v2, v8, v9
	global_atomic_add_x2 v[0:1], v[2:3], off offset:2048
	v_add_u32_e32 v0, 0x6000, v12
	v_add_u32_e32 v2, 0x6008, v12
	ds_read2_b32 v[0:1], v0 offset1:1
	ds_read2_b32 v[4:5], v2 offset1:1
	s_waitcnt lgkmcnt(1)
	v_add_u32_e32 v0, v1, v0
	s_waitcnt lgkmcnt(0)
	v_add3_u32 v2, v0, v4, v5
	v_add_co_u32_e32 v0, vcc, s0, v6
	v_add_u32_e32 v6, 0x7008, v12
	s_nop 0
	v_addc_co_u32_e32 v1, vcc, 0, v7, vcc
	global_atomic_add_x2 v[0:1], v[2:3], off
	v_add_u32_e32 v2, 0x7000, v12
	ds_read2_b32 v[4:5], v2 offset1:1
	ds_read2_b32 v[6:7], v6 offset1:1
	s_waitcnt lgkmcnt(1)
	v_add_u32_e32 v2, v5, v4
	s_waitcnt lgkmcnt(0)
	v_add3_u32 v2, v2, v6, v7
	global_atomic_add_x2 v[0:1], v[2:3], off offset:2048
.LBB155_68:
	s_endpgm
	.section	.rodata,"a",@progbits
	.p2align	6, 0x0
	.amdhsa_kernel _ZN7rocprim17ROCPRIM_304000_NS6detail26onesweep_histograms_kernelINS1_34wrapped_radix_sort_onesweep_configINS0_14default_configEdN2at4cuda3cub6detail10OpaqueTypeILi8EEEEELb0EPKdmNS0_19identity_decomposerEEEvT1_PT2_SG_SG_T3_jj
		.amdhsa_group_segment_fixed_size 32768
		.amdhsa_private_segment_fixed_size 0
		.amdhsa_kernarg_size 44
		.amdhsa_user_sgpr_count 2
		.amdhsa_user_sgpr_dispatch_ptr 0
		.amdhsa_user_sgpr_queue_ptr 0
		.amdhsa_user_sgpr_kernarg_segment_ptr 1
		.amdhsa_user_sgpr_dispatch_id 0
		.amdhsa_user_sgpr_kernarg_preload_length 0
		.amdhsa_user_sgpr_kernarg_preload_offset 0
		.amdhsa_user_sgpr_private_segment_size 0
		.amdhsa_uses_dynamic_stack 0
		.amdhsa_enable_private_segment 0
		.amdhsa_system_sgpr_workgroup_id_x 1
		.amdhsa_system_sgpr_workgroup_id_y 0
		.amdhsa_system_sgpr_workgroup_id_z 0
		.amdhsa_system_sgpr_workgroup_info 0
		.amdhsa_system_vgpr_workitem_id 0
		.amdhsa_next_free_vgpr 24
		.amdhsa_next_free_sgpr 26
		.amdhsa_accum_offset 24
		.amdhsa_reserve_vcc 1
		.amdhsa_float_round_mode_32 0
		.amdhsa_float_round_mode_16_64 0
		.amdhsa_float_denorm_mode_32 3
		.amdhsa_float_denorm_mode_16_64 3
		.amdhsa_dx10_clamp 1
		.amdhsa_ieee_mode 1
		.amdhsa_fp16_overflow 0
		.amdhsa_tg_split 0
		.amdhsa_exception_fp_ieee_invalid_op 0
		.amdhsa_exception_fp_denorm_src 0
		.amdhsa_exception_fp_ieee_div_zero 0
		.amdhsa_exception_fp_ieee_overflow 0
		.amdhsa_exception_fp_ieee_underflow 0
		.amdhsa_exception_fp_ieee_inexact 0
		.amdhsa_exception_int_div_zero 0
	.end_amdhsa_kernel
	.section	.text._ZN7rocprim17ROCPRIM_304000_NS6detail26onesweep_histograms_kernelINS1_34wrapped_radix_sort_onesweep_configINS0_14default_configEdN2at4cuda3cub6detail10OpaqueTypeILi8EEEEELb0EPKdmNS0_19identity_decomposerEEEvT1_PT2_SG_SG_T3_jj,"axG",@progbits,_ZN7rocprim17ROCPRIM_304000_NS6detail26onesweep_histograms_kernelINS1_34wrapped_radix_sort_onesweep_configINS0_14default_configEdN2at4cuda3cub6detail10OpaqueTypeILi8EEEEELb0EPKdmNS0_19identity_decomposerEEEvT1_PT2_SG_SG_T3_jj,comdat
.Lfunc_end155:
	.size	_ZN7rocprim17ROCPRIM_304000_NS6detail26onesweep_histograms_kernelINS1_34wrapped_radix_sort_onesweep_configINS0_14default_configEdN2at4cuda3cub6detail10OpaqueTypeILi8EEEEELb0EPKdmNS0_19identity_decomposerEEEvT1_PT2_SG_SG_T3_jj, .Lfunc_end155-_ZN7rocprim17ROCPRIM_304000_NS6detail26onesweep_histograms_kernelINS1_34wrapped_radix_sort_onesweep_configINS0_14default_configEdN2at4cuda3cub6detail10OpaqueTypeILi8EEEEELb0EPKdmNS0_19identity_decomposerEEEvT1_PT2_SG_SG_T3_jj
                                        ; -- End function
	.set _ZN7rocprim17ROCPRIM_304000_NS6detail26onesweep_histograms_kernelINS1_34wrapped_radix_sort_onesweep_configINS0_14default_configEdN2at4cuda3cub6detail10OpaqueTypeILi8EEEEELb0EPKdmNS0_19identity_decomposerEEEvT1_PT2_SG_SG_T3_jj.num_vgpr, 24
	.set _ZN7rocprim17ROCPRIM_304000_NS6detail26onesweep_histograms_kernelINS1_34wrapped_radix_sort_onesweep_configINS0_14default_configEdN2at4cuda3cub6detail10OpaqueTypeILi8EEEEELb0EPKdmNS0_19identity_decomposerEEEvT1_PT2_SG_SG_T3_jj.num_agpr, 0
	.set _ZN7rocprim17ROCPRIM_304000_NS6detail26onesweep_histograms_kernelINS1_34wrapped_radix_sort_onesweep_configINS0_14default_configEdN2at4cuda3cub6detail10OpaqueTypeILi8EEEEELb0EPKdmNS0_19identity_decomposerEEEvT1_PT2_SG_SG_T3_jj.numbered_sgpr, 26
	.set _ZN7rocprim17ROCPRIM_304000_NS6detail26onesweep_histograms_kernelINS1_34wrapped_radix_sort_onesweep_configINS0_14default_configEdN2at4cuda3cub6detail10OpaqueTypeILi8EEEEELb0EPKdmNS0_19identity_decomposerEEEvT1_PT2_SG_SG_T3_jj.num_named_barrier, 0
	.set _ZN7rocprim17ROCPRIM_304000_NS6detail26onesweep_histograms_kernelINS1_34wrapped_radix_sort_onesweep_configINS0_14default_configEdN2at4cuda3cub6detail10OpaqueTypeILi8EEEEELb0EPKdmNS0_19identity_decomposerEEEvT1_PT2_SG_SG_T3_jj.private_seg_size, 0
	.set _ZN7rocprim17ROCPRIM_304000_NS6detail26onesweep_histograms_kernelINS1_34wrapped_radix_sort_onesweep_configINS0_14default_configEdN2at4cuda3cub6detail10OpaqueTypeILi8EEEEELb0EPKdmNS0_19identity_decomposerEEEvT1_PT2_SG_SG_T3_jj.uses_vcc, 1
	.set _ZN7rocprim17ROCPRIM_304000_NS6detail26onesweep_histograms_kernelINS1_34wrapped_radix_sort_onesweep_configINS0_14default_configEdN2at4cuda3cub6detail10OpaqueTypeILi8EEEEELb0EPKdmNS0_19identity_decomposerEEEvT1_PT2_SG_SG_T3_jj.uses_flat_scratch, 0
	.set _ZN7rocprim17ROCPRIM_304000_NS6detail26onesweep_histograms_kernelINS1_34wrapped_radix_sort_onesweep_configINS0_14default_configEdN2at4cuda3cub6detail10OpaqueTypeILi8EEEEELb0EPKdmNS0_19identity_decomposerEEEvT1_PT2_SG_SG_T3_jj.has_dyn_sized_stack, 0
	.set _ZN7rocprim17ROCPRIM_304000_NS6detail26onesweep_histograms_kernelINS1_34wrapped_radix_sort_onesweep_configINS0_14default_configEdN2at4cuda3cub6detail10OpaqueTypeILi8EEEEELb0EPKdmNS0_19identity_decomposerEEEvT1_PT2_SG_SG_T3_jj.has_recursion, 0
	.set _ZN7rocprim17ROCPRIM_304000_NS6detail26onesweep_histograms_kernelINS1_34wrapped_radix_sort_onesweep_configINS0_14default_configEdN2at4cuda3cub6detail10OpaqueTypeILi8EEEEELb0EPKdmNS0_19identity_decomposerEEEvT1_PT2_SG_SG_T3_jj.has_indirect_call, 0
	.section	.AMDGPU.csdata,"",@progbits
; Kernel info:
; codeLenInByte = 4528
; TotalNumSgprs: 32
; NumVgprs: 24
; NumAgprs: 0
; TotalNumVgprs: 24
; ScratchSize: 0
; MemoryBound: 0
; FloatMode: 240
; IeeeMode: 1
; LDSByteSize: 32768 bytes/workgroup (compile time only)
; SGPRBlocks: 3
; VGPRBlocks: 2
; NumSGPRsForWavesPerEU: 32
; NumVGPRsForWavesPerEU: 24
; AccumOffset: 24
; Occupancy: 8
; WaveLimiterHint : 1
; COMPUTE_PGM_RSRC2:SCRATCH_EN: 0
; COMPUTE_PGM_RSRC2:USER_SGPR: 2
; COMPUTE_PGM_RSRC2:TRAP_HANDLER: 0
; COMPUTE_PGM_RSRC2:TGID_X_EN: 1
; COMPUTE_PGM_RSRC2:TGID_Y_EN: 0
; COMPUTE_PGM_RSRC2:TGID_Z_EN: 0
; COMPUTE_PGM_RSRC2:TIDIG_COMP_CNT: 0
; COMPUTE_PGM_RSRC3_GFX90A:ACCUM_OFFSET: 5
; COMPUTE_PGM_RSRC3_GFX90A:TG_SPLIT: 0
	.section	.text._ZN7rocprim17ROCPRIM_304000_NS6detail25onesweep_iteration_kernelINS1_34wrapped_radix_sort_onesweep_configINS0_14default_configEdN2at4cuda3cub6detail10OpaqueTypeILi8EEEEELb0EPKdPdPKSA_PSA_mNS0_19identity_decomposerEEEvT1_T2_T3_T4_jPT5_SO_PNS1_23onesweep_lookback_stateET6_jjj,"axG",@progbits,_ZN7rocprim17ROCPRIM_304000_NS6detail25onesweep_iteration_kernelINS1_34wrapped_radix_sort_onesweep_configINS0_14default_configEdN2at4cuda3cub6detail10OpaqueTypeILi8EEEEELb0EPKdPdPKSA_PSA_mNS0_19identity_decomposerEEEvT1_T2_T3_T4_jPT5_SO_PNS1_23onesweep_lookback_stateET6_jjj,comdat
	.protected	_ZN7rocprim17ROCPRIM_304000_NS6detail25onesweep_iteration_kernelINS1_34wrapped_radix_sort_onesweep_configINS0_14default_configEdN2at4cuda3cub6detail10OpaqueTypeILi8EEEEELb0EPKdPdPKSA_PSA_mNS0_19identity_decomposerEEEvT1_T2_T3_T4_jPT5_SO_PNS1_23onesweep_lookback_stateET6_jjj ; -- Begin function _ZN7rocprim17ROCPRIM_304000_NS6detail25onesweep_iteration_kernelINS1_34wrapped_radix_sort_onesweep_configINS0_14default_configEdN2at4cuda3cub6detail10OpaqueTypeILi8EEEEELb0EPKdPdPKSA_PSA_mNS0_19identity_decomposerEEEvT1_T2_T3_T4_jPT5_SO_PNS1_23onesweep_lookback_stateET6_jjj
	.globl	_ZN7rocprim17ROCPRIM_304000_NS6detail25onesweep_iteration_kernelINS1_34wrapped_radix_sort_onesweep_configINS0_14default_configEdN2at4cuda3cub6detail10OpaqueTypeILi8EEEEELb0EPKdPdPKSA_PSA_mNS0_19identity_decomposerEEEvT1_T2_T3_T4_jPT5_SO_PNS1_23onesweep_lookback_stateET6_jjj
	.p2align	8
	.type	_ZN7rocprim17ROCPRIM_304000_NS6detail25onesweep_iteration_kernelINS1_34wrapped_radix_sort_onesweep_configINS0_14default_configEdN2at4cuda3cub6detail10OpaqueTypeILi8EEEEELb0EPKdPdPKSA_PSA_mNS0_19identity_decomposerEEEvT1_T2_T3_T4_jPT5_SO_PNS1_23onesweep_lookback_stateET6_jjj,@function
_ZN7rocprim17ROCPRIM_304000_NS6detail25onesweep_iteration_kernelINS1_34wrapped_radix_sort_onesweep_configINS0_14default_configEdN2at4cuda3cub6detail10OpaqueTypeILi8EEEEELb0EPKdPdPKSA_PSA_mNS0_19identity_decomposerEEEvT1_T2_T3_T4_jPT5_SO_PNS1_23onesweep_lookback_stateET6_jjj: ; @_ZN7rocprim17ROCPRIM_304000_NS6detail25onesweep_iteration_kernelINS1_34wrapped_radix_sort_onesweep_configINS0_14default_configEdN2at4cuda3cub6detail10OpaqueTypeILi8EEEEELb0EPKdPdPKSA_PSA_mNS0_19identity_decomposerEEEvT1_T2_T3_T4_jPT5_SO_PNS1_23onesweep_lookback_stateET6_jjj
; %bb.0:
	s_load_dwordx4 s[48:51], s[0:1], 0x44
	s_load_dwordx8 s[36:43], s[0:1], 0x0
	s_load_dwordx4 s[44:47], s[0:1], 0x28
	s_load_dwordx2 s[30:31], s[0:1], 0x38
	s_mov_b64 s[4:5], -1
	s_waitcnt lgkmcnt(0)
	s_cmp_ge_u32 s2, s50
	s_mul_i32 s34, s2, 0x1800
	v_mbcnt_lo_u32_b32 v1, -1, 0
	s_cbranch_scc0 .LBB156_96
; %bb.1:
	s_load_dword s3, s[0:1], 0x20
	s_mul_i32 s4, s50, 0xffffe800
	s_mov_b32 s35, 0
	s_lshl_b64 s[50:51], s[34:35], 3
	v_mbcnt_hi_u32_b32 v7, -1, v1
	s_waitcnt lgkmcnt(0)
	s_add_i32 s35, s4, s3
	s_add_u32 s4, s36, s50
	v_and_b32_e32 v2, 0x3c0, v0
	s_addc_u32 s5, s37, s51
	v_mul_u32_u24_e32 v6, 6, v2
	v_mov_b32_e32 v3, 0
	v_lshlrev_b32_e32 v2, 3, v7
	v_lshl_add_u64 v[8:9], s[4:5], 0, v[2:3]
	v_lshlrev_b32_e32 v4, 3, v6
	v_mov_b32_e32 v5, v3
	v_or_b32_e32 v3, v7, v6
	v_mov_b32_e32 v14, -1
	v_bfrev_b32_e32 v15, -2
	v_lshl_add_u64 v[20:21], v[8:9], 0, v[4:5]
	v_cmp_gt_u32_e32 vcc, s35, v3
	v_mov_b64_e32 v[8:9], v[14:15]
	s_and_saveexec_b64 s[4:5], vcc
	s_cbranch_execz .LBB156_3
; %bb.2:
	global_load_dwordx2 v[8:9], v[20:21], off
.LBB156_3:
	s_or_b64 exec, exec, s[4:5]
	v_add_u32_e32 v5, 64, v3
	v_cmp_gt_u32_e64 s[26:27], s35, v5
	s_and_saveexec_b64 s[4:5], s[26:27]
	s_cbranch_execz .LBB156_5
; %bb.4:
	global_load_dwordx2 v[14:15], v[20:21], off offset:512
.LBB156_5:
	s_or_b64 exec, exec, s[4:5]
	v_add_u32_e32 v5, 0x80, v3
	v_mov_b32_e32 v18, -1
	v_bfrev_b32_e32 v19, -2
	v_cmp_gt_u32_e64 s[4:5], s35, v5
	v_mov_b64_e32 v[16:17], v[18:19]
	s_and_saveexec_b64 s[6:7], s[4:5]
	s_cbranch_execz .LBB156_7
; %bb.6:
	global_load_dwordx2 v[16:17], v[20:21], off offset:1024
.LBB156_7:
	s_or_b64 exec, exec, s[6:7]
	v_add_u32_e32 v5, 0xc0, v3
	v_cmp_gt_u32_e64 s[6:7], s35, v5
	s_and_saveexec_b64 s[8:9], s[6:7]
	s_cbranch_execz .LBB156_9
; %bb.8:
	global_load_dwordx2 v[18:19], v[20:21], off offset:1536
.LBB156_9:
	s_or_b64 exec, exec, s[8:9]
	v_add_u32_e32 v5, 0x100, v3
	v_mov_b32_e32 v10, -1
	v_bfrev_b32_e32 v11, -2
	v_cmp_gt_u32_e64 s[8:9], s35, v5
	v_mov_b64_e32 v[12:13], v[10:11]
	s_and_saveexec_b64 s[10:11], s[8:9]
	s_cbranch_execz .LBB156_11
; %bb.10:
	global_load_dwordx2 v[12:13], v[20:21], off offset:2048
.LBB156_11:
	s_or_b64 exec, exec, s[10:11]
	v_add_u32_e32 v3, 0x140, v3
	s_mov_b32 s14, -1
	v_and_b32_e32 v6, 0x3ff, v0
	v_cmp_gt_u32_e64 s[10:11], s35, v3
	s_brev_b32 s15, -2
	s_and_saveexec_b64 s[12:13], s[10:11]
	s_cbranch_execz .LBB156_13
; %bb.12:
	global_load_dwordx2 v[10:11], v[20:21], off offset:2560
.LBB156_13:
	s_or_b64 exec, exec, s[12:13]
	s_load_dword s12, s[0:1], 0x5c
	s_load_dword s3, s[0:1], 0x50
	s_add_u32 s13, s0, 0x50
	s_addc_u32 s16, s1, 0
	v_mov_b32_e32 v21, 0
	s_waitcnt lgkmcnt(0)
	s_lshr_b32 s17, s12, 16
	s_cmp_lt_u32 s2, s3
	s_cselect_b32 s12, 12, 18
	s_add_u32 s12, s13, s12
	s_addc_u32 s13, s16, 0
	global_load_ushort v5, v21, s[12:13]
	v_bfrev_b32_e32 v25, 1
	s_waitcnt vmcnt(1)
	v_cmp_lt_i64_e64 s[12:13], -1, v[8:9]
	v_ashrrev_i32_e32 v20, 31, v9
	v_xor_b32_e32 v8, v20, v8
	v_cndmask_b32_e64 v27, -1, v25, s[12:13]
	v_xor_b32_e32 v9, v27, v9
	v_cmp_ne_u64_e64 s[12:13], s[14:15], v[8:9]
	v_bfe_u32 v23, v0, 10, 10
	v_bfe_u32 v24, v0, 20, 10
	v_cndmask_b32_e64 v35, v25, v9, s[12:13]
	v_cndmask_b32_e64 v34, 0, v8, s[12:13]
	v_lshrrev_b64 v[34:35], s48, v[34:35]
	s_lshl_b32 s12, -1, s49
	v_bitop3_b32 v38, v34, s12, v34 bitop3:0x30
	v_mad_u32_u24 v24, v24, s17, v23
	v_and_b32_e32 v20, 1, v38
	v_lshlrev_b32_e32 v23, 30, v38
	v_mov_b32_e32 v22, v21
	v_mov_b32_e32 v28, v21
	s_not_b32 s33, s12
	v_lshlrev_b32_e32 v27, 29, v38
	v_lshlrev_b32_e32 v29, 28, v38
	v_lshl_add_u64 v[36:37], v[20:21], 0, -1
	v_cmp_ne_u32_e64 s[12:13], 0, v20
	v_not_b32_e32 v20, v23
	v_mov_b32_e32 v26, v21
	v_mov_b32_e32 v30, v21
	v_lshlrev_b32_e32 v31, 27, v38
	v_cmp_gt_i64_e64 s[14:15], 0, v[22:23]
	v_not_b32_e32 v22, v27
	v_cmp_gt_i64_e64 s[18:19], 0, v[28:29]
	v_xor_b32_e32 v28, s13, v37
	v_ashrrev_i32_e32 v20, 31, v20
	v_cmp_gt_i64_e64 s[16:17], 0, v[26:27]
	v_not_b32_e32 v23, v29
	v_cmp_gt_i64_e64 s[20:21], 0, v[30:31]
	v_xor_b32_e32 v29, s12, v36
	v_ashrrev_i32_e32 v22, 31, v22
	v_and_b32_e32 v28, exec_hi, v28
	v_xor_b32_e32 v30, s15, v20
	v_mov_b32_e32 v32, v21
	v_lshlrev_b32_e32 v33, 26, v38
	v_not_b32_e32 v26, v31
	v_ashrrev_i32_e32 v23, 31, v23
	v_and_b32_e32 v29, exec_lo, v29
	v_xor_b32_e32 v20, s14, v20
	v_xor_b32_e32 v31, s17, v22
	v_and_b32_e32 v28, v28, v30
	v_cmp_gt_i64_e64 s[22:23], 0, v[32:33]
	v_not_b32_e32 v27, v33
	v_ashrrev_i32_e32 v26, 31, v26
	v_xor_b32_e32 v22, s16, v22
	v_xor_b32_e32 v32, s19, v23
	v_and_b32_e32 v20, v29, v20
	v_and_b32_e32 v28, v28, v31
	v_ashrrev_i32_e32 v27, 31, v27
	v_xor_b32_e32 v23, s18, v23
	v_xor_b32_e32 v33, s21, v26
	v_and_b32_e32 v20, v20, v22
	v_and_b32_e32 v22, v28, v32
	v_xor_b32_e32 v26, s20, v26
	v_xor_b32_e32 v36, s23, v27
	v_and_b32_e32 v20, v20, v23
	v_and_b32_e32 v22, v22, v33
	s_movk_i32 s24, 0x44
	v_and_b32_e32 v20, v20, v26
	v_and_b32_e32 v26, v22, v36
	v_mul_lo_u32 v34, v38, s24
	v_lshlrev_b32_e32 v35, 25, v38
	v_xor_b32_e32 v27, s22, v27
	v_and_b32_e32 v20, v20, v27
	v_mul_u32_u24_e32 v3, 20, v6
	ds_write2_b32 v3, v21, v21 offset0:16 offset1:17
	ds_write2_b32 v3, v21, v21 offset0:18 offset1:19
	ds_write_b32 v3, v21 offset:80
	s_waitcnt lgkmcnt(0)
	s_barrier
	s_waitcnt vmcnt(0)
	; wave barrier
	v_mad_u64_u32 v[22:23], s[12:13], v24, v5, v[6:7]
	v_lshrrev_b32_e32 v31, 6, v22
	v_lshl_add_u32 v24, v31, 2, v34
	v_mov_b32_e32 v34, v21
	v_not_b32_e32 v5, v35
	v_cmp_gt_i64_e64 s[12:13], 0, v[34:35]
	v_ashrrev_i32_e32 v5, 31, v5
	v_lshlrev_b32_e32 v23, 24, v38
	v_xor_b32_e32 v22, s13, v5
	v_xor_b32_e32 v5, s12, v5
	v_and_b32_e32 v26, v26, v22
	v_and_b32_e32 v5, v20, v5
	v_mov_b32_e32 v22, v21
	v_not_b32_e32 v20, v23
	v_cmp_gt_i64_e64 s[12:13], 0, v[22:23]
	v_ashrrev_i32_e32 v20, 31, v20
	s_nop 0
	v_xor_b32_e32 v22, s13, v20
	v_xor_b32_e32 v20, s12, v20
	v_and_b32_e32 v23, v26, v22
	v_and_b32_e32 v22, v5, v20
	v_mbcnt_lo_u32_b32 v5, v22, 0
	v_mbcnt_hi_u32_b32 v5, v23, v5
	v_cmp_eq_u32_e64 s[12:13], 0, v5
	v_cmp_ne_u64_e64 s[14:15], 0, v[22:23]
	s_and_b64 s[14:15], s[14:15], s[12:13]
	s_and_saveexec_b64 s[12:13], s[14:15]
; %bb.14:
	v_bcnt_u32_b32 v20, v22, 0
	v_bcnt_u32_b32 v20, v23, v20
	ds_write_b32 v24, v20 offset:64
; %bb.15:
	s_or_b64 exec, exec, s[12:13]
	v_cmp_lt_i64_e64 s[12:13], -1, v[14:15]
	s_mov_b32 s16, -1
	v_ashrrev_i32_e32 v22, 31, v15
	v_cndmask_b32_e64 v20, -1, v25, s[12:13]
	s_brev_b32 s17, -2
	v_xor_b32_e32 v15, v20, v15
	v_xor_b32_e32 v14, v22, v14
	v_cmp_ne_u64_e64 s[12:13], s[16:17], v[14:15]
	; wave barrier
	s_nop 1
	v_cndmask_b32_e64 v23, v25, v15, s[12:13]
	v_cndmask_b32_e64 v22, 0, v14, s[12:13]
	v_lshrrev_b64 v[22:23], s48, v[22:23]
	v_and_b32_e32 v27, s33, v22
	v_mul_lo_u32 v20, v27, s24
	v_lshl_add_u32 v26, v31, 2, v20
	v_and_b32_e32 v20, 1, v27
	v_lshl_add_u64 v[22:23], v[20:21], 0, -1
	v_cmp_ne_u32_e64 s[12:13], 0, v20
	ds_read_b32 v25, v26 offset:64
	s_nop 0
	v_xor_b32_e32 v22, s12, v22
	v_xor_b32_e32 v20, s13, v23
	v_and_b32_e32 v28, exec_lo, v22
	v_lshlrev_b32_e32 v23, 30, v27
	v_mov_b32_e32 v22, v21
	v_cmp_gt_i64_e64 s[12:13], 0, v[22:23]
	v_not_b32_e32 v22, v23
	v_ashrrev_i32_e32 v22, 31, v22
	v_and_b32_e32 v20, exec_hi, v20
	v_xor_b32_e32 v23, s13, v22
	v_xor_b32_e32 v22, s12, v22
	v_and_b32_e32 v20, v20, v23
	v_and_b32_e32 v28, v28, v22
	v_lshlrev_b32_e32 v23, 29, v27
	v_mov_b32_e32 v22, v21
	v_cmp_gt_i64_e64 s[12:13], 0, v[22:23]
	v_not_b32_e32 v22, v23
	v_ashrrev_i32_e32 v22, 31, v22
	v_xor_b32_e32 v23, s13, v22
	v_xor_b32_e32 v22, s12, v22
	v_and_b32_e32 v20, v20, v23
	v_and_b32_e32 v28, v28, v22
	v_lshlrev_b32_e32 v23, 28, v27
	v_mov_b32_e32 v22, v21
	v_cmp_gt_i64_e64 s[12:13], 0, v[22:23]
	v_not_b32_e32 v22, v23
	v_ashrrev_i32_e32 v22, 31, v22
	;; [unrolled: 9-line block ×5, first 2 shown]
	v_xor_b32_e32 v23, s13, v22
	v_xor_b32_e32 v22, s12, v22
	v_and_b32_e32 v20, v20, v23
	v_lshlrev_b32_e32 v23, 24, v27
	v_and_b32_e32 v28, v28, v22
	v_mov_b32_e32 v22, v21
	v_not_b32_e32 v21, v23
	v_cmp_gt_i64_e64 s[12:13], 0, v[22:23]
	v_ashrrev_i32_e32 v21, 31, v21
	; wave barrier
	s_nop 0
	v_xor_b32_e32 v22, s13, v21
	v_xor_b32_e32 v23, s12, v21
	v_and_b32_e32 v21, v20, v22
	v_and_b32_e32 v20, v28, v23
	v_mbcnt_lo_u32_b32 v22, v20, 0
	v_mbcnt_hi_u32_b32 v27, v21, v22
	v_cmp_eq_u32_e64 s[12:13], 0, v27
	v_cmp_ne_u64_e64 s[14:15], 0, v[20:21]
	s_and_b64 s[14:15], s[14:15], s[12:13]
	s_and_saveexec_b64 s[12:13], s[14:15]
	s_cbranch_execz .LBB156_17
; %bb.16:
	v_bcnt_u32_b32 v20, v20, 0
	v_bcnt_u32_b32 v20, v21, v20
	s_waitcnt lgkmcnt(0)
	v_add_u32_e32 v20, v25, v20
	ds_write_b32 v26, v20 offset:64
.LBB156_17:
	s_or_b64 exec, exec, s[12:13]
	v_bfrev_b32_e32 v32, 1
	v_cmp_lt_i64_e64 s[12:13], -1, v[16:17]
	v_ashrrev_i32_e32 v21, 31, v17
	v_xor_b32_e32 v16, v21, v16
	v_cndmask_b32_e64 v20, -1, v32, s[12:13]
	v_xor_b32_e32 v17, v20, v17
	v_cmp_ne_u64_e64 s[12:13], s[16:17], v[16:17]
	s_movk_i32 s18, 0x44
	s_nop 0
	v_cndmask_b32_e64 v21, v32, v17, s[12:13]
	v_cndmask_b32_e64 v20, 0, v16, s[12:13]
	v_lshrrev_b64 v[20:21], s48, v[20:21]
	v_and_b32_e32 v30, s33, v20
	v_mul_lo_u32 v20, v30, s18
	v_lshl_add_u32 v29, v31, 2, v20
	v_and_b32_e32 v20, 1, v30
	v_mov_b32_e32 v21, 0
	v_lshl_add_u64 v[22:23], v[20:21], 0, -1
	v_cmp_ne_u32_e64 s[12:13], 0, v20
	; wave barrier
	ds_read_b32 v28, v29 offset:64
	s_nop 0
	v_xor_b32_e32 v22, s12, v22
	v_xor_b32_e32 v20, s13, v23
	v_and_b32_e32 v33, exec_lo, v22
	v_lshlrev_b32_e32 v23, 30, v30
	v_mov_b32_e32 v22, v21
	v_cmp_gt_i64_e64 s[12:13], 0, v[22:23]
	v_not_b32_e32 v22, v23
	v_ashrrev_i32_e32 v22, 31, v22
	v_and_b32_e32 v20, exec_hi, v20
	v_xor_b32_e32 v23, s13, v22
	v_xor_b32_e32 v22, s12, v22
	v_and_b32_e32 v20, v20, v23
	v_and_b32_e32 v33, v33, v22
	v_lshlrev_b32_e32 v23, 29, v30
	v_mov_b32_e32 v22, v21
	v_cmp_gt_i64_e64 s[12:13], 0, v[22:23]
	v_not_b32_e32 v22, v23
	v_ashrrev_i32_e32 v22, 31, v22
	v_xor_b32_e32 v23, s13, v22
	v_xor_b32_e32 v22, s12, v22
	v_and_b32_e32 v20, v20, v23
	v_and_b32_e32 v33, v33, v22
	v_lshlrev_b32_e32 v23, 28, v30
	v_mov_b32_e32 v22, v21
	v_cmp_gt_i64_e64 s[12:13], 0, v[22:23]
	v_not_b32_e32 v22, v23
	v_ashrrev_i32_e32 v22, 31, v22
	;; [unrolled: 9-line block ×6, first 2 shown]
	v_xor_b32_e32 v23, s13, v22
	v_xor_b32_e32 v22, s12, v22
	v_and_b32_e32 v22, v33, v22
	v_and_b32_e32 v23, v20, v23
	v_mbcnt_lo_u32_b32 v20, v22, 0
	v_mbcnt_hi_u32_b32 v30, v23, v20
	v_cmp_eq_u32_e64 s[12:13], 0, v30
	v_cmp_ne_u64_e64 s[14:15], 0, v[22:23]
	s_and_b64 s[14:15], s[14:15], s[12:13]
	; wave barrier
	s_and_saveexec_b64 s[12:13], s[14:15]
	s_cbranch_execz .LBB156_19
; %bb.18:
	v_bcnt_u32_b32 v20, v22, 0
	v_bcnt_u32_b32 v20, v23, v20
	s_waitcnt lgkmcnt(0)
	v_add_u32_e32 v20, v28, v20
	ds_write_b32 v29, v20 offset:64
.LBB156_19:
	s_or_b64 exec, exec, s[12:13]
	v_cmp_lt_i64_e64 s[12:13], -1, v[18:19]
	v_ashrrev_i32_e32 v22, 31, v19
	v_xor_b32_e32 v18, v22, v18
	v_cndmask_b32_e64 v20, -1, v32, s[12:13]
	v_xor_b32_e32 v19, v20, v19
	v_cmp_ne_u64_e64 s[12:13], s[16:17], v[18:19]
	; wave barrier
	s_nop 1
	v_cndmask_b32_e64 v23, v32, v19, s[12:13]
	v_cndmask_b32_e64 v22, 0, v18, s[12:13]
	v_lshrrev_b64 v[22:23], s48, v[22:23]
	v_and_b32_e32 v33, s33, v22
	v_mul_lo_u32 v20, v33, s18
	v_lshl_add_u32 v32, v31, 2, v20
	v_and_b32_e32 v20, 1, v33
	v_lshl_add_u64 v[22:23], v[20:21], 0, -1
	v_cmp_ne_u32_e64 s[12:13], 0, v20
	ds_read_b32 v34, v32 offset:64
	s_nop 0
	v_xor_b32_e32 v22, s12, v22
	v_xor_b32_e32 v20, s13, v23
	v_and_b32_e32 v35, exec_lo, v22
	v_lshlrev_b32_e32 v23, 30, v33
	v_mov_b32_e32 v22, v21
	v_cmp_gt_i64_e64 s[12:13], 0, v[22:23]
	v_not_b32_e32 v22, v23
	v_ashrrev_i32_e32 v22, 31, v22
	v_and_b32_e32 v20, exec_hi, v20
	v_xor_b32_e32 v23, s13, v22
	v_xor_b32_e32 v22, s12, v22
	v_and_b32_e32 v20, v20, v23
	v_and_b32_e32 v35, v35, v22
	v_lshlrev_b32_e32 v23, 29, v33
	v_mov_b32_e32 v22, v21
	v_cmp_gt_i64_e64 s[12:13], 0, v[22:23]
	v_not_b32_e32 v22, v23
	v_ashrrev_i32_e32 v22, 31, v22
	v_xor_b32_e32 v23, s13, v22
	v_xor_b32_e32 v22, s12, v22
	v_and_b32_e32 v20, v20, v23
	v_and_b32_e32 v35, v35, v22
	v_lshlrev_b32_e32 v23, 28, v33
	v_mov_b32_e32 v22, v21
	v_cmp_gt_i64_e64 s[12:13], 0, v[22:23]
	v_not_b32_e32 v22, v23
	v_ashrrev_i32_e32 v22, 31, v22
	;; [unrolled: 9-line block ×5, first 2 shown]
	v_xor_b32_e32 v23, s13, v22
	v_xor_b32_e32 v22, s12, v22
	v_and_b32_e32 v20, v20, v23
	v_lshlrev_b32_e32 v23, 24, v33
	v_and_b32_e32 v35, v35, v22
	v_mov_b32_e32 v22, v21
	v_not_b32_e32 v21, v23
	v_cmp_gt_i64_e64 s[12:13], 0, v[22:23]
	v_ashrrev_i32_e32 v21, 31, v21
	; wave barrier
	s_nop 0
	v_xor_b32_e32 v22, s13, v21
	v_xor_b32_e32 v23, s12, v21
	v_and_b32_e32 v21, v20, v22
	v_and_b32_e32 v20, v35, v23
	v_mbcnt_lo_u32_b32 v22, v20, 0
	v_mbcnt_hi_u32_b32 v35, v21, v22
	v_cmp_eq_u32_e64 s[12:13], 0, v35
	v_cmp_ne_u64_e64 s[14:15], 0, v[20:21]
	s_and_b64 s[14:15], s[14:15], s[12:13]
	s_and_saveexec_b64 s[12:13], s[14:15]
	s_cbranch_execz .LBB156_21
; %bb.20:
	v_bcnt_u32_b32 v20, v20, 0
	v_bcnt_u32_b32 v20, v21, v20
	s_waitcnt lgkmcnt(0)
	v_add_u32_e32 v20, v34, v20
	ds_write_b32 v32, v20 offset:64
.LBB156_21:
	s_or_b64 exec, exec, s[12:13]
	v_bfrev_b32_e32 v38, 1
	v_cmp_lt_i64_e64 s[12:13], -1, v[12:13]
	v_ashrrev_i32_e32 v22, 31, v13
	s_nop 0
	v_cndmask_b32_e64 v20, -1, v38, s[12:13]
	v_xor_b32_e32 v21, v20, v13
	v_xor_b32_e32 v20, v22, v12
	v_cmp_ne_u64_e64 s[12:13], s[16:17], v[20:21]
	s_movk_i32 s16, 0x44
	; wave barrier
	s_nop 0
	v_cndmask_b32_e64 v13, v38, v21, s[12:13]
	v_cndmask_b32_e64 v12, 0, v20, s[12:13]
	v_lshrrev_b64 v[12:13], s48, v[12:13]
	v_and_b32_e32 v37, s33, v12
	v_mul_lo_u32 v12, v37, s16
	v_lshl_add_u32 v33, v31, 2, v12
	v_and_b32_e32 v12, 1, v37
	v_mov_b32_e32 v13, 0
	v_lshl_add_u64 v[22:23], v[12:13], 0, -1
	v_cmp_ne_u32_e64 s[12:13], 0, v12
	ds_read_b32 v36, v33 offset:64
	s_nop 0
	v_xor_b32_e32 v22, s12, v22
	v_xor_b32_e32 v12, s13, v23
	v_and_b32_e32 v39, exec_lo, v22
	v_lshlrev_b32_e32 v23, 30, v37
	v_mov_b32_e32 v22, v13
	v_cmp_gt_i64_e64 s[12:13], 0, v[22:23]
	v_not_b32_e32 v22, v23
	v_ashrrev_i32_e32 v22, 31, v22
	v_and_b32_e32 v12, exec_hi, v12
	v_xor_b32_e32 v23, s13, v22
	v_xor_b32_e32 v22, s12, v22
	v_and_b32_e32 v12, v12, v23
	v_and_b32_e32 v39, v39, v22
	v_lshlrev_b32_e32 v23, 29, v37
	v_mov_b32_e32 v22, v13
	v_cmp_gt_i64_e64 s[12:13], 0, v[22:23]
	v_not_b32_e32 v22, v23
	v_ashrrev_i32_e32 v22, 31, v22
	v_xor_b32_e32 v23, s13, v22
	v_xor_b32_e32 v22, s12, v22
	v_and_b32_e32 v12, v12, v23
	v_and_b32_e32 v39, v39, v22
	v_lshlrev_b32_e32 v23, 28, v37
	v_mov_b32_e32 v22, v13
	v_cmp_gt_i64_e64 s[12:13], 0, v[22:23]
	v_not_b32_e32 v22, v23
	v_ashrrev_i32_e32 v22, 31, v22
	;; [unrolled: 9-line block ×6, first 2 shown]
	v_xor_b32_e32 v23, s13, v22
	v_xor_b32_e32 v22, s12, v22
	v_and_b32_e32 v22, v39, v22
	v_and_b32_e32 v23, v12, v23
	v_mbcnt_lo_u32_b32 v12, v22, 0
	v_mbcnt_hi_u32_b32 v37, v23, v12
	v_cmp_eq_u32_e64 s[12:13], 0, v37
	v_cmp_ne_u64_e64 s[14:15], 0, v[22:23]
	s_and_b64 s[14:15], s[14:15], s[12:13]
	; wave barrier
	s_and_saveexec_b64 s[12:13], s[14:15]
	s_cbranch_execz .LBB156_23
; %bb.22:
	v_bcnt_u32_b32 v12, v22, 0
	v_bcnt_u32_b32 v12, v23, v12
	s_waitcnt lgkmcnt(0)
	v_add_u32_e32 v12, v36, v12
	ds_write_b32 v33, v12 offset:64
.LBB156_23:
	s_or_b64 exec, exec, s[12:13]
	v_cmp_lt_i64_e64 s[12:13], -1, v[10:11]
	s_mov_b32 s14, -1
	v_ashrrev_i32_e32 v22, 31, v11
	v_cndmask_b32_e64 v12, -1, v38, s[12:13]
	s_brev_b32 s15, -2
	v_xor_b32_e32 v23, v12, v11
	v_xor_b32_e32 v22, v22, v10
	v_cmp_ne_u64_e64 s[12:13], s[14:15], v[22:23]
	; wave barrier
	s_nop 1
	v_cndmask_b32_e64 v11, v38, v23, s[12:13]
	v_cndmask_b32_e64 v10, 0, v22, s[12:13]
	v_lshrrev_b64 v[10:11], s48, v[10:11]
	v_and_b32_e32 v39, s33, v10
	v_mul_lo_u32 v10, v39, s16
	v_and_b32_e32 v12, 1, v39
	v_lshl_add_u32 v38, v31, 2, v10
	v_lshl_add_u64 v[10:11], v[12:13], 0, -1
	v_cmp_ne_u32_e64 s[12:13], 0, v12
	ds_read_b32 v31, v38 offset:64
	s_nop 0
	v_xor_b32_e32 v11, s13, v11
	v_xor_b32_e32 v10, s12, v10
	v_and_b32_e32 v12, exec_hi, v11
	v_and_b32_e32 v40, exec_lo, v10
	v_lshlrev_b32_e32 v11, 30, v39
	v_mov_b32_e32 v10, v13
	v_cmp_gt_i64_e64 s[12:13], 0, v[10:11]
	v_not_b32_e32 v10, v11
	v_ashrrev_i32_e32 v10, 31, v10
	v_xor_b32_e32 v11, s13, v10
	v_xor_b32_e32 v10, s12, v10
	v_and_b32_e32 v12, v12, v11
	v_and_b32_e32 v40, v40, v10
	v_lshlrev_b32_e32 v11, 29, v39
	v_mov_b32_e32 v10, v13
	v_cmp_gt_i64_e64 s[12:13], 0, v[10:11]
	v_not_b32_e32 v10, v11
	v_ashrrev_i32_e32 v10, 31, v10
	v_xor_b32_e32 v11, s13, v10
	v_xor_b32_e32 v10, s12, v10
	v_and_b32_e32 v12, v12, v11
	v_and_b32_e32 v40, v40, v10
	v_lshlrev_b32_e32 v11, 28, v39
	v_mov_b32_e32 v10, v13
	v_cmp_gt_i64_e64 s[12:13], 0, v[10:11]
	v_not_b32_e32 v10, v11
	v_ashrrev_i32_e32 v10, 31, v10
	v_xor_b32_e32 v11, s13, v10
	v_xor_b32_e32 v10, s12, v10
	v_and_b32_e32 v12, v12, v11
	v_and_b32_e32 v40, v40, v10
	v_lshlrev_b32_e32 v11, 27, v39
	v_mov_b32_e32 v10, v13
	v_cmp_gt_i64_e64 s[12:13], 0, v[10:11]
	v_not_b32_e32 v10, v11
	v_ashrrev_i32_e32 v10, 31, v10
	v_xor_b32_e32 v11, s13, v10
	v_xor_b32_e32 v10, s12, v10
	v_and_b32_e32 v12, v12, v11
	v_and_b32_e32 v40, v40, v10
	v_lshlrev_b32_e32 v11, 26, v39
	v_mov_b32_e32 v10, v13
	v_cmp_gt_i64_e64 s[12:13], 0, v[10:11]
	v_not_b32_e32 v10, v11
	v_ashrrev_i32_e32 v10, 31, v10
	v_xor_b32_e32 v11, s13, v10
	v_xor_b32_e32 v10, s12, v10
	v_and_b32_e32 v12, v12, v11
	v_and_b32_e32 v40, v40, v10
	v_lshlrev_b32_e32 v11, 25, v39
	v_mov_b32_e32 v10, v13
	v_cmp_gt_i64_e64 s[12:13], 0, v[10:11]
	v_not_b32_e32 v10, v11
	v_ashrrev_i32_e32 v10, 31, v10
	v_xor_b32_e32 v11, s13, v10
	v_xor_b32_e32 v10, s12, v10
	v_and_b32_e32 v12, v12, v11
	v_and_b32_e32 v40, v40, v10
	v_lshlrev_b32_e32 v11, 24, v39
	v_mov_b32_e32 v10, v13
	v_cmp_gt_i64_e64 s[12:13], 0, v[10:11]
	v_not_b32_e32 v10, v11
	v_ashrrev_i32_e32 v10, 31, v10
	v_xor_b32_e32 v11, s13, v10
	v_xor_b32_e32 v10, s12, v10
	v_and_b32_e32 v10, v40, v10
	v_and_b32_e32 v11, v12, v11
	v_mbcnt_lo_u32_b32 v12, v10, 0
	v_mbcnt_hi_u32_b32 v39, v11, v12
	v_cmp_eq_u32_e64 s[12:13], 0, v39
	v_cmp_ne_u64_e64 s[14:15], 0, v[10:11]
	s_and_b64 s[14:15], s[14:15], s[12:13]
	; wave barrier
	s_and_saveexec_b64 s[12:13], s[14:15]
	s_cbranch_execz .LBB156_25
; %bb.24:
	v_bcnt_u32_b32 v10, v10, 0
	v_bcnt_u32_b32 v10, v11, v10
	s_waitcnt lgkmcnt(0)
	v_add_u32_e32 v10, v31, v10
	ds_write_b32 v38, v10 offset:64
.LBB156_25:
	s_or_b64 exec, exec, s[12:13]
	; wave barrier
	s_waitcnt lgkmcnt(0)
	s_barrier
	ds_read2_b32 v[12:13], v3 offset0:16 offset1:17
	ds_read2_b32 v[10:11], v3 offset0:18 offset1:19
	ds_read_b32 v40, v3 offset:80
	v_cmp_lt_u32_e64 s[20:21], 31, v7
	s_waitcnt lgkmcnt(1)
	v_add3_u32 v41, v13, v12, v10
	s_waitcnt lgkmcnt(0)
	v_add3_u32 v40, v41, v11, v40
	v_and_b32_e32 v41, 15, v7
	v_cmp_eq_u32_e64 s[12:13], 0, v41
	v_mov_b32_dpp v42, v40 row_shr:1 row_mask:0xf bank_mask:0xf
	v_cmp_lt_u32_e64 s[14:15], 1, v41
	v_cndmask_b32_e64 v42, v42, 0, s[12:13]
	v_add_u32_e32 v40, v42, v40
	v_cmp_lt_u32_e64 s[16:17], 3, v41
	v_cmp_lt_u32_e64 s[18:19], 7, v41
	v_mov_b32_dpp v42, v40 row_shr:2 row_mask:0xf bank_mask:0xf
	v_cndmask_b32_e64 v42, 0, v42, s[14:15]
	v_add_u32_e32 v40, v40, v42
	s_nop 1
	v_mov_b32_dpp v42, v40 row_shr:4 row_mask:0xf bank_mask:0xf
	v_cndmask_b32_e64 v42, 0, v42, s[16:17]
	v_add_u32_e32 v40, v40, v42
	s_nop 1
	v_mov_b32_dpp v42, v40 row_shr:8 row_mask:0xf bank_mask:0xf
	v_cndmask_b32_e64 v41, 0, v42, s[18:19]
	v_add_u32_e32 v40, v40, v41
	v_bfe_i32 v42, v7, 4, 1
	s_nop 0
	v_mov_b32_dpp v41, v40 row_bcast:15 row_mask:0xf bank_mask:0xf
	v_and_b32_e32 v41, v42, v41
	v_add_u32_e32 v40, v40, v41
	v_and_b32_e32 v42, 63, v6
	s_nop 0
	v_mov_b32_dpp v41, v40 row_bcast:31 row_mask:0xf bank_mask:0xf
	v_cndmask_b32_e64 v41, 0, v41, s[20:21]
	v_add_u32_e32 v40, v40, v41
	v_lshrrev_b32_e32 v41, 6, v6
	v_cmp_eq_u32_e64 s[20:21], 63, v42
	s_and_saveexec_b64 s[22:23], s[20:21]
; %bb.26:
	v_lshlrev_b32_e32 v42, 2, v41
	ds_write_b32 v42, v40
; %bb.27:
	s_or_b64 exec, exec, s[22:23]
	v_cmp_gt_u32_e64 s[20:21], 16, v6
	s_waitcnt lgkmcnt(0)
	s_barrier
	s_and_saveexec_b64 s[22:23], s[20:21]
	s_cbranch_execz .LBB156_29
; %bb.28:
	v_lshlrev_b32_e32 v42, 2, v6
	ds_read_b32 v43, v42
	s_waitcnt lgkmcnt(0)
	s_nop 0
	v_mov_b32_dpp v44, v43 row_shr:1 row_mask:0xf bank_mask:0xf
	v_cndmask_b32_e64 v44, v44, 0, s[12:13]
	v_add_u32_e32 v43, v44, v43
	s_nop 1
	v_mov_b32_dpp v44, v43 row_shr:2 row_mask:0xf bank_mask:0xf
	v_cndmask_b32_e64 v44, 0, v44, s[14:15]
	v_add_u32_e32 v43, v43, v44
	s_nop 1
	v_mov_b32_dpp v44, v43 row_shr:4 row_mask:0xf bank_mask:0xf
	v_cndmask_b32_e64 v44, 0, v44, s[16:17]
	v_add_u32_e32 v43, v43, v44
	s_nop 1
	v_mov_b32_dpp v44, v43 row_shr:8 row_mask:0xf bank_mask:0xf
	v_cndmask_b32_e64 v44, 0, v44, s[18:19]
	v_add_u32_e32 v43, v43, v44
	ds_write_b32 v42, v43
.LBB156_29:
	s_or_b64 exec, exec, s[22:23]
	v_cmp_lt_u32_e64 s[12:13], 63, v6
	v_mov_b32_e32 v42, 0
	s_waitcnt lgkmcnt(0)
	s_barrier
	s_and_saveexec_b64 s[14:15], s[12:13]
; %bb.30:
	v_lshl_add_u32 v41, v41, 2, -4
	ds_read_b32 v42, v41
; %bb.31:
	s_or_b64 exec, exec, s[14:15]
	v_add_u32_e32 v41, -1, v7
	v_and_b32_e32 v43, 64, v7
	v_cmp_lt_i32_e64 s[12:13], v41, v43
	s_waitcnt lgkmcnt(0)
	v_add_u32_e32 v40, v42, v40
	s_movk_i32 s16, 0x100
	v_cndmask_b32_e64 v41, v41, v7, s[12:13]
	v_lshlrev_b32_e32 v41, 2, v41
	ds_bpermute_b32 v40, v41, v40
	v_cmp_eq_u32_e64 s[12:13], 0, v7
	v_cmp_gt_u32_e64 s[14:15], s16, v6
	s_waitcnt lgkmcnt(0)
	v_cndmask_b32_e64 v7, v40, v42, s[12:13]
	v_cmp_ne_u32_e64 s[12:13], 0, v6
	s_nop 1
	v_cndmask_b32_e64 v7, 0, v7, s[12:13]
	v_add_u32_e32 v12, v7, v12
	v_add_u32_e32 v13, v12, v13
	;; [unrolled: 1-line block ×4, first 2 shown]
	ds_write2_b32 v3, v7, v12 offset0:16 offset1:17
	ds_write2_b32 v3, v13, v10 offset0:18 offset1:19
	ds_write_b32 v3, v11 offset:80
	s_waitcnt lgkmcnt(0)
	s_barrier
	ds_read_b32 v13, v24 offset:64
	ds_read_b32 v40, v26 offset:64
	;; [unrolled: 1-line block ×6, first 2 shown]
	s_movk_i32 s12, 0xff
	v_cmp_lt_u32_e64 s[12:13], s12, v6
	v_mov_b64_e32 v[10:11], 0
                                        ; implicit-def: $vgpr12
	s_and_saveexec_b64 s[18:19], s[14:15]
	s_cbranch_execz .LBB156_35
; %bb.32:
	v_mul_u32_u24_e32 v10, 0x44, v6
	ds_read_b32 v10, v10 offset:64
	v_add_u32_e32 v12, 1, v6
	v_cmp_ne_u32_e64 s[16:17], s16, v12
	v_mov_b32_e32 v11, 0x1800
	s_and_saveexec_b64 s[20:21], s[16:17]
; %bb.33:
	v_mul_u32_u24_e32 v11, 0x44, v12
	ds_read_b32 v11, v11 offset:64
; %bb.34:
	s_or_b64 exec, exec, s[20:21]
	s_waitcnt lgkmcnt(0)
	v_sub_u32_e32 v12, v11, v10
	v_mov_b32_e32 v11, 0
.LBB156_35:
	s_or_b64 exec, exec, s[18:19]
	v_lshlrev_b32_e32 v5, 3, v5
	s_waitcnt lgkmcnt(5)
	v_lshl_add_u32 v13, v13, 3, v5
	s_waitcnt lgkmcnt(0)
	s_barrier
	ds_write_b64 v13, v[8:9] offset:2048
	v_lshlrev_b32_e32 v5, 3, v40
	v_lshlrev_b32_e32 v8, 3, v27
	v_lshlrev_b32_e32 v9, 3, v25
	v_add3_u32 v32, v5, v8, v9
	v_lshlrev_b32_e32 v5, 3, v26
	v_lshlrev_b32_e32 v8, 3, v30
	v_lshlrev_b32_e32 v9, 3, v28
	v_add3_u32 v33, v5, v8, v9
	;; [unrolled: 4-line block ×4, first 2 shown]
	v_lshlrev_b32_e32 v3, 3, v3
	v_lshlrev_b32_e32 v5, 3, v39
	;; [unrolled: 1-line block ×3, first 2 shown]
	ds_write_b64 v32, v[14:15] offset:2048
	v_add3_u32 v36, v3, v5, v7
	v_mov_b32_e32 v15, 0
	v_lshlrev_b32_e32 v8, 3, v6
	ds_write_b64 v33, v[16:17] offset:2048
	ds_write_b64 v34, v[18:19] offset:2048
	;; [unrolled: 1-line block ×4, first 2 shown]
	s_waitcnt lgkmcnt(0)
	s_barrier
	s_and_saveexec_b64 s[16:17], s[14:15]
	s_cbranch_execz .LBB156_45
; %bb.36:
	v_lshl_add_u32 v14, s2, 8, v6
	v_lshl_add_u64 v[16:17], v[14:15], 2, s[30:31]
	v_or_b32_e32 v3, 2.0, v12
	global_store_dword v[16:17], v3, off sc1
	s_mov_b64 s[18:19], 0
	s_brev_b32 s24, -4
	s_mov_b32 s25, s2
	v_mov_b32_e32 v3, 0
                                        ; implicit-def: $sgpr14_sgpr15
	s_branch .LBB156_39
.LBB156_37:                             ;   in Loop: Header=BB156_39 Depth=1
	s_or_b64 exec, exec, s[22:23]
.LBB156_38:                             ;   in Loop: Header=BB156_39 Depth=1
	s_or_b64 exec, exec, s[20:21]
	v_and_b32_e32 v7, 0x3fffffff, v5
	v_add_u32_e32 v3, v7, v3
	v_cmp_gt_i32_e64 s[14:15], -2.0, v5
	s_and_b64 s[20:21], exec, s[14:15]
	s_or_b64 s[18:19], s[20:21], s[18:19]
	s_andn2_b64 exec, exec, s[18:19]
	s_cbranch_execz .LBB156_44
.LBB156_39:                             ; =>This Loop Header: Depth=1
                                        ;     Child Loop BB156_42 Depth 2
	s_or_b64 s[14:15], s[14:15], exec
	s_cmp_eq_u32 s25, 0
	s_cbranch_scc1 .LBB156_43
; %bb.40:                               ;   in Loop: Header=BB156_39 Depth=1
	s_add_i32 s25, s25, -1
	v_lshl_or_b32 v14, s25, 8, v6
	v_lshl_add_u64 v[18:19], v[14:15], 2, s[30:31]
	global_load_dword v5, v[18:19], off sc1
	s_waitcnt vmcnt(0)
	v_cmp_gt_u32_e64 s[14:15], 2.0, v5
	s_and_saveexec_b64 s[20:21], s[14:15]
	s_cbranch_execz .LBB156_38
; %bb.41:                               ;   in Loop: Header=BB156_39 Depth=1
	s_mov_b64 s[22:23], 0
.LBB156_42:                             ;   Parent Loop BB156_39 Depth=1
                                        ; =>  This Inner Loop Header: Depth=2
	global_load_dword v5, v[18:19], off sc1
	s_waitcnt vmcnt(0)
	v_cmp_lt_u32_e64 s[14:15], s24, v5
	s_or_b64 s[22:23], s[14:15], s[22:23]
	s_andn2_b64 exec, exec, s[22:23]
	s_cbranch_execnz .LBB156_42
	s_branch .LBB156_37
.LBB156_43:                             ;   in Loop: Header=BB156_39 Depth=1
                                        ; implicit-def: $sgpr25
	s_and_b64 s[20:21], exec, s[14:15]
	s_or_b64 s[18:19], s[20:21], s[18:19]
	s_andn2_b64 exec, exec, s[18:19]
	s_cbranch_execnz .LBB156_39
.LBB156_44:
	s_or_b64 exec, exec, s[18:19]
	v_add_u32_e32 v5, v3, v12
	v_or_b32_e32 v5, 0x80000000, v5
	global_store_dword v[16:17], v5, off sc1
	global_load_dwordx2 v[14:15], v8, s[44:45]
	v_sub_co_u32_e64 v16, s[14:15], v3, v10
	s_nop 1
	v_subb_co_u32_e64 v17, s[14:15], 0, v11, s[14:15]
	s_waitcnt vmcnt(0)
	v_lshl_add_u64 v[14:15], v[16:17], 0, v[14:15]
	ds_write_b64 v8, v[14:15]
.LBB156_45:
	s_or_b64 exec, exec, s[16:17]
	v_cmp_gt_u32_e64 s[14:15], s35, v6
	s_waitcnt lgkmcnt(0)
	s_barrier
	s_and_saveexec_b64 s[18:19], s[14:15]
	s_cbranch_execz .LBB156_47
; %bb.46:
	ds_read_b64 v[14:15], v8 offset:2048
	s_mov_b32 s16, -1
	s_brev_b32 s17, -2
	v_bfrev_b32_e32 v3, 1
	v_mov_b32_e32 v9, 0
	s_waitcnt lgkmcnt(0)
	v_cmp_ne_u64_e64 s[16:17], s[16:17], v[14:15]
	s_nop 1
	v_cndmask_b32_e64 v17, v3, v15, s[16:17]
	v_cndmask_b32_e64 v16, 0, v14, s[16:17]
	v_lshrrev_b64 v[16:17], s48, v[16:17]
	v_and_b32_e32 v5, s33, v16
	v_lshlrev_b32_e32 v5, 3, v5
	ds_read_b64 v[16:17], v5
	v_cmp_lt_i64_e64 s[16:17], -1, v[14:15]
	v_ashrrev_i32_e32 v5, 31, v15
	v_not_b32_e32 v5, v5
	v_cndmask_b32_e64 v3, v3, -1, s[16:17]
	s_waitcnt lgkmcnt(0)
	v_lshl_add_u64 v[16:17], v[16:17], 3, s[38:39]
	v_xor_b32_e32 v15, v3, v15
	v_xor_b32_e32 v14, v5, v14
	v_lshl_add_u64 v[16:17], v[16:17], 0, v[8:9]
	global_store_dwordx2 v[16:17], v[14:15], off
.LBB156_47:
	s_or_b64 exec, exec, s[18:19]
	v_or_b32_e32 v3, 0x400, v6
	v_cmp_gt_u32_e64 s[16:17], s35, v3
	v_lshlrev_b32_e32 v14, 3, v3
	s_and_saveexec_b64 s[20:21], s[16:17]
	s_cbranch_execz .LBB156_49
; %bb.48:
	ds_read_b64 v[16:17], v8 offset:10240
	s_mov_b32 s18, -1
	s_brev_b32 s19, -2
	v_bfrev_b32_e32 v3, 1
	v_mov_b32_e32 v15, 0
	s_waitcnt lgkmcnt(0)
	v_cmp_ne_u64_e64 s[18:19], s[18:19], v[16:17]
	s_nop 1
	v_cndmask_b32_e64 v19, v3, v17, s[18:19]
	v_cndmask_b32_e64 v18, 0, v16, s[18:19]
	v_lshrrev_b64 v[18:19], s48, v[18:19]
	v_and_b32_e32 v5, s33, v18
	v_lshlrev_b32_e32 v5, 3, v5
	ds_read_b64 v[18:19], v5
	v_cmp_lt_i64_e64 s[18:19], -1, v[16:17]
	v_ashrrev_i32_e32 v5, 31, v17
	v_not_b32_e32 v5, v5
	v_cndmask_b32_e64 v3, v3, -1, s[18:19]
	s_waitcnt lgkmcnt(0)
	v_lshl_add_u64 v[18:19], v[18:19], 3, s[38:39]
	v_xor_b32_e32 v17, v3, v17
	v_xor_b32_e32 v16, v5, v16
	v_lshl_add_u64 v[18:19], v[18:19], 0, v[14:15]
	global_store_dwordx2 v[18:19], v[16:17], off
.LBB156_49:
	s_or_b64 exec, exec, s[20:21]
	v_or_b32_e32 v3, 0x800, v6
	v_cmp_gt_u32_e64 s[18:19], s35, v3
	v_lshlrev_b32_e32 v16, 3, v3
	s_and_saveexec_b64 s[22:23], s[18:19]
	s_cbranch_execz .LBB156_51
; %bb.50:
	ds_read_b64 v[18:19], v8 offset:18432
	s_mov_b32 s20, -1
	s_brev_b32 s21, -2
	v_bfrev_b32_e32 v3, 1
	v_mov_b32_e32 v17, 0
	s_waitcnt lgkmcnt(0)
	v_cmp_ne_u64_e64 s[20:21], s[20:21], v[18:19]
	s_nop 1
	v_cndmask_b32_e64 v21, v3, v19, s[20:21]
	v_cndmask_b32_e64 v20, 0, v18, s[20:21]
	v_lshrrev_b64 v[20:21], s48, v[20:21]
	v_and_b32_e32 v5, s33, v20
	v_lshlrev_b32_e32 v5, 3, v5
	ds_read_b64 v[20:21], v5
	v_cmp_lt_i64_e64 s[20:21], -1, v[18:19]
	v_ashrrev_i32_e32 v5, 31, v19
	v_not_b32_e32 v5, v5
	v_cndmask_b32_e64 v3, v3, -1, s[20:21]
	s_waitcnt lgkmcnt(0)
	v_lshl_add_u64 v[20:21], v[20:21], 3, s[38:39]
	v_xor_b32_e32 v19, v3, v19
	v_xor_b32_e32 v18, v5, v18
	v_lshl_add_u64 v[20:21], v[20:21], 0, v[16:17]
	global_store_dwordx2 v[20:21], v[18:19], off
.LBB156_51:
	s_or_b64 exec, exec, s[22:23]
	v_or_b32_e32 v3, 0xc00, v6
	v_cmp_gt_u32_e64 s[20:21], s35, v3
	v_lshlrev_b32_e32 v18, 3, v3
	s_and_saveexec_b64 s[24:25], s[20:21]
	s_cbranch_execz .LBB156_53
; %bb.52:
	ds_read_b64 v[20:21], v8 offset:26624
	s_mov_b32 s22, -1
	s_brev_b32 s23, -2
	v_bfrev_b32_e32 v3, 1
	v_mov_b32_e32 v19, 0
	s_waitcnt lgkmcnt(0)
	v_cmp_ne_u64_e64 s[22:23], s[22:23], v[20:21]
	s_nop 1
	v_cndmask_b32_e64 v23, v3, v21, s[22:23]
	v_cndmask_b32_e64 v22, 0, v20, s[22:23]
	v_lshrrev_b64 v[22:23], s48, v[22:23]
	v_and_b32_e32 v5, s33, v22
	v_lshlrev_b32_e32 v5, 3, v5
	ds_read_b64 v[22:23], v5
	v_cmp_lt_i64_e64 s[22:23], -1, v[20:21]
	v_ashrrev_i32_e32 v5, 31, v21
	v_not_b32_e32 v5, v5
	v_cndmask_b32_e64 v3, v3, -1, s[22:23]
	s_waitcnt lgkmcnt(0)
	v_lshl_add_u64 v[22:23], v[22:23], 3, s[38:39]
	v_xor_b32_e32 v21, v3, v21
	v_xor_b32_e32 v20, v5, v20
	v_lshl_add_u64 v[22:23], v[22:23], 0, v[18:19]
	global_store_dwordx2 v[22:23], v[20:21], off
.LBB156_53:
	s_or_b64 exec, exec, s[24:25]
	v_or_b32_e32 v3, 0x1000, v6
	v_cmp_gt_u32_e64 s[22:23], s35, v3
	v_lshlrev_b32_e32 v20, 3, v3
	s_and_saveexec_b64 s[28:29], s[22:23]
	s_cbranch_execz .LBB156_55
; %bb.54:
	ds_read_b64 v[22:23], v8 offset:34816
	s_mov_b32 s24, -1
	s_brev_b32 s25, -2
	v_bfrev_b32_e32 v3, 1
	v_mov_b32_e32 v21, 0
	s_waitcnt lgkmcnt(0)
	v_cmp_ne_u64_e64 s[24:25], s[24:25], v[22:23]
	s_nop 1
	v_cndmask_b32_e64 v25, v3, v23, s[24:25]
	v_cndmask_b32_e64 v24, 0, v22, s[24:25]
	v_lshrrev_b64 v[24:25], s48, v[24:25]
	v_and_b32_e32 v5, s33, v24
	v_lshlrev_b32_e32 v5, 3, v5
	ds_read_b64 v[24:25], v5
	v_cmp_lt_i64_e64 s[24:25], -1, v[22:23]
	v_ashrrev_i32_e32 v5, 31, v23
	v_not_b32_e32 v5, v5
	v_cndmask_b32_e64 v3, v3, -1, s[24:25]
	s_waitcnt lgkmcnt(0)
	v_lshl_add_u64 v[24:25], v[24:25], 3, s[38:39]
	v_xor_b32_e32 v23, v3, v23
	v_xor_b32_e32 v22, v5, v22
	v_lshl_add_u64 v[24:25], v[24:25], 0, v[20:21]
	global_store_dwordx2 v[24:25], v[22:23], off
.LBB156_55:
	s_or_b64 exec, exec, s[28:29]
	v_or_b32_e32 v3, 0x1400, v6
	v_cmp_gt_u32_e64 s[24:25], s35, v3
	v_lshlrev_b32_e32 v6, 3, v3
	s_and_saveexec_b64 s[52:53], s[24:25]
	s_cbranch_execz .LBB156_57
; %bb.56:
	ds_read_b64 v[22:23], v8 offset:43008
	s_mov_b32 s28, -1
	s_brev_b32 s29, -2
	v_bfrev_b32_e32 v3, 1
	v_mov_b32_e32 v7, 0
	s_waitcnt lgkmcnt(0)
	v_cmp_ne_u64_e64 s[28:29], s[28:29], v[22:23]
	s_nop 1
	v_cndmask_b32_e64 v25, v3, v23, s[28:29]
	v_cndmask_b32_e64 v24, 0, v22, s[28:29]
	v_lshrrev_b64 v[24:25], s48, v[24:25]
	v_and_b32_e32 v5, s33, v24
	v_lshlrev_b32_e32 v5, 3, v5
	ds_read_b64 v[24:25], v5
	v_cmp_lt_i64_e64 s[28:29], -1, v[22:23]
	v_ashrrev_i32_e32 v5, 31, v23
	v_not_b32_e32 v5, v5
	v_cndmask_b32_e64 v3, v3, -1, s[28:29]
	s_waitcnt lgkmcnt(0)
	v_lshl_add_u64 v[24:25], v[24:25], 3, s[38:39]
	v_xor_b32_e32 v23, v3, v23
	v_xor_b32_e32 v22, v5, v22
	v_lshl_add_u64 v[24:25], v[24:25], 0, v[6:7]
	global_store_dwordx2 v[24:25], v[22:23], off
.LBB156_57:
	s_or_b64 exec, exec, s[52:53]
	s_add_u32 s28, s40, s50
	s_addc_u32 s29, s41, s51
	v_mov_b32_e32 v3, 0
	v_lshl_add_u64 v[22:23], s[28:29], 0, v[2:3]
	v_mov_b32_e32 v5, v3
	v_lshl_add_u64 v[30:31], v[22:23], 0, v[4:5]
                                        ; implicit-def: $vgpr2_vgpr3
	s_and_saveexec_b64 s[28:29], vcc
	s_xor_b64 s[28:29], exec, s[28:29]
	s_cbranch_execz .LBB156_63
; %bb.58:
	global_load_dwordx2 v[2:3], v[30:31], off
	s_or_b64 exec, exec, s[28:29]
                                        ; implicit-def: $vgpr4_vgpr5
	s_and_saveexec_b64 s[28:29], s[26:27]
	s_cbranch_execnz .LBB156_64
.LBB156_59:
	s_or_b64 exec, exec, s[28:29]
                                        ; implicit-def: $vgpr22_vgpr23
	s_and_saveexec_b64 s[26:27], s[4:5]
	s_cbranch_execz .LBB156_65
.LBB156_60:
	global_load_dwordx2 v[22:23], v[30:31], off offset:1024
	s_or_b64 exec, exec, s[26:27]
                                        ; implicit-def: $vgpr24_vgpr25
	s_and_saveexec_b64 s[4:5], s[6:7]
	s_cbranch_execnz .LBB156_66
.LBB156_61:
	s_or_b64 exec, exec, s[4:5]
                                        ; implicit-def: $vgpr26_vgpr27
	s_and_saveexec_b64 s[4:5], s[8:9]
	s_cbranch_execz .LBB156_67
.LBB156_62:
	global_load_dwordx2 v[26:27], v[30:31], off offset:2048
	s_or_b64 exec, exec, s[4:5]
                                        ; implicit-def: $vgpr28_vgpr29
	s_and_saveexec_b64 s[4:5], s[10:11]
	s_cbranch_execnz .LBB156_68
	s_branch .LBB156_69
.LBB156_63:
	s_or_b64 exec, exec, s[28:29]
                                        ; implicit-def: $vgpr4_vgpr5
	s_and_saveexec_b64 s[28:29], s[26:27]
	s_cbranch_execz .LBB156_59
.LBB156_64:
	global_load_dwordx2 v[4:5], v[30:31], off offset:512
	s_or_b64 exec, exec, s[28:29]
                                        ; implicit-def: $vgpr22_vgpr23
	s_and_saveexec_b64 s[26:27], s[4:5]
	s_cbranch_execnz .LBB156_60
.LBB156_65:
	s_or_b64 exec, exec, s[26:27]
                                        ; implicit-def: $vgpr24_vgpr25
	s_and_saveexec_b64 s[4:5], s[6:7]
	s_cbranch_execz .LBB156_61
.LBB156_66:
	global_load_dwordx2 v[24:25], v[30:31], off offset:1536
	s_or_b64 exec, exec, s[4:5]
                                        ; implicit-def: $vgpr26_vgpr27
	s_and_saveexec_b64 s[4:5], s[8:9]
	s_cbranch_execnz .LBB156_62
.LBB156_67:
	s_or_b64 exec, exec, s[4:5]
                                        ; implicit-def: $vgpr28_vgpr29
	s_and_saveexec_b64 s[4:5], s[10:11]
	s_cbranch_execz .LBB156_69
.LBB156_68:
	global_load_dwordx2 v[28:29], v[30:31], off offset:2560
.LBB156_69:
	s_or_b64 exec, exec, s[4:5]
	v_mov_b32_e32 v7, 0
	v_mov_b32_e32 v9, 0
	s_and_saveexec_b64 s[4:5], s[14:15]
	s_cbranch_execz .LBB156_71
; %bb.70:
	ds_read_b64 v[30:31], v8 offset:2048
	s_mov_b32 s6, -1
	s_brev_b32 s7, -2
	v_bfrev_b32_e32 v9, 1
	s_waitcnt lgkmcnt(0)
	v_cmp_ne_u64_e32 vcc, s[6:7], v[30:31]
	s_nop 1
	v_cndmask_b32_e32 v31, v9, v31, vcc
	v_cndmask_b32_e32 v30, 0, v30, vcc
	v_lshrrev_b64 v[30:31], s48, v[30:31]
	v_and_b32_e32 v9, s33, v30
.LBB156_71:
	s_or_b64 exec, exec, s[4:5]
	s_and_saveexec_b64 s[4:5], s[16:17]
	s_cbranch_execz .LBB156_73
; %bb.72:
	ds_read_b64 v[30:31], v8 offset:10240
	s_mov_b32 s6, -1
	s_brev_b32 s7, -2
	v_bfrev_b32_e32 v7, 1
	s_waitcnt lgkmcnt(0)
	v_cmp_ne_u64_e32 vcc, s[6:7], v[30:31]
	s_nop 1
	v_cndmask_b32_e32 v31, v7, v31, vcc
	v_cndmask_b32_e32 v30, 0, v30, vcc
	v_lshrrev_b64 v[30:31], s48, v[30:31]
	v_and_b32_e32 v7, s33, v30
.LBB156_73:
	s_or_b64 exec, exec, s[4:5]
	v_mov_b32_e32 v19, 0
	v_mov_b32_e32 v17, 0
	s_and_saveexec_b64 s[4:5], s[18:19]
	s_cbranch_execz .LBB156_75
; %bb.74:
	ds_read_b64 v[30:31], v8 offset:18432
	s_mov_b32 s6, -1
	s_brev_b32 s7, -2
	v_bfrev_b32_e32 v15, 1
	s_waitcnt lgkmcnt(0)
	v_cmp_ne_u64_e32 vcc, s[6:7], v[30:31]
	s_nop 1
	v_cndmask_b32_e32 v31, v15, v31, vcc
	v_cndmask_b32_e32 v30, 0, v30, vcc
	v_lshrrev_b64 v[30:31], s48, v[30:31]
	v_and_b32_e32 v17, s33, v30
.LBB156_75:
	s_or_b64 exec, exec, s[4:5]
	s_and_saveexec_b64 s[4:5], s[20:21]
	s_cbranch_execz .LBB156_77
; %bb.76:
	ds_read_b64 v[30:31], v8 offset:26624
	s_mov_b32 s6, -1
	s_brev_b32 s7, -2
	v_bfrev_b32_e32 v15, 1
	s_waitcnt lgkmcnt(0)
	v_cmp_ne_u64_e32 vcc, s[6:7], v[30:31]
	s_nop 1
	v_cndmask_b32_e32 v31, v15, v31, vcc
	v_cndmask_b32_e32 v30, 0, v30, vcc
	v_lshrrev_b64 v[30:31], s48, v[30:31]
	v_and_b32_e32 v19, s33, v30
.LBB156_77:
	;; [unrolled: 34-line block ×3, first 2 shown]
	s_or_b64 exec, exec, s[4:5]
	s_barrier
	s_waitcnt vmcnt(0)
	ds_write_b64 v13, v[2:3] offset:2048
	ds_write_b64 v32, v[4:5] offset:2048
	ds_write_b64 v33, v[22:23] offset:2048
	ds_write_b64 v34, v[24:25] offset:2048
	ds_write_b64 v35, v[26:27] offset:2048
	ds_write_b64 v36, v[28:29] offset:2048
	s_waitcnt lgkmcnt(0)
	s_barrier
	s_and_saveexec_b64 s[4:5], s[14:15]
	s_cbranch_execz .LBB156_87
; %bb.82:
	v_lshlrev_b32_e32 v2, 3, v9
	ds_read_b64 v[2:3], v2
	ds_read_b64 v[4:5], v8 offset:2048
	v_mov_b32_e32 v9, 0
	s_waitcnt lgkmcnt(1)
	v_lshl_add_u64 v[2:3], v[2:3], 3, s[42:43]
	v_lshl_add_u64 v[2:3], v[2:3], 0, v[8:9]
	s_waitcnt lgkmcnt(0)
	global_store_dwordx2 v[2:3], v[4:5], off
	s_or_b64 exec, exec, s[4:5]
	s_and_saveexec_b64 s[4:5], s[16:17]
	s_cbranch_execnz .LBB156_88
.LBB156_83:
	s_or_b64 exec, exec, s[4:5]
	s_and_saveexec_b64 s[4:5], s[18:19]
	s_cbranch_execz .LBB156_89
.LBB156_84:
	v_lshlrev_b32_e32 v2, 3, v17
	ds_read_b64 v[2:3], v2
	ds_read_b64 v[4:5], v8 offset:18432
	v_mov_b32_e32 v17, 0
	s_waitcnt lgkmcnt(1)
	v_lshl_add_u64 v[2:3], v[2:3], 3, s[42:43]
	v_lshl_add_u64 v[2:3], v[2:3], 0, v[16:17]
	s_waitcnt lgkmcnt(0)
	global_store_dwordx2 v[2:3], v[4:5], off
	s_or_b64 exec, exec, s[4:5]
	s_and_saveexec_b64 s[4:5], s[20:21]
	s_cbranch_execnz .LBB156_90
.LBB156_85:
	s_or_b64 exec, exec, s[4:5]
	s_and_saveexec_b64 s[4:5], s[22:23]
	s_cbranch_execz .LBB156_91
.LBB156_86:
	v_lshlrev_b32_e32 v2, 3, v21
	ds_read_b64 v[2:3], v2
	ds_read_b64 v[4:5], v8 offset:34816
	v_mov_b32_e32 v21, 0
	s_waitcnt lgkmcnt(1)
	v_lshl_add_u64 v[2:3], v[2:3], 3, s[42:43]
	v_lshl_add_u64 v[2:3], v[2:3], 0, v[20:21]
	s_waitcnt lgkmcnt(0)
	global_store_dwordx2 v[2:3], v[4:5], off
	s_or_b64 exec, exec, s[4:5]
	s_and_saveexec_b64 s[4:5], s[24:25]
	s_cbranch_execnz .LBB156_92
	s_branch .LBB156_93
.LBB156_87:
	s_or_b64 exec, exec, s[4:5]
	s_and_saveexec_b64 s[4:5], s[16:17]
	s_cbranch_execz .LBB156_83
.LBB156_88:
	v_lshlrev_b32_e32 v2, 3, v7
	ds_read_b64 v[2:3], v2
	ds_read_b64 v[4:5], v8 offset:10240
	v_mov_b32_e32 v15, 0
	s_waitcnt lgkmcnt(1)
	v_lshl_add_u64 v[2:3], v[2:3], 3, s[42:43]
	v_lshl_add_u64 v[2:3], v[2:3], 0, v[14:15]
	s_waitcnt lgkmcnt(0)
	global_store_dwordx2 v[2:3], v[4:5], off
	s_or_b64 exec, exec, s[4:5]
	s_and_saveexec_b64 s[4:5], s[18:19]
	s_cbranch_execnz .LBB156_84
.LBB156_89:
	s_or_b64 exec, exec, s[4:5]
	s_and_saveexec_b64 s[4:5], s[20:21]
	s_cbranch_execz .LBB156_85
.LBB156_90:
	v_lshlrev_b32_e32 v2, 3, v19
	ds_read_b64 v[2:3], v2
	ds_read_b64 v[4:5], v8 offset:26624
	v_mov_b32_e32 v19, 0
	s_waitcnt lgkmcnt(1)
	v_lshl_add_u64 v[2:3], v[2:3], 3, s[42:43]
	v_lshl_add_u64 v[2:3], v[2:3], 0, v[18:19]
	s_waitcnt lgkmcnt(0)
	global_store_dwordx2 v[2:3], v[4:5], off
	s_or_b64 exec, exec, s[4:5]
	s_and_saveexec_b64 s[4:5], s[22:23]
	s_cbranch_execnz .LBB156_86
.LBB156_91:
	s_or_b64 exec, exec, s[4:5]
	s_and_saveexec_b64 s[4:5], s[24:25]
	s_cbranch_execz .LBB156_93
.LBB156_92:
	v_lshlrev_b32_e32 v2, 3, v30
	ds_read_b64 v[2:3], v2
	ds_read_b64 v[4:5], v8 offset:43008
	v_mov_b32_e32 v7, 0
	s_waitcnt lgkmcnt(1)
	v_lshl_add_u64 v[2:3], v[2:3], 3, s[42:43]
	v_lshl_add_u64 v[2:3], v[2:3], 0, v[6:7]
	s_waitcnt lgkmcnt(0)
	global_store_dwordx2 v[2:3], v[4:5], off
.LBB156_93:
	s_or_b64 exec, exec, s[4:5]
	s_add_i32 s3, s3, -1
	s_cmp_eq_u32 s2, s3
	s_cselect_b64 s[4:5], -1, 0
	s_xor_b64 s[6:7], s[12:13], -1
	s_and_b64 s[6:7], s[6:7], s[4:5]
	s_and_saveexec_b64 s[4:5], s[6:7]
	s_cbranch_execz .LBB156_95
; %bb.94:
	ds_read_b64 v[2:3], v8
	v_mov_b32_e32 v13, 0
	v_lshl_add_u64 v[4:5], v[10:11], 0, v[12:13]
	s_waitcnt lgkmcnt(0)
	v_lshl_add_u64 v[2:3], v[4:5], 0, v[2:3]
	global_store_dwordx2 v8, v[2:3], s[46:47]
.LBB156_95:
	s_or_b64 exec, exec, s[4:5]
	s_mov_b64 s[4:5], 0
.LBB156_96:
	s_and_b64 vcc, exec, s[4:5]
	s_cbranch_vccz .LBB156_131
; %bb.97:
	s_mov_b32 s35, 0
	s_lshl_b64 s[10:11], s[34:35], 3
	s_add_u32 s4, s36, s10
	v_mbcnt_hi_u32_b32 v3, -1, v1
	v_mov_b32_e32 v7, 0
	s_addc_u32 s5, s37, s11
	v_and_b32_e32 v1, 0x3c0, v0
	v_lshlrev_b32_e32 v8, 3, v3
	v_mov_b32_e32 v9, v7
	v_mul_u32_u24_e32 v1, 6, v1
	v_lshl_add_u64 v[4:5], s[4:5], 0, v[8:9]
	s_load_dword s3, s[0:1], 0x50
	s_load_dword s4, s[0:1], 0x5c
	v_lshlrev_b32_e32 v10, 3, v1
	v_mov_b32_e32 v11, v7
	v_lshl_add_u64 v[20:21], v[4:5], 0, v[10:11]
	global_load_dwordx2 v[24:25], v[20:21], off
	s_add_u32 s0, s0, 0x50
	s_addc_u32 s1, s1, 0
	s_waitcnt lgkmcnt(0)
	s_lshr_b32 s4, s4, 16
	s_cmp_lt_u32 s2, s3
	s_cselect_b32 s5, 12, 18
	s_add_u32 s0, s0, s5
	s_addc_u32 s1, s1, 0
	global_load_ushort v6, v7, s[0:1]
	v_and_b32_e32 v2, 0x3ff, v0
	v_mul_u32_u24_e32 v9, 20, v2
	ds_write2_b32 v9, v7, v7 offset0:16 offset1:17
	ds_write2_b32 v9, v7, v7 offset0:18 offset1:19
	ds_write_b32 v9, v7 offset:80
	global_load_dwordx2 v[4:5], v[20:21], off offset:512
	global_load_dwordx2 v[18:19], v[20:21], off offset:1024
	;; [unrolled: 1-line block ×5, first 2 shown]
	v_bfrev_b32_e32 v23, 1
	v_bfe_u32 v1, v0, 10, 10
	v_bfe_u32 v0, v0, 20, 10
	s_mov_b32 s12, -1
	v_mad_u32_u24 v11, v0, s4, v1
	s_brev_b32 s13, -2
	s_lshl_b32 s4, -1, s49
	v_mov_b32_e32 v28, v7
	v_mov_b32_e32 v30, v7
	s_not_b32 s14, s4
	v_mov_b32_e32 v32, v7
	v_mov_b32_e32 v34, v7
	s_movk_i32 s15, 0x44
	s_waitcnt lgkmcnt(0)
	s_barrier
	s_waitcnt vmcnt(6)
	; wave barrier
	v_cmp_lt_i64_e32 vcc, -1, v[24:25]
	s_nop 1
	v_cndmask_b32_e32 v0, -1, v23, vcc
	v_ashrrev_i32_e32 v20, 31, v25
	v_xor_b32_e32 v1, v0, v25
	v_xor_b32_e32 v0, v20, v24
	v_cmp_ne_u64_e32 vcc, s[12:13], v[0:1]
	s_waitcnt vmcnt(5)
	v_mad_u64_u32 v[24:25], s[0:1], v11, v6, v[2:3]
	v_cndmask_b32_e32 v21, v23, v1, vcc
	v_cndmask_b32_e32 v20, 0, v0, vcc
	v_lshrrev_b64 v[20:21], s48, v[20:21]
	v_bitop3_b32 v22, v20, s4, v20 bitop3:0x30
	v_and_b32_e32 v6, 1, v22
	v_lshlrev_b32_e32 v29, 30, v22
	v_lshlrev_b32_e32 v31, 29, v22
	v_lshl_add_u64 v[20:21], v[6:7], 0, -1
	v_cmp_ne_u32_e32 vcc, 0, v6
	v_not_b32_e32 v6, v29
	v_lshrrev_b32_e32 v27, 6, v24
	v_cmp_gt_i64_e64 s[0:1], 0, v[28:29]
	v_not_b32_e32 v24, v31
	v_xor_b32_e32 v21, vcc_hi, v21
	v_ashrrev_i32_e32 v6, 31, v6
	v_lshlrev_b32_e32 v33, 28, v22
	v_cmp_gt_i64_e64 s[4:5], 0, v[30:31]
	v_xor_b32_e32 v20, vcc_lo, v20
	v_ashrrev_i32_e32 v24, 31, v24
	v_and_b32_e32 v21, exec_hi, v21
	v_xor_b32_e32 v26, s1, v6
	v_lshlrev_b32_e32 v35, 27, v22
	v_not_b32_e32 v25, v33
	v_and_b32_e32 v20, exec_lo, v20
	v_xor_b32_e32 v6, s0, v6
	v_xor_b32_e32 v28, s5, v24
	v_and_b32_e32 v21, v21, v26
	v_cmp_gt_i64_e64 s[6:7], 0, v[32:33]
	v_ashrrev_i32_e32 v25, 31, v25
	v_xor_b32_e32 v24, s4, v24
	v_and_b32_e32 v6, v20, v6
	v_and_b32_e32 v20, v21, v28
	v_not_b32_e32 v21, v35
	v_cmp_gt_i64_e64 s[8:9], 0, v[34:35]
	v_xor_b32_e32 v29, s7, v25
	v_xor_b32_e32 v25, s6, v25
	v_and_b32_e32 v6, v6, v24
	v_ashrrev_i32_e32 v21, 31, v21
	v_and_b32_e32 v20, v20, v29
	v_and_b32_e32 v6, v6, v25
	v_xor_b32_e32 v24, s9, v21
	v_xor_b32_e32 v21, s8, v21
	v_and_b32_e32 v24, v20, v24
	v_and_b32_e32 v6, v6, v21
	v_lshlrev_b32_e32 v21, 26, v22
	v_mov_b32_e32 v20, v7
	v_cmp_gt_i64_e32 vcc, 0, v[20:21]
	v_not_b32_e32 v20, v21
	v_ashrrev_i32_e32 v20, 31, v20
	v_xor_b32_e32 v21, vcc_hi, v20
	v_xor_b32_e32 v20, vcc_lo, v20
	v_and_b32_e32 v24, v24, v21
	v_and_b32_e32 v6, v6, v20
	v_lshlrev_b32_e32 v21, 25, v22
	v_mov_b32_e32 v20, v7
	v_cmp_gt_i64_e32 vcc, 0, v[20:21]
	v_not_b32_e32 v20, v21
	v_ashrrev_i32_e32 v20, 31, v20
	v_xor_b32_e32 v21, vcc_hi, v20
	v_xor_b32_e32 v20, vcc_lo, v20
	;; [unrolled: 9-line block ×3, first 2 shown]
	v_and_b32_e32 v20, v6, v20
	v_and_b32_e32 v21, v24, v21
	v_mbcnt_lo_u32_b32 v6, v20, 0
	v_mul_lo_u32 v11, v22, s15
	v_mbcnt_hi_u32_b32 v22, v21, v6
	v_cmp_eq_u32_e32 vcc, 0, v22
	v_cmp_ne_u64_e64 s[0:1], 0, v[20:21]
	v_lshl_add_u32 v11, v27, 2, v11
	s_and_b64 s[4:5], s[0:1], vcc
	s_and_saveexec_b64 s[0:1], s[4:5]
; %bb.98:
	v_bcnt_u32_b32 v6, v20, 0
	v_bcnt_u32_b32 v6, v21, v6
	ds_write_b32 v11, v6 offset:64
; %bb.99:
	s_or_b64 exec, exec, s[0:1]
	s_waitcnt vmcnt(4)
	v_cmp_lt_i64_e32 vcc, -1, v[4:5]
	v_ashrrev_i32_e32 v20, 31, v5
	v_xor_b32_e32 v4, v20, v4
	v_cndmask_b32_e32 v6, -1, v23, vcc
	v_xor_b32_e32 v5, v6, v5
	v_cmp_ne_u64_e32 vcc, s[12:13], v[4:5]
	; wave barrier
	s_nop 1
	v_cndmask_b32_e32 v21, v23, v5, vcc
	v_cndmask_b32_e32 v20, 0, v4, vcc
	v_lshrrev_b64 v[20:21], s48, v[20:21]
	v_and_b32_e32 v25, s14, v20
	v_mul_lo_u32 v6, v25, s15
	v_lshl_add_u32 v24, v27, 2, v6
	v_and_b32_e32 v6, 1, v25
	v_lshl_add_u64 v[20:21], v[6:7], 0, -1
	v_cmp_ne_u32_e32 vcc, 0, v6
	ds_read_b32 v23, v24 offset:64
	s_nop 0
	v_xor_b32_e32 v20, vcc_lo, v20
	v_xor_b32_e32 v6, vcc_hi, v21
	v_and_b32_e32 v26, exec_lo, v20
	v_lshlrev_b32_e32 v21, 30, v25
	v_mov_b32_e32 v20, v7
	v_cmp_gt_i64_e32 vcc, 0, v[20:21]
	v_not_b32_e32 v20, v21
	v_ashrrev_i32_e32 v20, 31, v20
	v_and_b32_e32 v6, exec_hi, v6
	v_xor_b32_e32 v21, vcc_hi, v20
	v_xor_b32_e32 v20, vcc_lo, v20
	v_and_b32_e32 v6, v6, v21
	v_and_b32_e32 v26, v26, v20
	v_lshlrev_b32_e32 v21, 29, v25
	v_mov_b32_e32 v20, v7
	v_cmp_gt_i64_e32 vcc, 0, v[20:21]
	v_not_b32_e32 v20, v21
	v_ashrrev_i32_e32 v20, 31, v20
	v_xor_b32_e32 v21, vcc_hi, v20
	v_xor_b32_e32 v20, vcc_lo, v20
	v_and_b32_e32 v6, v6, v21
	v_and_b32_e32 v26, v26, v20
	v_lshlrev_b32_e32 v21, 28, v25
	v_mov_b32_e32 v20, v7
	v_cmp_gt_i64_e32 vcc, 0, v[20:21]
	v_not_b32_e32 v20, v21
	v_ashrrev_i32_e32 v20, 31, v20
	;; [unrolled: 9-line block ×5, first 2 shown]
	v_xor_b32_e32 v21, vcc_hi, v20
	v_xor_b32_e32 v20, vcc_lo, v20
	v_and_b32_e32 v6, v6, v21
	v_lshlrev_b32_e32 v21, 24, v25
	v_and_b32_e32 v26, v26, v20
	v_mov_b32_e32 v20, v7
	v_not_b32_e32 v7, v21
	v_cmp_gt_i64_e32 vcc, 0, v[20:21]
	v_ashrrev_i32_e32 v7, 31, v7
	; wave barrier
	s_nop 0
	v_xor_b32_e32 v20, vcc_hi, v7
	v_xor_b32_e32 v21, vcc_lo, v7
	v_and_b32_e32 v7, v6, v20
	v_and_b32_e32 v6, v26, v21
	v_mbcnt_lo_u32_b32 v20, v6, 0
	v_mbcnt_hi_u32_b32 v25, v7, v20
	v_cmp_eq_u32_e32 vcc, 0, v25
	v_cmp_ne_u64_e64 s[0:1], 0, v[6:7]
	s_and_b64 s[4:5], s[0:1], vcc
	s_and_saveexec_b64 s[0:1], s[4:5]
	s_cbranch_execz .LBB156_101
; %bb.100:
	v_bcnt_u32_b32 v6, v6, 0
	v_bcnt_u32_b32 v6, v7, v6
	s_waitcnt lgkmcnt(0)
	v_add_u32_e32 v6, v23, v6
	ds_write_b32 v24, v6 offset:64
.LBB156_101:
	s_or_b64 exec, exec, s[0:1]
	v_bfrev_b32_e32 v30, 1
	s_waitcnt vmcnt(3)
	v_cmp_lt_i64_e32 vcc, -1, v[18:19]
	s_mov_b32 s4, -1
	v_ashrrev_i32_e32 v20, 31, v19
	v_cndmask_b32_e32 v6, -1, v30, vcc
	s_brev_b32 s5, -2
	v_xor_b32_e32 v7, v6, v19
	v_xor_b32_e32 v6, v20, v18
	v_cmp_ne_u64_e32 vcc, s[4:5], v[6:7]
	s_movk_i32 s6, 0x44
	s_nop 0
	v_cndmask_b32_e32 v19, v30, v7, vcc
	v_cndmask_b32_e32 v18, 0, v6, vcc
	v_lshrrev_b64 v[18:19], s48, v[18:19]
	v_and_b32_e32 v29, s14, v18
	v_mul_lo_u32 v18, v29, s6
	v_lshl_add_u32 v28, v27, 2, v18
	v_and_b32_e32 v18, 1, v29
	v_mov_b32_e32 v19, 0
	v_lshl_add_u64 v[20:21], v[18:19], 0, -1
	v_cmp_ne_u32_e32 vcc, 0, v18
	; wave barrier
	ds_read_b32 v26, v28 offset:64
	s_nop 0
	v_xor_b32_e32 v20, vcc_lo, v20
	v_xor_b32_e32 v18, vcc_hi, v21
	v_and_b32_e32 v31, exec_lo, v20
	v_lshlrev_b32_e32 v21, 30, v29
	v_mov_b32_e32 v20, v19
	v_cmp_gt_i64_e32 vcc, 0, v[20:21]
	v_not_b32_e32 v20, v21
	v_ashrrev_i32_e32 v20, 31, v20
	v_and_b32_e32 v18, exec_hi, v18
	v_xor_b32_e32 v21, vcc_hi, v20
	v_xor_b32_e32 v20, vcc_lo, v20
	v_and_b32_e32 v18, v18, v21
	v_and_b32_e32 v31, v31, v20
	v_lshlrev_b32_e32 v21, 29, v29
	v_mov_b32_e32 v20, v19
	v_cmp_gt_i64_e32 vcc, 0, v[20:21]
	v_not_b32_e32 v20, v21
	v_ashrrev_i32_e32 v20, 31, v20
	v_xor_b32_e32 v21, vcc_hi, v20
	v_xor_b32_e32 v20, vcc_lo, v20
	v_and_b32_e32 v18, v18, v21
	v_and_b32_e32 v31, v31, v20
	v_lshlrev_b32_e32 v21, 28, v29
	v_mov_b32_e32 v20, v19
	v_cmp_gt_i64_e32 vcc, 0, v[20:21]
	v_not_b32_e32 v20, v21
	v_ashrrev_i32_e32 v20, 31, v20
	v_xor_b32_e32 v21, vcc_hi, v20
	v_xor_b32_e32 v20, vcc_lo, v20
	v_and_b32_e32 v18, v18, v21
	v_and_b32_e32 v31, v31, v20
	v_lshlrev_b32_e32 v21, 27, v29
	v_mov_b32_e32 v20, v19
	v_cmp_gt_i64_e32 vcc, 0, v[20:21]
	v_not_b32_e32 v20, v21
	v_ashrrev_i32_e32 v20, 31, v20
	v_xor_b32_e32 v21, vcc_hi, v20
	v_xor_b32_e32 v20, vcc_lo, v20
	v_and_b32_e32 v18, v18, v21
	v_and_b32_e32 v31, v31, v20
	v_lshlrev_b32_e32 v21, 26, v29
	v_mov_b32_e32 v20, v19
	v_cmp_gt_i64_e32 vcc, 0, v[20:21]
	v_not_b32_e32 v20, v21
	v_ashrrev_i32_e32 v20, 31, v20
	v_xor_b32_e32 v21, vcc_hi, v20
	v_xor_b32_e32 v20, vcc_lo, v20
	v_and_b32_e32 v18, v18, v21
	v_and_b32_e32 v31, v31, v20
	v_lshlrev_b32_e32 v21, 25, v29
	v_mov_b32_e32 v20, v19
	v_cmp_gt_i64_e32 vcc, 0, v[20:21]
	v_not_b32_e32 v20, v21
	v_ashrrev_i32_e32 v20, 31, v20
	v_xor_b32_e32 v21, vcc_hi, v20
	v_xor_b32_e32 v20, vcc_lo, v20
	v_and_b32_e32 v18, v18, v21
	v_and_b32_e32 v31, v31, v20
	v_lshlrev_b32_e32 v21, 24, v29
	v_mov_b32_e32 v20, v19
	v_cmp_gt_i64_e32 vcc, 0, v[20:21]
	v_not_b32_e32 v20, v21
	v_ashrrev_i32_e32 v20, 31, v20
	v_xor_b32_e32 v21, vcc_hi, v20
	v_xor_b32_e32 v20, vcc_lo, v20
	v_and_b32_e32 v20, v31, v20
	v_and_b32_e32 v21, v18, v21
	v_mbcnt_lo_u32_b32 v18, v20, 0
	v_mbcnt_hi_u32_b32 v29, v21, v18
	v_cmp_eq_u32_e32 vcc, 0, v29
	v_cmp_ne_u64_e64 s[0:1], 0, v[20:21]
	s_and_b64 s[8:9], s[0:1], vcc
	; wave barrier
	s_and_saveexec_b64 s[0:1], s[8:9]
	s_cbranch_execz .LBB156_103
; %bb.102:
	v_bcnt_u32_b32 v18, v20, 0
	v_bcnt_u32_b32 v18, v21, v18
	s_waitcnt lgkmcnt(0)
	v_add_u32_e32 v18, v26, v18
	ds_write_b32 v28, v18 offset:64
.LBB156_103:
	s_or_b64 exec, exec, s[0:1]
	s_waitcnt vmcnt(2)
	v_cmp_lt_i64_e32 vcc, -1, v[14:15]
	v_ashrrev_i32_e32 v20, 31, v15
	v_xor_b32_e32 v14, v20, v14
	v_cndmask_b32_e32 v18, -1, v30, vcc
	v_xor_b32_e32 v15, v18, v15
	v_cmp_ne_u64_e32 vcc, s[4:5], v[14:15]
	; wave barrier
	s_nop 1
	v_cndmask_b32_e32 v21, v30, v15, vcc
	v_cndmask_b32_e32 v20, 0, v14, vcc
	v_lshrrev_b64 v[20:21], s48, v[20:21]
	v_and_b32_e32 v32, s14, v20
	v_mul_lo_u32 v18, v32, s6
	v_lshl_add_u32 v31, v27, 2, v18
	v_and_b32_e32 v18, 1, v32
	v_lshl_add_u64 v[20:21], v[18:19], 0, -1
	v_cmp_ne_u32_e32 vcc, 0, v18
	ds_read_b32 v30, v31 offset:64
	s_nop 0
	v_xor_b32_e32 v20, vcc_lo, v20
	v_xor_b32_e32 v18, vcc_hi, v21
	v_and_b32_e32 v33, exec_lo, v20
	v_lshlrev_b32_e32 v21, 30, v32
	v_mov_b32_e32 v20, v19
	v_cmp_gt_i64_e32 vcc, 0, v[20:21]
	v_not_b32_e32 v20, v21
	v_ashrrev_i32_e32 v20, 31, v20
	v_and_b32_e32 v18, exec_hi, v18
	v_xor_b32_e32 v21, vcc_hi, v20
	v_xor_b32_e32 v20, vcc_lo, v20
	v_and_b32_e32 v18, v18, v21
	v_and_b32_e32 v33, v33, v20
	v_lshlrev_b32_e32 v21, 29, v32
	v_mov_b32_e32 v20, v19
	v_cmp_gt_i64_e32 vcc, 0, v[20:21]
	v_not_b32_e32 v20, v21
	v_ashrrev_i32_e32 v20, 31, v20
	v_xor_b32_e32 v21, vcc_hi, v20
	v_xor_b32_e32 v20, vcc_lo, v20
	v_and_b32_e32 v18, v18, v21
	v_and_b32_e32 v33, v33, v20
	v_lshlrev_b32_e32 v21, 28, v32
	v_mov_b32_e32 v20, v19
	v_cmp_gt_i64_e32 vcc, 0, v[20:21]
	v_not_b32_e32 v20, v21
	v_ashrrev_i32_e32 v20, 31, v20
	;; [unrolled: 9-line block ×5, first 2 shown]
	v_xor_b32_e32 v21, vcc_hi, v20
	v_xor_b32_e32 v20, vcc_lo, v20
	v_and_b32_e32 v18, v18, v21
	v_lshlrev_b32_e32 v21, 24, v32
	v_and_b32_e32 v33, v33, v20
	v_mov_b32_e32 v20, v19
	v_not_b32_e32 v19, v21
	v_cmp_gt_i64_e32 vcc, 0, v[20:21]
	v_ashrrev_i32_e32 v19, 31, v19
	; wave barrier
	s_nop 0
	v_xor_b32_e32 v20, vcc_hi, v19
	v_xor_b32_e32 v21, vcc_lo, v19
	v_and_b32_e32 v19, v18, v20
	v_and_b32_e32 v18, v33, v21
	v_mbcnt_lo_u32_b32 v20, v18, 0
	v_mbcnt_hi_u32_b32 v32, v19, v20
	v_cmp_eq_u32_e32 vcc, 0, v32
	v_cmp_ne_u64_e64 s[0:1], 0, v[18:19]
	s_and_b64 s[4:5], s[0:1], vcc
	s_and_saveexec_b64 s[0:1], s[4:5]
	s_cbranch_execz .LBB156_105
; %bb.104:
	v_bcnt_u32_b32 v18, v18, 0
	v_bcnt_u32_b32 v18, v19, v18
	s_waitcnt lgkmcnt(0)
	v_add_u32_e32 v18, v30, v18
	ds_write_b32 v31, v18 offset:64
.LBB156_105:
	s_or_b64 exec, exec, s[0:1]
	v_bfrev_b32_e32 v36, 1
	s_waitcnt vmcnt(1)
	v_cmp_lt_i64_e32 vcc, -1, v[16:17]
	s_mov_b32 s4, -1
	v_ashrrev_i32_e32 v20, 31, v17
	v_cndmask_b32_e32 v18, -1, v36, vcc
	s_brev_b32 s5, -2
	v_xor_b32_e32 v19, v18, v17
	v_xor_b32_e32 v18, v20, v16
	v_cmp_ne_u64_e32 vcc, s[4:5], v[18:19]
	; wave barrier
	s_nop 1
	v_cndmask_b32_e32 v17, v36, v19, vcc
	v_cndmask_b32_e32 v16, 0, v18, vcc
	v_lshrrev_b64 v[16:17], s48, v[16:17]
	v_and_b32_e32 v35, s14, v16
	v_mul_lo_u32 v16, v35, s6
	v_lshl_add_u32 v34, v27, 2, v16
	v_and_b32_e32 v16, 1, v35
	v_mov_b32_e32 v17, 0
	v_lshl_add_u64 v[20:21], v[16:17], 0, -1
	v_cmp_ne_u32_e32 vcc, 0, v16
	ds_read_b32 v33, v34 offset:64
	s_nop 0
	v_xor_b32_e32 v20, vcc_lo, v20
	v_xor_b32_e32 v16, vcc_hi, v21
	v_and_b32_e32 v37, exec_lo, v20
	v_lshlrev_b32_e32 v21, 30, v35
	v_mov_b32_e32 v20, v17
	v_cmp_gt_i64_e32 vcc, 0, v[20:21]
	v_not_b32_e32 v20, v21
	v_ashrrev_i32_e32 v20, 31, v20
	v_and_b32_e32 v16, exec_hi, v16
	v_xor_b32_e32 v21, vcc_hi, v20
	v_xor_b32_e32 v20, vcc_lo, v20
	v_and_b32_e32 v16, v16, v21
	v_and_b32_e32 v37, v37, v20
	v_lshlrev_b32_e32 v21, 29, v35
	v_mov_b32_e32 v20, v17
	v_cmp_gt_i64_e32 vcc, 0, v[20:21]
	v_not_b32_e32 v20, v21
	v_ashrrev_i32_e32 v20, 31, v20
	v_xor_b32_e32 v21, vcc_hi, v20
	v_xor_b32_e32 v20, vcc_lo, v20
	v_and_b32_e32 v16, v16, v21
	v_and_b32_e32 v37, v37, v20
	v_lshlrev_b32_e32 v21, 28, v35
	v_mov_b32_e32 v20, v17
	v_cmp_gt_i64_e32 vcc, 0, v[20:21]
	v_not_b32_e32 v20, v21
	v_ashrrev_i32_e32 v20, 31, v20
	;; [unrolled: 9-line block ×6, first 2 shown]
	v_xor_b32_e32 v21, vcc_hi, v20
	v_xor_b32_e32 v20, vcc_lo, v20
	v_and_b32_e32 v20, v37, v20
	v_and_b32_e32 v21, v16, v21
	v_mbcnt_lo_u32_b32 v16, v20, 0
	v_mbcnt_hi_u32_b32 v35, v21, v16
	v_cmp_eq_u32_e32 vcc, 0, v35
	v_cmp_ne_u64_e64 s[0:1], 0, v[20:21]
	s_and_b64 s[8:9], s[0:1], vcc
	; wave barrier
	s_and_saveexec_b64 s[0:1], s[8:9]
	s_cbranch_execz .LBB156_107
; %bb.106:
	v_bcnt_u32_b32 v16, v20, 0
	v_bcnt_u32_b32 v16, v21, v16
	s_waitcnt lgkmcnt(0)
	v_add_u32_e32 v16, v33, v16
	ds_write_b32 v34, v16 offset:64
.LBB156_107:
	s_or_b64 exec, exec, s[0:1]
	s_waitcnt vmcnt(0)
	v_cmp_lt_i64_e32 vcc, -1, v[12:13]
	v_ashrrev_i32_e32 v20, 31, v13
	v_xor_b32_e32 v20, v20, v12
	v_cndmask_b32_e32 v16, -1, v36, vcc
	v_xor_b32_e32 v21, v16, v13
	v_cmp_ne_u64_e32 vcc, s[4:5], v[20:21]
	; wave barrier
	s_nop 1
	v_cndmask_b32_e32 v13, v36, v21, vcc
	v_cndmask_b32_e32 v12, 0, v20, vcc
	v_lshrrev_b64 v[12:13], s48, v[12:13]
	v_and_b32_e32 v37, s14, v12
	v_mul_lo_u32 v12, v37, s6
	v_and_b32_e32 v16, 1, v37
	v_lshl_add_u32 v36, v27, 2, v12
	v_lshl_add_u64 v[12:13], v[16:17], 0, -1
	v_cmp_ne_u32_e32 vcc, 0, v16
	ds_read_b32 v27, v36 offset:64
	s_nop 0
	v_xor_b32_e32 v13, vcc_hi, v13
	v_xor_b32_e32 v12, vcc_lo, v12
	v_and_b32_e32 v16, exec_hi, v13
	v_and_b32_e32 v38, exec_lo, v12
	v_lshlrev_b32_e32 v13, 30, v37
	v_mov_b32_e32 v12, v17
	v_cmp_gt_i64_e32 vcc, 0, v[12:13]
	v_not_b32_e32 v12, v13
	v_ashrrev_i32_e32 v12, 31, v12
	v_xor_b32_e32 v13, vcc_hi, v12
	v_xor_b32_e32 v12, vcc_lo, v12
	v_and_b32_e32 v16, v16, v13
	v_and_b32_e32 v38, v38, v12
	v_lshlrev_b32_e32 v13, 29, v37
	v_mov_b32_e32 v12, v17
	v_cmp_gt_i64_e32 vcc, 0, v[12:13]
	v_not_b32_e32 v12, v13
	v_ashrrev_i32_e32 v12, 31, v12
	v_xor_b32_e32 v13, vcc_hi, v12
	v_xor_b32_e32 v12, vcc_lo, v12
	v_and_b32_e32 v16, v16, v13
	v_and_b32_e32 v38, v38, v12
	;; [unrolled: 9-line block ×7, first 2 shown]
	v_mbcnt_lo_u32_b32 v16, v12, 0
	v_mbcnt_hi_u32_b32 v37, v13, v16
	v_cmp_eq_u32_e32 vcc, 0, v37
	v_cmp_ne_u64_e64 s[0:1], 0, v[12:13]
	s_and_b64 s[4:5], s[0:1], vcc
	; wave barrier
	s_and_saveexec_b64 s[0:1], s[4:5]
	s_cbranch_execz .LBB156_109
; %bb.108:
	v_bcnt_u32_b32 v12, v12, 0
	v_bcnt_u32_b32 v12, v13, v12
	s_waitcnt lgkmcnt(0)
	v_add_u32_e32 v12, v27, v12
	ds_write_b32 v36, v12 offset:64
.LBB156_109:
	s_or_b64 exec, exec, s[0:1]
	; wave barrier
	s_waitcnt lgkmcnt(0)
	s_barrier
	ds_read2_b32 v[16:17], v9 offset0:16 offset1:17
	ds_read2_b32 v[12:13], v9 offset0:18 offset1:19
	ds_read_b32 v38, v9 offset:80
	v_cmp_lt_u32_e64 s[8:9], 31, v3
	s_waitcnt lgkmcnt(1)
	v_add3_u32 v39, v17, v16, v12
	s_waitcnt lgkmcnt(0)
	v_add3_u32 v38, v39, v13, v38
	v_and_b32_e32 v39, 15, v3
	v_cmp_eq_u32_e32 vcc, 0, v39
	v_mov_b32_dpp v40, v38 row_shr:1 row_mask:0xf bank_mask:0xf
	v_cmp_lt_u32_e64 s[0:1], 1, v39
	v_cndmask_b32_e64 v40, v40, 0, vcc
	v_add_u32_e32 v38, v40, v38
	v_cmp_lt_u32_e64 s[6:7], 3, v39
	v_cmp_lt_u32_e64 s[4:5], 7, v39
	v_mov_b32_dpp v40, v38 row_shr:2 row_mask:0xf bank_mask:0xf
	v_cndmask_b32_e64 v40, 0, v40, s[0:1]
	v_add_u32_e32 v38, v38, v40
	s_nop 1
	v_mov_b32_dpp v40, v38 row_shr:4 row_mask:0xf bank_mask:0xf
	v_cndmask_b32_e64 v40, 0, v40, s[6:7]
	v_add_u32_e32 v38, v38, v40
	s_nop 1
	v_mov_b32_dpp v40, v38 row_shr:8 row_mask:0xf bank_mask:0xf
	v_cndmask_b32_e64 v39, 0, v40, s[4:5]
	v_add_u32_e32 v38, v38, v39
	v_bfe_i32 v40, v3, 4, 1
	s_nop 0
	v_mov_b32_dpp v39, v38 row_bcast:15 row_mask:0xf bank_mask:0xf
	v_and_b32_e32 v39, v40, v39
	v_add_u32_e32 v38, v38, v39
	v_and_b32_e32 v40, 63, v2
	s_nop 0
	v_mov_b32_dpp v39, v38 row_bcast:31 row_mask:0xf bank_mask:0xf
	v_cndmask_b32_e64 v39, 0, v39, s[8:9]
	v_add_u32_e32 v38, v38, v39
	v_lshrrev_b32_e32 v39, 6, v2
	v_cmp_eq_u32_e64 s[8:9], 63, v40
	s_and_saveexec_b64 s[12:13], s[8:9]
; %bb.110:
	v_lshlrev_b32_e32 v40, 2, v39
	ds_write_b32 v40, v38
; %bb.111:
	s_or_b64 exec, exec, s[12:13]
	v_cmp_gt_u32_e64 s[8:9], 16, v2
	s_waitcnt lgkmcnt(0)
	s_barrier
	s_and_saveexec_b64 s[12:13], s[8:9]
	s_cbranch_execz .LBB156_113
; %bb.112:
	v_lshlrev_b32_e32 v40, 2, v2
	ds_read_b32 v41, v40
	s_waitcnt lgkmcnt(0)
	s_nop 0
	v_mov_b32_dpp v42, v41 row_shr:1 row_mask:0xf bank_mask:0xf
	v_cndmask_b32_e64 v42, v42, 0, vcc
	v_add_u32_e32 v41, v42, v41
	s_nop 1
	v_mov_b32_dpp v42, v41 row_shr:2 row_mask:0xf bank_mask:0xf
	v_cndmask_b32_e64 v42, 0, v42, s[0:1]
	v_add_u32_e32 v41, v41, v42
	s_nop 1
	v_mov_b32_dpp v42, v41 row_shr:4 row_mask:0xf bank_mask:0xf
	v_cndmask_b32_e64 v42, 0, v42, s[6:7]
	;; [unrolled: 4-line block ×3, first 2 shown]
	v_add_u32_e32 v41, v41, v42
	ds_write_b32 v40, v41
.LBB156_113:
	s_or_b64 exec, exec, s[12:13]
	v_cmp_lt_u32_e32 vcc, 63, v2
	v_mov_b32_e32 v40, 0
	s_waitcnt lgkmcnt(0)
	s_barrier
	s_and_saveexec_b64 s[0:1], vcc
; %bb.114:
	v_lshl_add_u32 v39, v39, 2, -4
	ds_read_b32 v40, v39
; %bb.115:
	s_or_b64 exec, exec, s[0:1]
	v_add_u32_e32 v39, -1, v3
	v_and_b32_e32 v41, 64, v3
	v_cmp_lt_i32_e32 vcc, v39, v41
	s_waitcnt lgkmcnt(0)
	v_add_u32_e32 v38, v40, v38
	s_movk_i32 s0, 0xff
	v_cndmask_b32_e32 v39, v39, v3, vcc
	v_lshlrev_b32_e32 v39, 2, v39
	ds_bpermute_b32 v38, v39, v38
	v_cmp_eq_u32_e32 vcc, 0, v3
	s_movk_i32 s4, 0x100
	s_waitcnt lgkmcnt(0)
	v_cndmask_b32_e32 v3, v38, v40, vcc
	v_cmp_ne_u32_e32 vcc, 0, v2
	s_nop 1
	v_cndmask_b32_e32 v3, 0, v3, vcc
	v_add_u32_e32 v16, v3, v16
	v_add_u32_e32 v17, v16, v17
	;; [unrolled: 1-line block ×4, first 2 shown]
	ds_write2_b32 v9, v3, v16 offset0:16 offset1:17
	ds_write2_b32 v9, v17, v12 offset0:18 offset1:19
	ds_write_b32 v9, v13 offset:80
	s_waitcnt lgkmcnt(0)
	s_barrier
	ds_read_b32 v17, v11 offset:64
	ds_read_b32 v38, v24 offset:64
	;; [unrolled: 1-line block ×6, first 2 shown]
	v_cmp_lt_u32_e32 vcc, s0, v2
	v_cmp_gt_u32_e64 s[0:1], s4, v2
	v_mov_b64_e32 v[12:13], 0
                                        ; implicit-def: $vgpr16
	s_and_saveexec_b64 s[6:7], s[0:1]
	s_cbranch_execz .LBB156_119
; %bb.116:
	v_mul_u32_u24_e32 v12, 0x44, v2
	ds_read_b32 v12, v12 offset:64
	v_add_u32_e32 v16, 1, v2
	v_cmp_ne_u32_e64 s[4:5], s4, v16
	v_mov_b32_e32 v13, 0x1800
	s_and_saveexec_b64 s[8:9], s[4:5]
; %bb.117:
	v_mul_u32_u24_e32 v13, 0x44, v16
	ds_read_b32 v13, v13 offset:64
; %bb.118:
	s_or_b64 exec, exec, s[8:9]
	s_waitcnt lgkmcnt(0)
	v_sub_u32_e32 v16, v13, v12
	v_mov_b32_e32 v13, 0
.LBB156_119:
	s_or_b64 exec, exec, s[6:7]
	v_lshlrev_b32_e32 v22, 3, v22
	s_waitcnt lgkmcnt(5)
	v_lshl_add_u32 v17, v17, 3, v22
	s_waitcnt lgkmcnt(0)
	s_barrier
	ds_write_b64 v17, v[0:1] offset:2048
	v_lshlrev_b32_e32 v0, 3, v25
	v_lshlrev_b32_e32 v1, 3, v23
	;; [unrolled: 1-line block ×3, first 2 shown]
	v_add3_u32 v22, v0, v1, v22
	ds_write_b64 v22, v[4:5] offset:2048
	v_lshlrev_b32_e32 v0, 3, v29
	v_lshlrev_b32_e32 v1, 3, v26
	v_lshlrev_b32_e32 v4, 3, v24
	v_add3_u32 v23, v0, v1, v4
	v_lshlrev_b32_e32 v0, 3, v32
	v_lshlrev_b32_e32 v1, 3, v30
	v_lshlrev_b32_e32 v4, 3, v11
	v_add3_u32 v24, v0, v1, v4
	;; [unrolled: 4-line block ×3, first 2 shown]
	v_lshlrev_b32_e32 v0, 3, v37
	v_lshlrev_b32_e32 v1, 3, v27
	;; [unrolled: 1-line block ×3, first 2 shown]
	ds_write_b64 v23, v[6:7] offset:2048
	ds_write_b64 v24, v[14:15] offset:2048
	;; [unrolled: 1-line block ×3, first 2 shown]
	v_add3_u32 v18, v0, v1, v3
	v_mov_b32_e32 v1, 0
	v_lshlrev_b32_e32 v14, 3, v2
	ds_write_b64 v18, v[20:21] offset:2048
	s_waitcnt lgkmcnt(0)
	s_barrier
	s_and_saveexec_b64 s[4:5], s[0:1]
	s_cbranch_execz .LBB156_129
; %bb.120:
	v_lshl_add_u32 v0, s2, 8, v2
	v_lshl_add_u64 v[4:5], v[0:1], 2, s[30:31]
	v_or_b32_e32 v0, 2.0, v16
	s_mov_b64 s[6:7], 0
	s_brev_b32 s15, -4
	s_mov_b32 s16, s2
	v_mov_b32_e32 v3, 0
	global_store_dword v[4:5], v0, off sc1
                                        ; implicit-def: $sgpr0_sgpr1
	s_branch .LBB156_123
.LBB156_121:                            ;   in Loop: Header=BB156_123 Depth=1
	s_or_b64 exec, exec, s[12:13]
.LBB156_122:                            ;   in Loop: Header=BB156_123 Depth=1
	s_or_b64 exec, exec, s[8:9]
	v_and_b32_e32 v6, 0x3fffffff, v0
	v_add_u32_e32 v3, v6, v3
	v_cmp_gt_i32_e64 s[0:1], -2.0, v0
	s_and_b64 s[8:9], exec, s[0:1]
	s_or_b64 s[6:7], s[8:9], s[6:7]
	s_andn2_b64 exec, exec, s[6:7]
	s_cbranch_execz .LBB156_128
.LBB156_123:                            ; =>This Loop Header: Depth=1
                                        ;     Child Loop BB156_126 Depth 2
	s_or_b64 s[0:1], s[0:1], exec
	s_cmp_eq_u32 s16, 0
	s_cbranch_scc1 .LBB156_127
; %bb.124:                              ;   in Loop: Header=BB156_123 Depth=1
	s_add_i32 s16, s16, -1
	v_lshl_or_b32 v0, s16, 8, v2
	v_lshl_add_u64 v[6:7], v[0:1], 2, s[30:31]
	global_load_dword v0, v[6:7], off sc1
	s_waitcnt vmcnt(0)
	v_cmp_gt_u32_e64 s[0:1], 2.0, v0
	s_and_saveexec_b64 s[8:9], s[0:1]
	s_cbranch_execz .LBB156_122
; %bb.125:                              ;   in Loop: Header=BB156_123 Depth=1
	s_mov_b64 s[12:13], 0
.LBB156_126:                            ;   Parent Loop BB156_123 Depth=1
                                        ; =>  This Inner Loop Header: Depth=2
	global_load_dword v0, v[6:7], off sc1
	s_waitcnt vmcnt(0)
	v_cmp_lt_u32_e64 s[0:1], s15, v0
	s_or_b64 s[12:13], s[0:1], s[12:13]
	s_andn2_b64 exec, exec, s[12:13]
	s_cbranch_execnz .LBB156_126
	s_branch .LBB156_121
.LBB156_127:                            ;   in Loop: Header=BB156_123 Depth=1
                                        ; implicit-def: $sgpr16
	s_and_b64 s[8:9], exec, s[0:1]
	s_or_b64 s[6:7], s[8:9], s[6:7]
	s_andn2_b64 exec, exec, s[6:7]
	s_cbranch_execnz .LBB156_123
.LBB156_128:
	s_or_b64 exec, exec, s[6:7]
	v_add_u32_e32 v0, v3, v16
	v_or_b32_e32 v0, 0x80000000, v0
	global_store_dword v[4:5], v0, off sc1
	global_load_dwordx2 v[0:1], v14, s[44:45]
	v_sub_co_u32_e64 v2, s[0:1], v3, v12
	s_nop 1
	v_subb_co_u32_e64 v3, s[0:1], 0, v13, s[0:1]
	s_waitcnt vmcnt(0)
	v_lshl_add_u64 v[0:1], v[2:3], 0, v[0:1]
	ds_write_b64 v14, v[0:1]
.LBB156_129:
	s_or_b64 exec, exec, s[4:5]
	s_waitcnt lgkmcnt(0)
	s_barrier
	ds_read2st64_b64 v[0:3], v14 offset0:4 offset1:20
	s_mov_b32 s4, -1
	s_brev_b32 s5, -2
	v_bfrev_b32_e32 v19, 1
	v_mov_b32_e32 v15, 0
	s_waitcnt lgkmcnt(0)
	v_cmp_ne_u64_e64 s[0:1], s[4:5], v[0:1]
	v_ashrrev_i32_e32 v6, 31, v1
	v_not_b32_e32 v6, v6
	v_cndmask_b32_e64 v5, v19, v1, s[0:1]
	v_cndmask_b32_e64 v4, 0, v0, s[0:1]
	v_lshrrev_b64 v[4:5], s48, v[4:5]
	v_cmp_lt_i64_e64 s[0:1], -1, v[0:1]
	v_and_b32_e32 v4, s14, v4
	v_xor_b32_e32 v0, v6, v0
	v_cndmask_b32_e64 v5, v19, -1, s[0:1]
	v_xor_b32_e32 v1, v5, v1
	v_lshlrev_b32_e32 v42, 3, v4
	ds_read2st64_b64 v[4:7], v14 offset0:36 offset1:52
	v_cmp_ne_u64_e64 s[0:1], s[4:5], v[2:3]
	v_mov_b32_e32 v11, v15
	ds_read_b64 v[20:21], v42
	v_cndmask_b32_e64 v27, v19, v3, s[0:1]
	v_cndmask_b32_e64 v26, 0, v2, s[0:1]
	v_lshrrev_b64 v[26:27], s48, v[26:27]
	s_waitcnt lgkmcnt(1)
	v_cmp_ne_u64_e64 s[0:1], s[4:5], v[4:5]
	v_and_b32_e32 v9, s14, v26
	v_lshlrev_b32_e32 v43, 3, v9
	v_cndmask_b32_e64 v27, v19, v5, s[0:1]
	v_cndmask_b32_e64 v26, 0, v4, s[0:1]
	v_lshrrev_b64 v[26:27], s48, v[26:27]
	v_cmp_ne_u64_e64 s[0:1], s[4:5], v[6:7]
	v_and_b32_e32 v9, s14, v26
	v_lshlrev_b32_e32 v44, 3, v9
	v_cndmask_b32_e64 v27, v19, v7, s[0:1]
	v_cndmask_b32_e64 v26, 0, v6, s[0:1]
	v_lshrrev_b64 v[26:27], s48, v[26:27]
	v_and_b32_e32 v9, s14, v26
	s_add_u32 s0, s40, s10
	v_lshlrev_b32_e32 v45, 3, v9
	s_addc_u32 s1, s41, s11
	v_mov_b32_e32 v9, v15
	v_lshl_add_u64 v[8:9], s[0:1], 0, v[8:9]
	v_lshl_add_u64 v[8:9], v[8:9], 0, v[10:11]
	ds_read_b64 v[26:27], v43
	ds_read_b64 v[28:29], v44
	;; [unrolled: 1-line block ×3, first 2 shown]
	global_load_dwordx2 v[10:11], v[8:9], off
	global_load_dwordx2 v[32:33], v[8:9], off offset:512
	global_load_dwordx2 v[34:35], v[8:9], off offset:1024
	;; [unrolled: 1-line block ×5, first 2 shown]
	s_waitcnt lgkmcnt(3)
	v_lshl_add_u64 v[20:21], v[20:21], 3, s[38:39]
	v_lshl_add_u64 v[20:21], v[20:21], 0, v[14:15]
	global_store_dwordx2 v[20:21], v[0:1], off
	v_cmp_lt_i64_e64 s[0:1], -1, v[2:3]
	v_ashrrev_i32_e32 v1, 31, v3
	v_not_b32_e32 v8, v1
	v_cndmask_b32_e64 v0, v19, -1, s[0:1]
	v_xor_b32_e32 v1, v0, v3
	v_xor_b32_e32 v0, v8, v2
	s_waitcnt lgkmcnt(2)
	v_lshl_add_u64 v[2:3], v[26:27], 3, s[38:39]
	v_or_b32_e32 v8, 0x2000, v14
	v_mov_b32_e32 v9, v15
	v_lshl_add_u64 v[2:3], v[2:3], 0, v[8:9]
	global_store_dwordx2 v[2:3], v[0:1], off
	v_cmp_lt_i64_e64 s[0:1], -1, v[4:5]
	v_ashrrev_i32_e32 v1, 31, v5
	v_not_b32_e32 v2, v1
	v_cndmask_b32_e64 v0, v19, -1, s[0:1]
	v_xor_b32_e32 v1, v0, v5
	v_xor_b32_e32 v0, v2, v4
	s_waitcnt lgkmcnt(1)
	v_lshl_add_u64 v[2:3], v[28:29], 3, s[38:39]
	v_or_b32_e32 v20, 0x4000, v14
	v_mov_b32_e32 v21, v15
	v_lshl_add_u64 v[2:3], v[2:3], 0, v[20:21]
	global_store_dwordx2 v[2:3], v[0:1], off
	v_cmp_lt_i64_e64 s[0:1], -1, v[6:7]
	v_ashrrev_i32_e32 v1, 31, v7
	v_not_b32_e32 v1, v1
	v_cndmask_b32_e64 v0, v19, -1, s[0:1]
	v_xor_b32_e32 v5, v0, v7
	v_xor_b32_e32 v4, v1, v6
	ds_read2st64_b64 v[0:3], v14 offset0:68 offset1:84
	s_waitcnt lgkmcnt(1)
	v_lshl_add_u64 v[6:7], v[30:31], 3, s[38:39]
	v_or_b32_e32 v26, 0x6000, v14
	v_mov_b32_e32 v27, v15
	v_lshl_add_u64 v[6:7], v[6:7], 0, v[26:27]
	s_waitcnt lgkmcnt(0)
	v_cmp_ne_u64_e64 s[0:1], s[4:5], v[0:1]
	global_store_dwordx2 v[6:7], v[4:5], off
	v_ashrrev_i32_e32 v6, 31, v1
	v_cndmask_b32_e64 v5, v19, v1, s[0:1]
	v_cndmask_b32_e64 v4, 0, v0, s[0:1]
	v_lshrrev_b64 v[4:5], s48, v[4:5]
	v_and_b32_e32 v4, s14, v4
	v_cmp_lt_i64_e64 s[0:1], -1, v[0:1]
	v_not_b32_e32 v6, v6
	v_lshlrev_b32_e32 v46, 3, v4
	v_cndmask_b32_e64 v5, v19, -1, s[0:1]
	v_cmp_ne_u64_e64 s[0:1], s[4:5], v[2:3]
	v_xor_b32_e32 v1, v5, v1
	v_xor_b32_e32 v0, v6, v0
	ds_read_b64 v[4:5], v46
	v_cndmask_b32_e64 v7, v19, v3, s[0:1]
	v_cndmask_b32_e64 v6, 0, v2, s[0:1]
	v_lshrrev_b64 v[6:7], s48, v[6:7]
	v_and_b32_e32 v6, s14, v6
	v_lshlrev_b32_e32 v47, 3, v6
	ds_read_b64 v[6:7], v47
	s_waitcnt lgkmcnt(1)
	v_lshl_add_u64 v[4:5], v[4:5], 3, s[38:39]
	v_or_b32_e32 v28, 0x8000, v14
	v_mov_b32_e32 v29, v15
	v_lshl_add_u64 v[4:5], v[4:5], 0, v[28:29]
	global_store_dwordx2 v[4:5], v[0:1], off
	v_cmp_lt_i64_e64 s[0:1], -1, v[2:3]
	v_ashrrev_i32_e32 v1, 31, v3
	v_not_b32_e32 v4, v1
	v_cndmask_b32_e64 v0, v19, -1, s[0:1]
	v_xor_b32_e32 v1, v0, v3
	v_xor_b32_e32 v0, v4, v2
	s_waitcnt lgkmcnt(0)
	v_lshl_add_u64 v[2:3], v[6:7], 3, s[38:39]
	v_or_b32_e32 v30, 0xa000, v14
	v_mov_b32_e32 v31, v15
	v_lshl_add_u64 v[2:3], v[2:3], 0, v[30:31]
	global_store_dwordx2 v[2:3], v[0:1], off
	s_barrier
	s_waitcnt vmcnt(11)
	ds_write_b64 v17, v[10:11] offset:2048
	s_waitcnt vmcnt(10)
	ds_write_b64 v22, v[32:33] offset:2048
	;; [unrolled: 2-line block ×6, first 2 shown]
	s_waitcnt lgkmcnt(0)
	s_barrier
	ds_read_b64 v[4:5], v42
	ds_read2st64_b64 v[0:3], v14 offset0:4 offset1:20
	ds_read_b64 v[6:7], v43
	ds_read_b64 v[10:11], v44
	;; [unrolled: 1-line block ×3, first 2 shown]
	s_waitcnt lgkmcnt(4)
	v_lshl_add_u64 v[4:5], v[4:5], 3, s[42:43]
	v_lshl_add_u64 v[4:5], v[4:5], 0, v[14:15]
	s_waitcnt lgkmcnt(3)
	global_store_dwordx2 v[4:5], v[0:1], off
	s_waitcnt lgkmcnt(2)
	v_lshl_add_u64 v[0:1], v[6:7], 3, s[42:43]
	ds_read2st64_b64 v[4:7], v14 offset0:36 offset1:52
	v_lshl_add_u64 v[0:1], v[0:1], 0, v[8:9]
	global_store_dwordx2 v[0:1], v[2:3], off
	s_waitcnt lgkmcnt(2)
	v_lshl_add_u64 v[0:1], v[10:11], 3, s[42:43]
	v_lshl_add_u64 v[0:1], v[0:1], 0, v[20:21]
	s_waitcnt lgkmcnt(0)
	global_store_dwordx2 v[0:1], v[4:5], off
	ds_read_b64 v[4:5], v46
	v_lshl_add_u64 v[0:1], v[18:19], 3, s[42:43]
	v_lshl_add_u64 v[8:9], v[0:1], 0, v[26:27]
	ds_read2st64_b64 v[0:3], v14 offset0:68 offset1:84
	ds_read_b64 v[10:11], v47
	s_add_i32 s3, s3, -1
	s_waitcnt lgkmcnt(2)
	v_lshl_add_u64 v[4:5], v[4:5], 3, s[42:43]
	v_lshl_add_u64 v[4:5], v[4:5], 0, v[28:29]
	s_cmp_eq_u32 s2, s3
	global_store_dwordx2 v[8:9], v[6:7], off
	s_waitcnt lgkmcnt(1)
	global_store_dwordx2 v[4:5], v[0:1], off
	s_waitcnt lgkmcnt(0)
	v_lshl_add_u64 v[0:1], v[10:11], 3, s[42:43]
	s_cselect_b64 s[0:1], -1, 0
	s_xor_b64 s[2:3], vcc, -1
	v_lshl_add_u64 v[0:1], v[0:1], 0, v[30:31]
	s_and_b64 s[0:1], s[2:3], s[0:1]
	global_store_dwordx2 v[0:1], v[2:3], off
	s_and_saveexec_b64 s[2:3], s[0:1]
	s_cbranch_execz .LBB156_131
; %bb.130:
	ds_read_b64 v[0:1], v14
	v_mov_b32_e32 v17, v15
	v_lshl_add_u64 v[2:3], v[12:13], 0, v[16:17]
	s_waitcnt lgkmcnt(0)
	v_lshl_add_u64 v[0:1], v[2:3], 0, v[0:1]
	global_store_dwordx2 v14, v[0:1], s[46:47]
.LBB156_131:
	s_endpgm
	.section	.rodata,"a",@progbits
	.p2align	6, 0x0
	.amdhsa_kernel _ZN7rocprim17ROCPRIM_304000_NS6detail25onesweep_iteration_kernelINS1_34wrapped_radix_sort_onesweep_configINS0_14default_configEdN2at4cuda3cub6detail10OpaqueTypeILi8EEEEELb0EPKdPdPKSA_PSA_mNS0_19identity_decomposerEEEvT1_T2_T3_T4_jPT5_SO_PNS1_23onesweep_lookback_stateET6_jjj
		.amdhsa_group_segment_fixed_size 51200
		.amdhsa_private_segment_fixed_size 0
		.amdhsa_kernarg_size 336
		.amdhsa_user_sgpr_count 2
		.amdhsa_user_sgpr_dispatch_ptr 0
		.amdhsa_user_sgpr_queue_ptr 0
		.amdhsa_user_sgpr_kernarg_segment_ptr 1
		.amdhsa_user_sgpr_dispatch_id 0
		.amdhsa_user_sgpr_kernarg_preload_length 0
		.amdhsa_user_sgpr_kernarg_preload_offset 0
		.amdhsa_user_sgpr_private_segment_size 0
		.amdhsa_uses_dynamic_stack 0
		.amdhsa_enable_private_segment 0
		.amdhsa_system_sgpr_workgroup_id_x 1
		.amdhsa_system_sgpr_workgroup_id_y 0
		.amdhsa_system_sgpr_workgroup_id_z 0
		.amdhsa_system_sgpr_workgroup_info 0
		.amdhsa_system_vgpr_workitem_id 2
		.amdhsa_next_free_vgpr 48
		.amdhsa_next_free_sgpr 54
		.amdhsa_accum_offset 48
		.amdhsa_reserve_vcc 1
		.amdhsa_float_round_mode_32 0
		.amdhsa_float_round_mode_16_64 0
		.amdhsa_float_denorm_mode_32 3
		.amdhsa_float_denorm_mode_16_64 3
		.amdhsa_dx10_clamp 1
		.amdhsa_ieee_mode 1
		.amdhsa_fp16_overflow 0
		.amdhsa_tg_split 0
		.amdhsa_exception_fp_ieee_invalid_op 0
		.amdhsa_exception_fp_denorm_src 0
		.amdhsa_exception_fp_ieee_div_zero 0
		.amdhsa_exception_fp_ieee_overflow 0
		.amdhsa_exception_fp_ieee_underflow 0
		.amdhsa_exception_fp_ieee_inexact 0
		.amdhsa_exception_int_div_zero 0
	.end_amdhsa_kernel
	.section	.text._ZN7rocprim17ROCPRIM_304000_NS6detail25onesweep_iteration_kernelINS1_34wrapped_radix_sort_onesweep_configINS0_14default_configEdN2at4cuda3cub6detail10OpaqueTypeILi8EEEEELb0EPKdPdPKSA_PSA_mNS0_19identity_decomposerEEEvT1_T2_T3_T4_jPT5_SO_PNS1_23onesweep_lookback_stateET6_jjj,"axG",@progbits,_ZN7rocprim17ROCPRIM_304000_NS6detail25onesweep_iteration_kernelINS1_34wrapped_radix_sort_onesweep_configINS0_14default_configEdN2at4cuda3cub6detail10OpaqueTypeILi8EEEEELb0EPKdPdPKSA_PSA_mNS0_19identity_decomposerEEEvT1_T2_T3_T4_jPT5_SO_PNS1_23onesweep_lookback_stateET6_jjj,comdat
.Lfunc_end156:
	.size	_ZN7rocprim17ROCPRIM_304000_NS6detail25onesweep_iteration_kernelINS1_34wrapped_radix_sort_onesweep_configINS0_14default_configEdN2at4cuda3cub6detail10OpaqueTypeILi8EEEEELb0EPKdPdPKSA_PSA_mNS0_19identity_decomposerEEEvT1_T2_T3_T4_jPT5_SO_PNS1_23onesweep_lookback_stateET6_jjj, .Lfunc_end156-_ZN7rocprim17ROCPRIM_304000_NS6detail25onesweep_iteration_kernelINS1_34wrapped_radix_sort_onesweep_configINS0_14default_configEdN2at4cuda3cub6detail10OpaqueTypeILi8EEEEELb0EPKdPdPKSA_PSA_mNS0_19identity_decomposerEEEvT1_T2_T3_T4_jPT5_SO_PNS1_23onesweep_lookback_stateET6_jjj
                                        ; -- End function
	.set _ZN7rocprim17ROCPRIM_304000_NS6detail25onesweep_iteration_kernelINS1_34wrapped_radix_sort_onesweep_configINS0_14default_configEdN2at4cuda3cub6detail10OpaqueTypeILi8EEEEELb0EPKdPdPKSA_PSA_mNS0_19identity_decomposerEEEvT1_T2_T3_T4_jPT5_SO_PNS1_23onesweep_lookback_stateET6_jjj.num_vgpr, 48
	.set _ZN7rocprim17ROCPRIM_304000_NS6detail25onesweep_iteration_kernelINS1_34wrapped_radix_sort_onesweep_configINS0_14default_configEdN2at4cuda3cub6detail10OpaqueTypeILi8EEEEELb0EPKdPdPKSA_PSA_mNS0_19identity_decomposerEEEvT1_T2_T3_T4_jPT5_SO_PNS1_23onesweep_lookback_stateET6_jjj.num_agpr, 0
	.set _ZN7rocprim17ROCPRIM_304000_NS6detail25onesweep_iteration_kernelINS1_34wrapped_radix_sort_onesweep_configINS0_14default_configEdN2at4cuda3cub6detail10OpaqueTypeILi8EEEEELb0EPKdPdPKSA_PSA_mNS0_19identity_decomposerEEEvT1_T2_T3_T4_jPT5_SO_PNS1_23onesweep_lookback_stateET6_jjj.numbered_sgpr, 54
	.set _ZN7rocprim17ROCPRIM_304000_NS6detail25onesweep_iteration_kernelINS1_34wrapped_radix_sort_onesweep_configINS0_14default_configEdN2at4cuda3cub6detail10OpaqueTypeILi8EEEEELb0EPKdPdPKSA_PSA_mNS0_19identity_decomposerEEEvT1_T2_T3_T4_jPT5_SO_PNS1_23onesweep_lookback_stateET6_jjj.num_named_barrier, 0
	.set _ZN7rocprim17ROCPRIM_304000_NS6detail25onesweep_iteration_kernelINS1_34wrapped_radix_sort_onesweep_configINS0_14default_configEdN2at4cuda3cub6detail10OpaqueTypeILi8EEEEELb0EPKdPdPKSA_PSA_mNS0_19identity_decomposerEEEvT1_T2_T3_T4_jPT5_SO_PNS1_23onesweep_lookback_stateET6_jjj.private_seg_size, 0
	.set _ZN7rocprim17ROCPRIM_304000_NS6detail25onesweep_iteration_kernelINS1_34wrapped_radix_sort_onesweep_configINS0_14default_configEdN2at4cuda3cub6detail10OpaqueTypeILi8EEEEELb0EPKdPdPKSA_PSA_mNS0_19identity_decomposerEEEvT1_T2_T3_T4_jPT5_SO_PNS1_23onesweep_lookback_stateET6_jjj.uses_vcc, 1
	.set _ZN7rocprim17ROCPRIM_304000_NS6detail25onesweep_iteration_kernelINS1_34wrapped_radix_sort_onesweep_configINS0_14default_configEdN2at4cuda3cub6detail10OpaqueTypeILi8EEEEELb0EPKdPdPKSA_PSA_mNS0_19identity_decomposerEEEvT1_T2_T3_T4_jPT5_SO_PNS1_23onesweep_lookback_stateET6_jjj.uses_flat_scratch, 0
	.set _ZN7rocprim17ROCPRIM_304000_NS6detail25onesweep_iteration_kernelINS1_34wrapped_radix_sort_onesweep_configINS0_14default_configEdN2at4cuda3cub6detail10OpaqueTypeILi8EEEEELb0EPKdPdPKSA_PSA_mNS0_19identity_decomposerEEEvT1_T2_T3_T4_jPT5_SO_PNS1_23onesweep_lookback_stateET6_jjj.has_dyn_sized_stack, 0
	.set _ZN7rocprim17ROCPRIM_304000_NS6detail25onesweep_iteration_kernelINS1_34wrapped_radix_sort_onesweep_configINS0_14default_configEdN2at4cuda3cub6detail10OpaqueTypeILi8EEEEELb0EPKdPdPKSA_PSA_mNS0_19identity_decomposerEEEvT1_T2_T3_T4_jPT5_SO_PNS1_23onesweep_lookback_stateET6_jjj.has_recursion, 0
	.set _ZN7rocprim17ROCPRIM_304000_NS6detail25onesweep_iteration_kernelINS1_34wrapped_radix_sort_onesweep_configINS0_14default_configEdN2at4cuda3cub6detail10OpaqueTypeILi8EEEEELb0EPKdPdPKSA_PSA_mNS0_19identity_decomposerEEEvT1_T2_T3_T4_jPT5_SO_PNS1_23onesweep_lookback_stateET6_jjj.has_indirect_call, 0
	.section	.AMDGPU.csdata,"",@progbits
; Kernel info:
; codeLenInByte = 12496
; TotalNumSgprs: 60
; NumVgprs: 48
; NumAgprs: 0
; TotalNumVgprs: 48
; ScratchSize: 0
; MemoryBound: 0
; FloatMode: 240
; IeeeMode: 1
; LDSByteSize: 51200 bytes/workgroup (compile time only)
; SGPRBlocks: 7
; VGPRBlocks: 5
; NumSGPRsForWavesPerEU: 60
; NumVGPRsForWavesPerEU: 48
; AccumOffset: 48
; Occupancy: 8
; WaveLimiterHint : 1
; COMPUTE_PGM_RSRC2:SCRATCH_EN: 0
; COMPUTE_PGM_RSRC2:USER_SGPR: 2
; COMPUTE_PGM_RSRC2:TRAP_HANDLER: 0
; COMPUTE_PGM_RSRC2:TGID_X_EN: 1
; COMPUTE_PGM_RSRC2:TGID_Y_EN: 0
; COMPUTE_PGM_RSRC2:TGID_Z_EN: 0
; COMPUTE_PGM_RSRC2:TIDIG_COMP_CNT: 2
; COMPUTE_PGM_RSRC3_GFX90A:ACCUM_OFFSET: 11
; COMPUTE_PGM_RSRC3_GFX90A:TG_SPLIT: 0
	.section	.text._ZN7rocprim17ROCPRIM_304000_NS6detail25onesweep_iteration_kernelINS1_34wrapped_radix_sort_onesweep_configINS0_14default_configEdN2at4cuda3cub6detail10OpaqueTypeILi8EEEEELb0EPdSC_PSA_SD_mNS0_19identity_decomposerEEEvT1_T2_T3_T4_jPT5_SK_PNS1_23onesweep_lookback_stateET6_jjj,"axG",@progbits,_ZN7rocprim17ROCPRIM_304000_NS6detail25onesweep_iteration_kernelINS1_34wrapped_radix_sort_onesweep_configINS0_14default_configEdN2at4cuda3cub6detail10OpaqueTypeILi8EEEEELb0EPdSC_PSA_SD_mNS0_19identity_decomposerEEEvT1_T2_T3_T4_jPT5_SK_PNS1_23onesweep_lookback_stateET6_jjj,comdat
	.protected	_ZN7rocprim17ROCPRIM_304000_NS6detail25onesweep_iteration_kernelINS1_34wrapped_radix_sort_onesweep_configINS0_14default_configEdN2at4cuda3cub6detail10OpaqueTypeILi8EEEEELb0EPdSC_PSA_SD_mNS0_19identity_decomposerEEEvT1_T2_T3_T4_jPT5_SK_PNS1_23onesweep_lookback_stateET6_jjj ; -- Begin function _ZN7rocprim17ROCPRIM_304000_NS6detail25onesweep_iteration_kernelINS1_34wrapped_radix_sort_onesweep_configINS0_14default_configEdN2at4cuda3cub6detail10OpaqueTypeILi8EEEEELb0EPdSC_PSA_SD_mNS0_19identity_decomposerEEEvT1_T2_T3_T4_jPT5_SK_PNS1_23onesweep_lookback_stateET6_jjj
	.globl	_ZN7rocprim17ROCPRIM_304000_NS6detail25onesweep_iteration_kernelINS1_34wrapped_radix_sort_onesweep_configINS0_14default_configEdN2at4cuda3cub6detail10OpaqueTypeILi8EEEEELb0EPdSC_PSA_SD_mNS0_19identity_decomposerEEEvT1_T2_T3_T4_jPT5_SK_PNS1_23onesweep_lookback_stateET6_jjj
	.p2align	8
	.type	_ZN7rocprim17ROCPRIM_304000_NS6detail25onesweep_iteration_kernelINS1_34wrapped_radix_sort_onesweep_configINS0_14default_configEdN2at4cuda3cub6detail10OpaqueTypeILi8EEEEELb0EPdSC_PSA_SD_mNS0_19identity_decomposerEEEvT1_T2_T3_T4_jPT5_SK_PNS1_23onesweep_lookback_stateET6_jjj,@function
_ZN7rocprim17ROCPRIM_304000_NS6detail25onesweep_iteration_kernelINS1_34wrapped_radix_sort_onesweep_configINS0_14default_configEdN2at4cuda3cub6detail10OpaqueTypeILi8EEEEELb0EPdSC_PSA_SD_mNS0_19identity_decomposerEEEvT1_T2_T3_T4_jPT5_SK_PNS1_23onesweep_lookback_stateET6_jjj: ; @_ZN7rocprim17ROCPRIM_304000_NS6detail25onesweep_iteration_kernelINS1_34wrapped_radix_sort_onesweep_configINS0_14default_configEdN2at4cuda3cub6detail10OpaqueTypeILi8EEEEELb0EPdSC_PSA_SD_mNS0_19identity_decomposerEEEvT1_T2_T3_T4_jPT5_SK_PNS1_23onesweep_lookback_stateET6_jjj
; %bb.0:
	s_load_dwordx4 s[48:51], s[0:1], 0x44
	s_load_dwordx8 s[36:43], s[0:1], 0x0
	s_load_dwordx4 s[44:47], s[0:1], 0x28
	s_load_dwordx2 s[30:31], s[0:1], 0x38
	s_mov_b64 s[4:5], -1
	s_waitcnt lgkmcnt(0)
	s_cmp_ge_u32 s2, s50
	s_mul_i32 s34, s2, 0x1800
	v_mbcnt_lo_u32_b32 v1, -1, 0
	s_cbranch_scc0 .LBB157_96
; %bb.1:
	s_load_dword s3, s[0:1], 0x20
	s_mul_i32 s4, s50, 0xffffe800
	s_mov_b32 s35, 0
	s_lshl_b64 s[50:51], s[34:35], 3
	v_mbcnt_hi_u32_b32 v7, -1, v1
	s_waitcnt lgkmcnt(0)
	s_add_i32 s35, s4, s3
	s_add_u32 s4, s36, s50
	v_and_b32_e32 v2, 0x3c0, v0
	s_addc_u32 s5, s37, s51
	v_mul_u32_u24_e32 v6, 6, v2
	v_mov_b32_e32 v3, 0
	v_lshlrev_b32_e32 v2, 3, v7
	v_lshl_add_u64 v[8:9], s[4:5], 0, v[2:3]
	v_lshlrev_b32_e32 v4, 3, v6
	v_mov_b32_e32 v5, v3
	v_or_b32_e32 v3, v7, v6
	v_mov_b32_e32 v14, -1
	v_bfrev_b32_e32 v15, -2
	v_lshl_add_u64 v[20:21], v[8:9], 0, v[4:5]
	v_cmp_gt_u32_e32 vcc, s35, v3
	v_mov_b64_e32 v[8:9], v[14:15]
	s_and_saveexec_b64 s[4:5], vcc
	s_cbranch_execz .LBB157_3
; %bb.2:
	global_load_dwordx2 v[8:9], v[20:21], off
.LBB157_3:
	s_or_b64 exec, exec, s[4:5]
	v_add_u32_e32 v5, 64, v3
	v_cmp_gt_u32_e64 s[26:27], s35, v5
	s_and_saveexec_b64 s[4:5], s[26:27]
	s_cbranch_execz .LBB157_5
; %bb.4:
	global_load_dwordx2 v[14:15], v[20:21], off offset:512
.LBB157_5:
	s_or_b64 exec, exec, s[4:5]
	v_add_u32_e32 v5, 0x80, v3
	v_mov_b32_e32 v18, -1
	v_bfrev_b32_e32 v19, -2
	v_cmp_gt_u32_e64 s[4:5], s35, v5
	v_mov_b64_e32 v[16:17], v[18:19]
	s_and_saveexec_b64 s[6:7], s[4:5]
	s_cbranch_execz .LBB157_7
; %bb.6:
	global_load_dwordx2 v[16:17], v[20:21], off offset:1024
.LBB157_7:
	s_or_b64 exec, exec, s[6:7]
	v_add_u32_e32 v5, 0xc0, v3
	v_cmp_gt_u32_e64 s[6:7], s35, v5
	s_and_saveexec_b64 s[8:9], s[6:7]
	s_cbranch_execz .LBB157_9
; %bb.8:
	global_load_dwordx2 v[18:19], v[20:21], off offset:1536
.LBB157_9:
	s_or_b64 exec, exec, s[8:9]
	v_add_u32_e32 v5, 0x100, v3
	v_mov_b32_e32 v10, -1
	v_bfrev_b32_e32 v11, -2
	v_cmp_gt_u32_e64 s[8:9], s35, v5
	v_mov_b64_e32 v[12:13], v[10:11]
	s_and_saveexec_b64 s[10:11], s[8:9]
	s_cbranch_execz .LBB157_11
; %bb.10:
	global_load_dwordx2 v[12:13], v[20:21], off offset:2048
.LBB157_11:
	s_or_b64 exec, exec, s[10:11]
	v_add_u32_e32 v3, 0x140, v3
	s_mov_b32 s14, -1
	v_and_b32_e32 v6, 0x3ff, v0
	v_cmp_gt_u32_e64 s[10:11], s35, v3
	s_brev_b32 s15, -2
	s_and_saveexec_b64 s[12:13], s[10:11]
	s_cbranch_execz .LBB157_13
; %bb.12:
	global_load_dwordx2 v[10:11], v[20:21], off offset:2560
.LBB157_13:
	s_or_b64 exec, exec, s[12:13]
	s_load_dword s12, s[0:1], 0x5c
	s_load_dword s3, s[0:1], 0x50
	s_add_u32 s13, s0, 0x50
	s_addc_u32 s16, s1, 0
	v_mov_b32_e32 v21, 0
	s_waitcnt lgkmcnt(0)
	s_lshr_b32 s17, s12, 16
	s_cmp_lt_u32 s2, s3
	s_cselect_b32 s12, 12, 18
	s_add_u32 s12, s13, s12
	s_addc_u32 s13, s16, 0
	global_load_ushort v5, v21, s[12:13]
	v_bfrev_b32_e32 v25, 1
	s_waitcnt vmcnt(1)
	v_cmp_lt_i64_e64 s[12:13], -1, v[8:9]
	v_ashrrev_i32_e32 v20, 31, v9
	v_xor_b32_e32 v8, v20, v8
	v_cndmask_b32_e64 v27, -1, v25, s[12:13]
	v_xor_b32_e32 v9, v27, v9
	v_cmp_ne_u64_e64 s[12:13], s[14:15], v[8:9]
	v_bfe_u32 v23, v0, 10, 10
	v_bfe_u32 v24, v0, 20, 10
	v_cndmask_b32_e64 v35, v25, v9, s[12:13]
	v_cndmask_b32_e64 v34, 0, v8, s[12:13]
	v_lshrrev_b64 v[34:35], s48, v[34:35]
	s_lshl_b32 s12, -1, s49
	v_bitop3_b32 v38, v34, s12, v34 bitop3:0x30
	v_mad_u32_u24 v24, v24, s17, v23
	v_and_b32_e32 v20, 1, v38
	v_lshlrev_b32_e32 v23, 30, v38
	v_mov_b32_e32 v22, v21
	v_mov_b32_e32 v28, v21
	s_not_b32 s33, s12
	v_lshlrev_b32_e32 v27, 29, v38
	v_lshlrev_b32_e32 v29, 28, v38
	v_lshl_add_u64 v[36:37], v[20:21], 0, -1
	v_cmp_ne_u32_e64 s[12:13], 0, v20
	v_not_b32_e32 v20, v23
	v_mov_b32_e32 v26, v21
	v_mov_b32_e32 v30, v21
	v_lshlrev_b32_e32 v31, 27, v38
	v_cmp_gt_i64_e64 s[14:15], 0, v[22:23]
	v_not_b32_e32 v22, v27
	v_cmp_gt_i64_e64 s[18:19], 0, v[28:29]
	v_xor_b32_e32 v28, s13, v37
	v_ashrrev_i32_e32 v20, 31, v20
	v_cmp_gt_i64_e64 s[16:17], 0, v[26:27]
	v_not_b32_e32 v23, v29
	v_cmp_gt_i64_e64 s[20:21], 0, v[30:31]
	v_xor_b32_e32 v29, s12, v36
	v_ashrrev_i32_e32 v22, 31, v22
	v_and_b32_e32 v28, exec_hi, v28
	v_xor_b32_e32 v30, s15, v20
	v_mov_b32_e32 v32, v21
	v_lshlrev_b32_e32 v33, 26, v38
	v_not_b32_e32 v26, v31
	v_ashrrev_i32_e32 v23, 31, v23
	v_and_b32_e32 v29, exec_lo, v29
	v_xor_b32_e32 v20, s14, v20
	v_xor_b32_e32 v31, s17, v22
	v_and_b32_e32 v28, v28, v30
	v_cmp_gt_i64_e64 s[22:23], 0, v[32:33]
	v_not_b32_e32 v27, v33
	v_ashrrev_i32_e32 v26, 31, v26
	v_xor_b32_e32 v22, s16, v22
	v_xor_b32_e32 v32, s19, v23
	v_and_b32_e32 v20, v29, v20
	v_and_b32_e32 v28, v28, v31
	v_ashrrev_i32_e32 v27, 31, v27
	v_xor_b32_e32 v23, s18, v23
	v_xor_b32_e32 v33, s21, v26
	v_and_b32_e32 v20, v20, v22
	v_and_b32_e32 v22, v28, v32
	v_xor_b32_e32 v26, s20, v26
	v_xor_b32_e32 v36, s23, v27
	v_and_b32_e32 v20, v20, v23
	v_and_b32_e32 v22, v22, v33
	s_movk_i32 s24, 0x44
	v_and_b32_e32 v20, v20, v26
	v_and_b32_e32 v26, v22, v36
	v_mul_lo_u32 v34, v38, s24
	v_lshlrev_b32_e32 v35, 25, v38
	v_xor_b32_e32 v27, s22, v27
	v_and_b32_e32 v20, v20, v27
	v_mul_u32_u24_e32 v3, 20, v6
	ds_write2_b32 v3, v21, v21 offset0:16 offset1:17
	ds_write2_b32 v3, v21, v21 offset0:18 offset1:19
	ds_write_b32 v3, v21 offset:80
	s_waitcnt lgkmcnt(0)
	s_barrier
	s_waitcnt vmcnt(0)
	; wave barrier
	v_mad_u64_u32 v[22:23], s[12:13], v24, v5, v[6:7]
	v_lshrrev_b32_e32 v31, 6, v22
	v_lshl_add_u32 v24, v31, 2, v34
	v_mov_b32_e32 v34, v21
	v_not_b32_e32 v5, v35
	v_cmp_gt_i64_e64 s[12:13], 0, v[34:35]
	v_ashrrev_i32_e32 v5, 31, v5
	v_lshlrev_b32_e32 v23, 24, v38
	v_xor_b32_e32 v22, s13, v5
	v_xor_b32_e32 v5, s12, v5
	v_and_b32_e32 v26, v26, v22
	v_and_b32_e32 v5, v20, v5
	v_mov_b32_e32 v22, v21
	v_not_b32_e32 v20, v23
	v_cmp_gt_i64_e64 s[12:13], 0, v[22:23]
	v_ashrrev_i32_e32 v20, 31, v20
	s_nop 0
	v_xor_b32_e32 v22, s13, v20
	v_xor_b32_e32 v20, s12, v20
	v_and_b32_e32 v23, v26, v22
	v_and_b32_e32 v22, v5, v20
	v_mbcnt_lo_u32_b32 v5, v22, 0
	v_mbcnt_hi_u32_b32 v5, v23, v5
	v_cmp_eq_u32_e64 s[12:13], 0, v5
	v_cmp_ne_u64_e64 s[14:15], 0, v[22:23]
	s_and_b64 s[14:15], s[14:15], s[12:13]
	s_and_saveexec_b64 s[12:13], s[14:15]
; %bb.14:
	v_bcnt_u32_b32 v20, v22, 0
	v_bcnt_u32_b32 v20, v23, v20
	ds_write_b32 v24, v20 offset:64
; %bb.15:
	s_or_b64 exec, exec, s[12:13]
	v_cmp_lt_i64_e64 s[12:13], -1, v[14:15]
	s_mov_b32 s16, -1
	v_ashrrev_i32_e32 v22, 31, v15
	v_cndmask_b32_e64 v20, -1, v25, s[12:13]
	s_brev_b32 s17, -2
	v_xor_b32_e32 v15, v20, v15
	v_xor_b32_e32 v14, v22, v14
	v_cmp_ne_u64_e64 s[12:13], s[16:17], v[14:15]
	; wave barrier
	s_nop 1
	v_cndmask_b32_e64 v23, v25, v15, s[12:13]
	v_cndmask_b32_e64 v22, 0, v14, s[12:13]
	v_lshrrev_b64 v[22:23], s48, v[22:23]
	v_and_b32_e32 v27, s33, v22
	v_mul_lo_u32 v20, v27, s24
	v_lshl_add_u32 v26, v31, 2, v20
	v_and_b32_e32 v20, 1, v27
	v_lshl_add_u64 v[22:23], v[20:21], 0, -1
	v_cmp_ne_u32_e64 s[12:13], 0, v20
	ds_read_b32 v25, v26 offset:64
	s_nop 0
	v_xor_b32_e32 v22, s12, v22
	v_xor_b32_e32 v20, s13, v23
	v_and_b32_e32 v28, exec_lo, v22
	v_lshlrev_b32_e32 v23, 30, v27
	v_mov_b32_e32 v22, v21
	v_cmp_gt_i64_e64 s[12:13], 0, v[22:23]
	v_not_b32_e32 v22, v23
	v_ashrrev_i32_e32 v22, 31, v22
	v_and_b32_e32 v20, exec_hi, v20
	v_xor_b32_e32 v23, s13, v22
	v_xor_b32_e32 v22, s12, v22
	v_and_b32_e32 v20, v20, v23
	v_and_b32_e32 v28, v28, v22
	v_lshlrev_b32_e32 v23, 29, v27
	v_mov_b32_e32 v22, v21
	v_cmp_gt_i64_e64 s[12:13], 0, v[22:23]
	v_not_b32_e32 v22, v23
	v_ashrrev_i32_e32 v22, 31, v22
	v_xor_b32_e32 v23, s13, v22
	v_xor_b32_e32 v22, s12, v22
	v_and_b32_e32 v20, v20, v23
	v_and_b32_e32 v28, v28, v22
	v_lshlrev_b32_e32 v23, 28, v27
	v_mov_b32_e32 v22, v21
	v_cmp_gt_i64_e64 s[12:13], 0, v[22:23]
	v_not_b32_e32 v22, v23
	v_ashrrev_i32_e32 v22, 31, v22
	v_xor_b32_e32 v23, s13, v22
	v_xor_b32_e32 v22, s12, v22
	v_and_b32_e32 v20, v20, v23
	v_and_b32_e32 v28, v28, v22
	v_lshlrev_b32_e32 v23, 27, v27
	v_mov_b32_e32 v22, v21
	v_cmp_gt_i64_e64 s[12:13], 0, v[22:23]
	v_not_b32_e32 v22, v23
	v_ashrrev_i32_e32 v22, 31, v22
	v_xor_b32_e32 v23, s13, v22
	v_xor_b32_e32 v22, s12, v22
	v_and_b32_e32 v20, v20, v23
	v_and_b32_e32 v28, v28, v22
	v_lshlrev_b32_e32 v23, 26, v27
	v_mov_b32_e32 v22, v21
	v_cmp_gt_i64_e64 s[12:13], 0, v[22:23]
	v_not_b32_e32 v22, v23
	v_ashrrev_i32_e32 v22, 31, v22
	v_xor_b32_e32 v23, s13, v22
	v_xor_b32_e32 v22, s12, v22
	v_and_b32_e32 v20, v20, v23
	v_and_b32_e32 v28, v28, v22
	v_lshlrev_b32_e32 v23, 25, v27
	v_mov_b32_e32 v22, v21
	v_cmp_gt_i64_e64 s[12:13], 0, v[22:23]
	v_not_b32_e32 v22, v23
	v_ashrrev_i32_e32 v22, 31, v22
	v_xor_b32_e32 v23, s13, v22
	v_xor_b32_e32 v22, s12, v22
	v_and_b32_e32 v20, v20, v23
	v_lshlrev_b32_e32 v23, 24, v27
	v_and_b32_e32 v28, v28, v22
	v_mov_b32_e32 v22, v21
	v_not_b32_e32 v21, v23
	v_cmp_gt_i64_e64 s[12:13], 0, v[22:23]
	v_ashrrev_i32_e32 v21, 31, v21
	; wave barrier
	s_nop 0
	v_xor_b32_e32 v22, s13, v21
	v_xor_b32_e32 v23, s12, v21
	v_and_b32_e32 v21, v20, v22
	v_and_b32_e32 v20, v28, v23
	v_mbcnt_lo_u32_b32 v22, v20, 0
	v_mbcnt_hi_u32_b32 v27, v21, v22
	v_cmp_eq_u32_e64 s[12:13], 0, v27
	v_cmp_ne_u64_e64 s[14:15], 0, v[20:21]
	s_and_b64 s[14:15], s[14:15], s[12:13]
	s_and_saveexec_b64 s[12:13], s[14:15]
	s_cbranch_execz .LBB157_17
; %bb.16:
	v_bcnt_u32_b32 v20, v20, 0
	v_bcnt_u32_b32 v20, v21, v20
	s_waitcnt lgkmcnt(0)
	v_add_u32_e32 v20, v25, v20
	ds_write_b32 v26, v20 offset:64
.LBB157_17:
	s_or_b64 exec, exec, s[12:13]
	v_bfrev_b32_e32 v32, 1
	v_cmp_lt_i64_e64 s[12:13], -1, v[16:17]
	v_ashrrev_i32_e32 v21, 31, v17
	v_xor_b32_e32 v16, v21, v16
	v_cndmask_b32_e64 v20, -1, v32, s[12:13]
	v_xor_b32_e32 v17, v20, v17
	v_cmp_ne_u64_e64 s[12:13], s[16:17], v[16:17]
	s_movk_i32 s18, 0x44
	s_nop 0
	v_cndmask_b32_e64 v21, v32, v17, s[12:13]
	v_cndmask_b32_e64 v20, 0, v16, s[12:13]
	v_lshrrev_b64 v[20:21], s48, v[20:21]
	v_and_b32_e32 v30, s33, v20
	v_mul_lo_u32 v20, v30, s18
	v_lshl_add_u32 v29, v31, 2, v20
	v_and_b32_e32 v20, 1, v30
	v_mov_b32_e32 v21, 0
	v_lshl_add_u64 v[22:23], v[20:21], 0, -1
	v_cmp_ne_u32_e64 s[12:13], 0, v20
	; wave barrier
	ds_read_b32 v28, v29 offset:64
	s_nop 0
	v_xor_b32_e32 v22, s12, v22
	v_xor_b32_e32 v20, s13, v23
	v_and_b32_e32 v33, exec_lo, v22
	v_lshlrev_b32_e32 v23, 30, v30
	v_mov_b32_e32 v22, v21
	v_cmp_gt_i64_e64 s[12:13], 0, v[22:23]
	v_not_b32_e32 v22, v23
	v_ashrrev_i32_e32 v22, 31, v22
	v_and_b32_e32 v20, exec_hi, v20
	v_xor_b32_e32 v23, s13, v22
	v_xor_b32_e32 v22, s12, v22
	v_and_b32_e32 v20, v20, v23
	v_and_b32_e32 v33, v33, v22
	v_lshlrev_b32_e32 v23, 29, v30
	v_mov_b32_e32 v22, v21
	v_cmp_gt_i64_e64 s[12:13], 0, v[22:23]
	v_not_b32_e32 v22, v23
	v_ashrrev_i32_e32 v22, 31, v22
	v_xor_b32_e32 v23, s13, v22
	v_xor_b32_e32 v22, s12, v22
	v_and_b32_e32 v20, v20, v23
	v_and_b32_e32 v33, v33, v22
	v_lshlrev_b32_e32 v23, 28, v30
	v_mov_b32_e32 v22, v21
	v_cmp_gt_i64_e64 s[12:13], 0, v[22:23]
	v_not_b32_e32 v22, v23
	v_ashrrev_i32_e32 v22, 31, v22
	;; [unrolled: 9-line block ×6, first 2 shown]
	v_xor_b32_e32 v23, s13, v22
	v_xor_b32_e32 v22, s12, v22
	v_and_b32_e32 v22, v33, v22
	v_and_b32_e32 v23, v20, v23
	v_mbcnt_lo_u32_b32 v20, v22, 0
	v_mbcnt_hi_u32_b32 v30, v23, v20
	v_cmp_eq_u32_e64 s[12:13], 0, v30
	v_cmp_ne_u64_e64 s[14:15], 0, v[22:23]
	s_and_b64 s[14:15], s[14:15], s[12:13]
	; wave barrier
	s_and_saveexec_b64 s[12:13], s[14:15]
	s_cbranch_execz .LBB157_19
; %bb.18:
	v_bcnt_u32_b32 v20, v22, 0
	v_bcnt_u32_b32 v20, v23, v20
	s_waitcnt lgkmcnt(0)
	v_add_u32_e32 v20, v28, v20
	ds_write_b32 v29, v20 offset:64
.LBB157_19:
	s_or_b64 exec, exec, s[12:13]
	v_cmp_lt_i64_e64 s[12:13], -1, v[18:19]
	v_ashrrev_i32_e32 v22, 31, v19
	v_xor_b32_e32 v18, v22, v18
	v_cndmask_b32_e64 v20, -1, v32, s[12:13]
	v_xor_b32_e32 v19, v20, v19
	v_cmp_ne_u64_e64 s[12:13], s[16:17], v[18:19]
	; wave barrier
	s_nop 1
	v_cndmask_b32_e64 v23, v32, v19, s[12:13]
	v_cndmask_b32_e64 v22, 0, v18, s[12:13]
	v_lshrrev_b64 v[22:23], s48, v[22:23]
	v_and_b32_e32 v33, s33, v22
	v_mul_lo_u32 v20, v33, s18
	v_lshl_add_u32 v32, v31, 2, v20
	v_and_b32_e32 v20, 1, v33
	v_lshl_add_u64 v[22:23], v[20:21], 0, -1
	v_cmp_ne_u32_e64 s[12:13], 0, v20
	ds_read_b32 v34, v32 offset:64
	s_nop 0
	v_xor_b32_e32 v22, s12, v22
	v_xor_b32_e32 v20, s13, v23
	v_and_b32_e32 v35, exec_lo, v22
	v_lshlrev_b32_e32 v23, 30, v33
	v_mov_b32_e32 v22, v21
	v_cmp_gt_i64_e64 s[12:13], 0, v[22:23]
	v_not_b32_e32 v22, v23
	v_ashrrev_i32_e32 v22, 31, v22
	v_and_b32_e32 v20, exec_hi, v20
	v_xor_b32_e32 v23, s13, v22
	v_xor_b32_e32 v22, s12, v22
	v_and_b32_e32 v20, v20, v23
	v_and_b32_e32 v35, v35, v22
	v_lshlrev_b32_e32 v23, 29, v33
	v_mov_b32_e32 v22, v21
	v_cmp_gt_i64_e64 s[12:13], 0, v[22:23]
	v_not_b32_e32 v22, v23
	v_ashrrev_i32_e32 v22, 31, v22
	v_xor_b32_e32 v23, s13, v22
	v_xor_b32_e32 v22, s12, v22
	v_and_b32_e32 v20, v20, v23
	v_and_b32_e32 v35, v35, v22
	v_lshlrev_b32_e32 v23, 28, v33
	v_mov_b32_e32 v22, v21
	v_cmp_gt_i64_e64 s[12:13], 0, v[22:23]
	v_not_b32_e32 v22, v23
	v_ashrrev_i32_e32 v22, 31, v22
	;; [unrolled: 9-line block ×5, first 2 shown]
	v_xor_b32_e32 v23, s13, v22
	v_xor_b32_e32 v22, s12, v22
	v_and_b32_e32 v20, v20, v23
	v_lshlrev_b32_e32 v23, 24, v33
	v_and_b32_e32 v35, v35, v22
	v_mov_b32_e32 v22, v21
	v_not_b32_e32 v21, v23
	v_cmp_gt_i64_e64 s[12:13], 0, v[22:23]
	v_ashrrev_i32_e32 v21, 31, v21
	; wave barrier
	s_nop 0
	v_xor_b32_e32 v22, s13, v21
	v_xor_b32_e32 v23, s12, v21
	v_and_b32_e32 v21, v20, v22
	v_and_b32_e32 v20, v35, v23
	v_mbcnt_lo_u32_b32 v22, v20, 0
	v_mbcnt_hi_u32_b32 v35, v21, v22
	v_cmp_eq_u32_e64 s[12:13], 0, v35
	v_cmp_ne_u64_e64 s[14:15], 0, v[20:21]
	s_and_b64 s[14:15], s[14:15], s[12:13]
	s_and_saveexec_b64 s[12:13], s[14:15]
	s_cbranch_execz .LBB157_21
; %bb.20:
	v_bcnt_u32_b32 v20, v20, 0
	v_bcnt_u32_b32 v20, v21, v20
	s_waitcnt lgkmcnt(0)
	v_add_u32_e32 v20, v34, v20
	ds_write_b32 v32, v20 offset:64
.LBB157_21:
	s_or_b64 exec, exec, s[12:13]
	v_bfrev_b32_e32 v38, 1
	v_cmp_lt_i64_e64 s[12:13], -1, v[12:13]
	v_ashrrev_i32_e32 v22, 31, v13
	s_nop 0
	v_cndmask_b32_e64 v20, -1, v38, s[12:13]
	v_xor_b32_e32 v21, v20, v13
	v_xor_b32_e32 v20, v22, v12
	v_cmp_ne_u64_e64 s[12:13], s[16:17], v[20:21]
	s_movk_i32 s16, 0x44
	; wave barrier
	s_nop 0
	v_cndmask_b32_e64 v13, v38, v21, s[12:13]
	v_cndmask_b32_e64 v12, 0, v20, s[12:13]
	v_lshrrev_b64 v[12:13], s48, v[12:13]
	v_and_b32_e32 v37, s33, v12
	v_mul_lo_u32 v12, v37, s16
	v_lshl_add_u32 v33, v31, 2, v12
	v_and_b32_e32 v12, 1, v37
	v_mov_b32_e32 v13, 0
	v_lshl_add_u64 v[22:23], v[12:13], 0, -1
	v_cmp_ne_u32_e64 s[12:13], 0, v12
	ds_read_b32 v36, v33 offset:64
	s_nop 0
	v_xor_b32_e32 v22, s12, v22
	v_xor_b32_e32 v12, s13, v23
	v_and_b32_e32 v39, exec_lo, v22
	v_lshlrev_b32_e32 v23, 30, v37
	v_mov_b32_e32 v22, v13
	v_cmp_gt_i64_e64 s[12:13], 0, v[22:23]
	v_not_b32_e32 v22, v23
	v_ashrrev_i32_e32 v22, 31, v22
	v_and_b32_e32 v12, exec_hi, v12
	v_xor_b32_e32 v23, s13, v22
	v_xor_b32_e32 v22, s12, v22
	v_and_b32_e32 v12, v12, v23
	v_and_b32_e32 v39, v39, v22
	v_lshlrev_b32_e32 v23, 29, v37
	v_mov_b32_e32 v22, v13
	v_cmp_gt_i64_e64 s[12:13], 0, v[22:23]
	v_not_b32_e32 v22, v23
	v_ashrrev_i32_e32 v22, 31, v22
	v_xor_b32_e32 v23, s13, v22
	v_xor_b32_e32 v22, s12, v22
	v_and_b32_e32 v12, v12, v23
	v_and_b32_e32 v39, v39, v22
	v_lshlrev_b32_e32 v23, 28, v37
	v_mov_b32_e32 v22, v13
	v_cmp_gt_i64_e64 s[12:13], 0, v[22:23]
	v_not_b32_e32 v22, v23
	v_ashrrev_i32_e32 v22, 31, v22
	;; [unrolled: 9-line block ×6, first 2 shown]
	v_xor_b32_e32 v23, s13, v22
	v_xor_b32_e32 v22, s12, v22
	v_and_b32_e32 v22, v39, v22
	v_and_b32_e32 v23, v12, v23
	v_mbcnt_lo_u32_b32 v12, v22, 0
	v_mbcnt_hi_u32_b32 v37, v23, v12
	v_cmp_eq_u32_e64 s[12:13], 0, v37
	v_cmp_ne_u64_e64 s[14:15], 0, v[22:23]
	s_and_b64 s[14:15], s[14:15], s[12:13]
	; wave barrier
	s_and_saveexec_b64 s[12:13], s[14:15]
	s_cbranch_execz .LBB157_23
; %bb.22:
	v_bcnt_u32_b32 v12, v22, 0
	v_bcnt_u32_b32 v12, v23, v12
	s_waitcnt lgkmcnt(0)
	v_add_u32_e32 v12, v36, v12
	ds_write_b32 v33, v12 offset:64
.LBB157_23:
	s_or_b64 exec, exec, s[12:13]
	v_cmp_lt_i64_e64 s[12:13], -1, v[10:11]
	s_mov_b32 s14, -1
	v_ashrrev_i32_e32 v22, 31, v11
	v_cndmask_b32_e64 v12, -1, v38, s[12:13]
	s_brev_b32 s15, -2
	v_xor_b32_e32 v23, v12, v11
	v_xor_b32_e32 v22, v22, v10
	v_cmp_ne_u64_e64 s[12:13], s[14:15], v[22:23]
	; wave barrier
	s_nop 1
	v_cndmask_b32_e64 v11, v38, v23, s[12:13]
	v_cndmask_b32_e64 v10, 0, v22, s[12:13]
	v_lshrrev_b64 v[10:11], s48, v[10:11]
	v_and_b32_e32 v39, s33, v10
	v_mul_lo_u32 v10, v39, s16
	v_and_b32_e32 v12, 1, v39
	v_lshl_add_u32 v38, v31, 2, v10
	v_lshl_add_u64 v[10:11], v[12:13], 0, -1
	v_cmp_ne_u32_e64 s[12:13], 0, v12
	ds_read_b32 v31, v38 offset:64
	s_nop 0
	v_xor_b32_e32 v11, s13, v11
	v_xor_b32_e32 v10, s12, v10
	v_and_b32_e32 v12, exec_hi, v11
	v_and_b32_e32 v40, exec_lo, v10
	v_lshlrev_b32_e32 v11, 30, v39
	v_mov_b32_e32 v10, v13
	v_cmp_gt_i64_e64 s[12:13], 0, v[10:11]
	v_not_b32_e32 v10, v11
	v_ashrrev_i32_e32 v10, 31, v10
	v_xor_b32_e32 v11, s13, v10
	v_xor_b32_e32 v10, s12, v10
	v_and_b32_e32 v12, v12, v11
	v_and_b32_e32 v40, v40, v10
	v_lshlrev_b32_e32 v11, 29, v39
	v_mov_b32_e32 v10, v13
	v_cmp_gt_i64_e64 s[12:13], 0, v[10:11]
	v_not_b32_e32 v10, v11
	v_ashrrev_i32_e32 v10, 31, v10
	v_xor_b32_e32 v11, s13, v10
	v_xor_b32_e32 v10, s12, v10
	v_and_b32_e32 v12, v12, v11
	v_and_b32_e32 v40, v40, v10
	;; [unrolled: 9-line block ×7, first 2 shown]
	v_mbcnt_lo_u32_b32 v12, v10, 0
	v_mbcnt_hi_u32_b32 v39, v11, v12
	v_cmp_eq_u32_e64 s[12:13], 0, v39
	v_cmp_ne_u64_e64 s[14:15], 0, v[10:11]
	s_and_b64 s[14:15], s[14:15], s[12:13]
	; wave barrier
	s_and_saveexec_b64 s[12:13], s[14:15]
	s_cbranch_execz .LBB157_25
; %bb.24:
	v_bcnt_u32_b32 v10, v10, 0
	v_bcnt_u32_b32 v10, v11, v10
	s_waitcnt lgkmcnt(0)
	v_add_u32_e32 v10, v31, v10
	ds_write_b32 v38, v10 offset:64
.LBB157_25:
	s_or_b64 exec, exec, s[12:13]
	; wave barrier
	s_waitcnt lgkmcnt(0)
	s_barrier
	ds_read2_b32 v[12:13], v3 offset0:16 offset1:17
	ds_read2_b32 v[10:11], v3 offset0:18 offset1:19
	ds_read_b32 v40, v3 offset:80
	v_cmp_lt_u32_e64 s[20:21], 31, v7
	s_waitcnt lgkmcnt(1)
	v_add3_u32 v41, v13, v12, v10
	s_waitcnt lgkmcnt(0)
	v_add3_u32 v40, v41, v11, v40
	v_and_b32_e32 v41, 15, v7
	v_cmp_eq_u32_e64 s[12:13], 0, v41
	v_mov_b32_dpp v42, v40 row_shr:1 row_mask:0xf bank_mask:0xf
	v_cmp_lt_u32_e64 s[14:15], 1, v41
	v_cndmask_b32_e64 v42, v42, 0, s[12:13]
	v_add_u32_e32 v40, v42, v40
	v_cmp_lt_u32_e64 s[16:17], 3, v41
	v_cmp_lt_u32_e64 s[18:19], 7, v41
	v_mov_b32_dpp v42, v40 row_shr:2 row_mask:0xf bank_mask:0xf
	v_cndmask_b32_e64 v42, 0, v42, s[14:15]
	v_add_u32_e32 v40, v40, v42
	s_nop 1
	v_mov_b32_dpp v42, v40 row_shr:4 row_mask:0xf bank_mask:0xf
	v_cndmask_b32_e64 v42, 0, v42, s[16:17]
	v_add_u32_e32 v40, v40, v42
	s_nop 1
	v_mov_b32_dpp v42, v40 row_shr:8 row_mask:0xf bank_mask:0xf
	v_cndmask_b32_e64 v41, 0, v42, s[18:19]
	v_add_u32_e32 v40, v40, v41
	v_bfe_i32 v42, v7, 4, 1
	s_nop 0
	v_mov_b32_dpp v41, v40 row_bcast:15 row_mask:0xf bank_mask:0xf
	v_and_b32_e32 v41, v42, v41
	v_add_u32_e32 v40, v40, v41
	v_and_b32_e32 v42, 63, v6
	s_nop 0
	v_mov_b32_dpp v41, v40 row_bcast:31 row_mask:0xf bank_mask:0xf
	v_cndmask_b32_e64 v41, 0, v41, s[20:21]
	v_add_u32_e32 v40, v40, v41
	v_lshrrev_b32_e32 v41, 6, v6
	v_cmp_eq_u32_e64 s[20:21], 63, v42
	s_and_saveexec_b64 s[22:23], s[20:21]
; %bb.26:
	v_lshlrev_b32_e32 v42, 2, v41
	ds_write_b32 v42, v40
; %bb.27:
	s_or_b64 exec, exec, s[22:23]
	v_cmp_gt_u32_e64 s[20:21], 16, v6
	s_waitcnt lgkmcnt(0)
	s_barrier
	s_and_saveexec_b64 s[22:23], s[20:21]
	s_cbranch_execz .LBB157_29
; %bb.28:
	v_lshlrev_b32_e32 v42, 2, v6
	ds_read_b32 v43, v42
	s_waitcnt lgkmcnt(0)
	s_nop 0
	v_mov_b32_dpp v44, v43 row_shr:1 row_mask:0xf bank_mask:0xf
	v_cndmask_b32_e64 v44, v44, 0, s[12:13]
	v_add_u32_e32 v43, v44, v43
	s_nop 1
	v_mov_b32_dpp v44, v43 row_shr:2 row_mask:0xf bank_mask:0xf
	v_cndmask_b32_e64 v44, 0, v44, s[14:15]
	v_add_u32_e32 v43, v43, v44
	;; [unrolled: 4-line block ×4, first 2 shown]
	ds_write_b32 v42, v43
.LBB157_29:
	s_or_b64 exec, exec, s[22:23]
	v_cmp_lt_u32_e64 s[12:13], 63, v6
	v_mov_b32_e32 v42, 0
	s_waitcnt lgkmcnt(0)
	s_barrier
	s_and_saveexec_b64 s[14:15], s[12:13]
; %bb.30:
	v_lshl_add_u32 v41, v41, 2, -4
	ds_read_b32 v42, v41
; %bb.31:
	s_or_b64 exec, exec, s[14:15]
	v_add_u32_e32 v41, -1, v7
	v_and_b32_e32 v43, 64, v7
	v_cmp_lt_i32_e64 s[12:13], v41, v43
	s_waitcnt lgkmcnt(0)
	v_add_u32_e32 v40, v42, v40
	s_movk_i32 s16, 0x100
	v_cndmask_b32_e64 v41, v41, v7, s[12:13]
	v_lshlrev_b32_e32 v41, 2, v41
	ds_bpermute_b32 v40, v41, v40
	v_cmp_eq_u32_e64 s[12:13], 0, v7
	v_cmp_gt_u32_e64 s[14:15], s16, v6
	s_waitcnt lgkmcnt(0)
	v_cndmask_b32_e64 v7, v40, v42, s[12:13]
	v_cmp_ne_u32_e64 s[12:13], 0, v6
	s_nop 1
	v_cndmask_b32_e64 v7, 0, v7, s[12:13]
	v_add_u32_e32 v12, v7, v12
	v_add_u32_e32 v13, v12, v13
	;; [unrolled: 1-line block ×4, first 2 shown]
	ds_write2_b32 v3, v7, v12 offset0:16 offset1:17
	ds_write2_b32 v3, v13, v10 offset0:18 offset1:19
	ds_write_b32 v3, v11 offset:80
	s_waitcnt lgkmcnt(0)
	s_barrier
	ds_read_b32 v13, v24 offset:64
	ds_read_b32 v40, v26 offset:64
	;; [unrolled: 1-line block ×6, first 2 shown]
	s_movk_i32 s12, 0xff
	v_cmp_lt_u32_e64 s[12:13], s12, v6
	v_mov_b64_e32 v[10:11], 0
                                        ; implicit-def: $vgpr12
	s_and_saveexec_b64 s[18:19], s[14:15]
	s_cbranch_execz .LBB157_35
; %bb.32:
	v_mul_u32_u24_e32 v10, 0x44, v6
	ds_read_b32 v10, v10 offset:64
	v_add_u32_e32 v12, 1, v6
	v_cmp_ne_u32_e64 s[16:17], s16, v12
	v_mov_b32_e32 v11, 0x1800
	s_and_saveexec_b64 s[20:21], s[16:17]
; %bb.33:
	v_mul_u32_u24_e32 v11, 0x44, v12
	ds_read_b32 v11, v11 offset:64
; %bb.34:
	s_or_b64 exec, exec, s[20:21]
	s_waitcnt lgkmcnt(0)
	v_sub_u32_e32 v12, v11, v10
	v_mov_b32_e32 v11, 0
.LBB157_35:
	s_or_b64 exec, exec, s[18:19]
	v_lshlrev_b32_e32 v5, 3, v5
	s_waitcnt lgkmcnt(5)
	v_lshl_add_u32 v13, v13, 3, v5
	s_waitcnt lgkmcnt(0)
	s_barrier
	ds_write_b64 v13, v[8:9] offset:2048
	v_lshlrev_b32_e32 v5, 3, v40
	v_lshlrev_b32_e32 v8, 3, v27
	v_lshlrev_b32_e32 v9, 3, v25
	v_add3_u32 v32, v5, v8, v9
	v_lshlrev_b32_e32 v5, 3, v26
	v_lshlrev_b32_e32 v8, 3, v30
	v_lshlrev_b32_e32 v9, 3, v28
	v_add3_u32 v33, v5, v8, v9
	;; [unrolled: 4-line block ×4, first 2 shown]
	v_lshlrev_b32_e32 v3, 3, v3
	v_lshlrev_b32_e32 v5, 3, v39
	;; [unrolled: 1-line block ×3, first 2 shown]
	ds_write_b64 v32, v[14:15] offset:2048
	v_add3_u32 v36, v3, v5, v7
	v_mov_b32_e32 v15, 0
	v_lshlrev_b32_e32 v8, 3, v6
	ds_write_b64 v33, v[16:17] offset:2048
	ds_write_b64 v34, v[18:19] offset:2048
	;; [unrolled: 1-line block ×4, first 2 shown]
	s_waitcnt lgkmcnt(0)
	s_barrier
	s_and_saveexec_b64 s[16:17], s[14:15]
	s_cbranch_execz .LBB157_45
; %bb.36:
	v_lshl_add_u32 v14, s2, 8, v6
	v_lshl_add_u64 v[16:17], v[14:15], 2, s[30:31]
	v_or_b32_e32 v3, 2.0, v12
	global_store_dword v[16:17], v3, off sc1
	s_mov_b64 s[18:19], 0
	s_brev_b32 s24, -4
	s_mov_b32 s25, s2
	v_mov_b32_e32 v3, 0
                                        ; implicit-def: $sgpr14_sgpr15
	s_branch .LBB157_39
.LBB157_37:                             ;   in Loop: Header=BB157_39 Depth=1
	s_or_b64 exec, exec, s[22:23]
.LBB157_38:                             ;   in Loop: Header=BB157_39 Depth=1
	s_or_b64 exec, exec, s[20:21]
	v_and_b32_e32 v7, 0x3fffffff, v5
	v_add_u32_e32 v3, v7, v3
	v_cmp_gt_i32_e64 s[14:15], -2.0, v5
	s_and_b64 s[20:21], exec, s[14:15]
	s_or_b64 s[18:19], s[20:21], s[18:19]
	s_andn2_b64 exec, exec, s[18:19]
	s_cbranch_execz .LBB157_44
.LBB157_39:                             ; =>This Loop Header: Depth=1
                                        ;     Child Loop BB157_42 Depth 2
	s_or_b64 s[14:15], s[14:15], exec
	s_cmp_eq_u32 s25, 0
	s_cbranch_scc1 .LBB157_43
; %bb.40:                               ;   in Loop: Header=BB157_39 Depth=1
	s_add_i32 s25, s25, -1
	v_lshl_or_b32 v14, s25, 8, v6
	v_lshl_add_u64 v[18:19], v[14:15], 2, s[30:31]
	global_load_dword v5, v[18:19], off sc1
	s_waitcnt vmcnt(0)
	v_cmp_gt_u32_e64 s[14:15], 2.0, v5
	s_and_saveexec_b64 s[20:21], s[14:15]
	s_cbranch_execz .LBB157_38
; %bb.41:                               ;   in Loop: Header=BB157_39 Depth=1
	s_mov_b64 s[22:23], 0
.LBB157_42:                             ;   Parent Loop BB157_39 Depth=1
                                        ; =>  This Inner Loop Header: Depth=2
	global_load_dword v5, v[18:19], off sc1
	s_waitcnt vmcnt(0)
	v_cmp_lt_u32_e64 s[14:15], s24, v5
	s_or_b64 s[22:23], s[14:15], s[22:23]
	s_andn2_b64 exec, exec, s[22:23]
	s_cbranch_execnz .LBB157_42
	s_branch .LBB157_37
.LBB157_43:                             ;   in Loop: Header=BB157_39 Depth=1
                                        ; implicit-def: $sgpr25
	s_and_b64 s[20:21], exec, s[14:15]
	s_or_b64 s[18:19], s[20:21], s[18:19]
	s_andn2_b64 exec, exec, s[18:19]
	s_cbranch_execnz .LBB157_39
.LBB157_44:
	s_or_b64 exec, exec, s[18:19]
	v_add_u32_e32 v5, v3, v12
	v_or_b32_e32 v5, 0x80000000, v5
	global_store_dword v[16:17], v5, off sc1
	global_load_dwordx2 v[14:15], v8, s[44:45]
	v_sub_co_u32_e64 v16, s[14:15], v3, v10
	s_nop 1
	v_subb_co_u32_e64 v17, s[14:15], 0, v11, s[14:15]
	s_waitcnt vmcnt(0)
	v_lshl_add_u64 v[14:15], v[16:17], 0, v[14:15]
	ds_write_b64 v8, v[14:15]
.LBB157_45:
	s_or_b64 exec, exec, s[16:17]
	v_cmp_gt_u32_e64 s[14:15], s35, v6
	s_waitcnt lgkmcnt(0)
	s_barrier
	s_and_saveexec_b64 s[18:19], s[14:15]
	s_cbranch_execz .LBB157_47
; %bb.46:
	ds_read_b64 v[14:15], v8 offset:2048
	s_mov_b32 s16, -1
	s_brev_b32 s17, -2
	v_bfrev_b32_e32 v3, 1
	v_mov_b32_e32 v9, 0
	s_waitcnt lgkmcnt(0)
	v_cmp_ne_u64_e64 s[16:17], s[16:17], v[14:15]
	s_nop 1
	v_cndmask_b32_e64 v17, v3, v15, s[16:17]
	v_cndmask_b32_e64 v16, 0, v14, s[16:17]
	v_lshrrev_b64 v[16:17], s48, v[16:17]
	v_and_b32_e32 v5, s33, v16
	v_lshlrev_b32_e32 v5, 3, v5
	ds_read_b64 v[16:17], v5
	v_cmp_lt_i64_e64 s[16:17], -1, v[14:15]
	v_ashrrev_i32_e32 v5, 31, v15
	v_not_b32_e32 v5, v5
	v_cndmask_b32_e64 v3, v3, -1, s[16:17]
	s_waitcnt lgkmcnt(0)
	v_lshl_add_u64 v[16:17], v[16:17], 3, s[38:39]
	v_xor_b32_e32 v15, v3, v15
	v_xor_b32_e32 v14, v5, v14
	v_lshl_add_u64 v[16:17], v[16:17], 0, v[8:9]
	global_store_dwordx2 v[16:17], v[14:15], off
.LBB157_47:
	s_or_b64 exec, exec, s[18:19]
	v_or_b32_e32 v3, 0x400, v6
	v_cmp_gt_u32_e64 s[16:17], s35, v3
	v_lshlrev_b32_e32 v14, 3, v3
	s_and_saveexec_b64 s[20:21], s[16:17]
	s_cbranch_execz .LBB157_49
; %bb.48:
	ds_read_b64 v[16:17], v8 offset:10240
	s_mov_b32 s18, -1
	s_brev_b32 s19, -2
	v_bfrev_b32_e32 v3, 1
	v_mov_b32_e32 v15, 0
	s_waitcnt lgkmcnt(0)
	v_cmp_ne_u64_e64 s[18:19], s[18:19], v[16:17]
	s_nop 1
	v_cndmask_b32_e64 v19, v3, v17, s[18:19]
	v_cndmask_b32_e64 v18, 0, v16, s[18:19]
	v_lshrrev_b64 v[18:19], s48, v[18:19]
	v_and_b32_e32 v5, s33, v18
	v_lshlrev_b32_e32 v5, 3, v5
	ds_read_b64 v[18:19], v5
	v_cmp_lt_i64_e64 s[18:19], -1, v[16:17]
	v_ashrrev_i32_e32 v5, 31, v17
	v_not_b32_e32 v5, v5
	v_cndmask_b32_e64 v3, v3, -1, s[18:19]
	s_waitcnt lgkmcnt(0)
	v_lshl_add_u64 v[18:19], v[18:19], 3, s[38:39]
	v_xor_b32_e32 v17, v3, v17
	v_xor_b32_e32 v16, v5, v16
	v_lshl_add_u64 v[18:19], v[18:19], 0, v[14:15]
	global_store_dwordx2 v[18:19], v[16:17], off
.LBB157_49:
	s_or_b64 exec, exec, s[20:21]
	v_or_b32_e32 v3, 0x800, v6
	v_cmp_gt_u32_e64 s[18:19], s35, v3
	v_lshlrev_b32_e32 v16, 3, v3
	;; [unrolled: 32-line block ×5, first 2 shown]
	s_and_saveexec_b64 s[52:53], s[24:25]
	s_cbranch_execz .LBB157_57
; %bb.56:
	ds_read_b64 v[22:23], v8 offset:43008
	s_mov_b32 s28, -1
	s_brev_b32 s29, -2
	v_bfrev_b32_e32 v3, 1
	v_mov_b32_e32 v7, 0
	s_waitcnt lgkmcnt(0)
	v_cmp_ne_u64_e64 s[28:29], s[28:29], v[22:23]
	s_nop 1
	v_cndmask_b32_e64 v25, v3, v23, s[28:29]
	v_cndmask_b32_e64 v24, 0, v22, s[28:29]
	v_lshrrev_b64 v[24:25], s48, v[24:25]
	v_and_b32_e32 v5, s33, v24
	v_lshlrev_b32_e32 v5, 3, v5
	ds_read_b64 v[24:25], v5
	v_cmp_lt_i64_e64 s[28:29], -1, v[22:23]
	v_ashrrev_i32_e32 v5, 31, v23
	v_not_b32_e32 v5, v5
	v_cndmask_b32_e64 v3, v3, -1, s[28:29]
	s_waitcnt lgkmcnt(0)
	v_lshl_add_u64 v[24:25], v[24:25], 3, s[38:39]
	v_xor_b32_e32 v23, v3, v23
	v_xor_b32_e32 v22, v5, v22
	v_lshl_add_u64 v[24:25], v[24:25], 0, v[6:7]
	global_store_dwordx2 v[24:25], v[22:23], off
.LBB157_57:
	s_or_b64 exec, exec, s[52:53]
	s_add_u32 s28, s40, s50
	s_addc_u32 s29, s41, s51
	v_mov_b32_e32 v3, 0
	v_lshl_add_u64 v[22:23], s[28:29], 0, v[2:3]
	v_mov_b32_e32 v5, v3
	v_lshl_add_u64 v[30:31], v[22:23], 0, v[4:5]
                                        ; implicit-def: $vgpr2_vgpr3
	s_and_saveexec_b64 s[28:29], vcc
	s_xor_b64 s[28:29], exec, s[28:29]
	s_cbranch_execz .LBB157_63
; %bb.58:
	global_load_dwordx2 v[2:3], v[30:31], off
	s_or_b64 exec, exec, s[28:29]
                                        ; implicit-def: $vgpr4_vgpr5
	s_and_saveexec_b64 s[28:29], s[26:27]
	s_cbranch_execnz .LBB157_64
.LBB157_59:
	s_or_b64 exec, exec, s[28:29]
                                        ; implicit-def: $vgpr22_vgpr23
	s_and_saveexec_b64 s[26:27], s[4:5]
	s_cbranch_execz .LBB157_65
.LBB157_60:
	global_load_dwordx2 v[22:23], v[30:31], off offset:1024
	s_or_b64 exec, exec, s[26:27]
                                        ; implicit-def: $vgpr24_vgpr25
	s_and_saveexec_b64 s[4:5], s[6:7]
	s_cbranch_execnz .LBB157_66
.LBB157_61:
	s_or_b64 exec, exec, s[4:5]
                                        ; implicit-def: $vgpr26_vgpr27
	s_and_saveexec_b64 s[4:5], s[8:9]
	s_cbranch_execz .LBB157_67
.LBB157_62:
	global_load_dwordx2 v[26:27], v[30:31], off offset:2048
	s_or_b64 exec, exec, s[4:5]
                                        ; implicit-def: $vgpr28_vgpr29
	s_and_saveexec_b64 s[4:5], s[10:11]
	s_cbranch_execnz .LBB157_68
	s_branch .LBB157_69
.LBB157_63:
	s_or_b64 exec, exec, s[28:29]
                                        ; implicit-def: $vgpr4_vgpr5
	s_and_saveexec_b64 s[28:29], s[26:27]
	s_cbranch_execz .LBB157_59
.LBB157_64:
	global_load_dwordx2 v[4:5], v[30:31], off offset:512
	s_or_b64 exec, exec, s[28:29]
                                        ; implicit-def: $vgpr22_vgpr23
	s_and_saveexec_b64 s[26:27], s[4:5]
	s_cbranch_execnz .LBB157_60
.LBB157_65:
	s_or_b64 exec, exec, s[26:27]
                                        ; implicit-def: $vgpr24_vgpr25
	s_and_saveexec_b64 s[4:5], s[6:7]
	s_cbranch_execz .LBB157_61
.LBB157_66:
	global_load_dwordx2 v[24:25], v[30:31], off offset:1536
	s_or_b64 exec, exec, s[4:5]
                                        ; implicit-def: $vgpr26_vgpr27
	s_and_saveexec_b64 s[4:5], s[8:9]
	s_cbranch_execnz .LBB157_62
.LBB157_67:
	s_or_b64 exec, exec, s[4:5]
                                        ; implicit-def: $vgpr28_vgpr29
	s_and_saveexec_b64 s[4:5], s[10:11]
	s_cbranch_execz .LBB157_69
.LBB157_68:
	global_load_dwordx2 v[28:29], v[30:31], off offset:2560
.LBB157_69:
	s_or_b64 exec, exec, s[4:5]
	v_mov_b32_e32 v7, 0
	v_mov_b32_e32 v9, 0
	s_and_saveexec_b64 s[4:5], s[14:15]
	s_cbranch_execz .LBB157_71
; %bb.70:
	ds_read_b64 v[30:31], v8 offset:2048
	s_mov_b32 s6, -1
	s_brev_b32 s7, -2
	v_bfrev_b32_e32 v9, 1
	s_waitcnt lgkmcnt(0)
	v_cmp_ne_u64_e32 vcc, s[6:7], v[30:31]
	s_nop 1
	v_cndmask_b32_e32 v31, v9, v31, vcc
	v_cndmask_b32_e32 v30, 0, v30, vcc
	v_lshrrev_b64 v[30:31], s48, v[30:31]
	v_and_b32_e32 v9, s33, v30
.LBB157_71:
	s_or_b64 exec, exec, s[4:5]
	s_and_saveexec_b64 s[4:5], s[16:17]
	s_cbranch_execz .LBB157_73
; %bb.72:
	ds_read_b64 v[30:31], v8 offset:10240
	s_mov_b32 s6, -1
	s_brev_b32 s7, -2
	v_bfrev_b32_e32 v7, 1
	s_waitcnt lgkmcnt(0)
	v_cmp_ne_u64_e32 vcc, s[6:7], v[30:31]
	s_nop 1
	v_cndmask_b32_e32 v31, v7, v31, vcc
	v_cndmask_b32_e32 v30, 0, v30, vcc
	v_lshrrev_b64 v[30:31], s48, v[30:31]
	v_and_b32_e32 v7, s33, v30
.LBB157_73:
	s_or_b64 exec, exec, s[4:5]
	v_mov_b32_e32 v19, 0
	v_mov_b32_e32 v17, 0
	s_and_saveexec_b64 s[4:5], s[18:19]
	s_cbranch_execz .LBB157_75
; %bb.74:
	ds_read_b64 v[30:31], v8 offset:18432
	s_mov_b32 s6, -1
	s_brev_b32 s7, -2
	v_bfrev_b32_e32 v15, 1
	s_waitcnt lgkmcnt(0)
	v_cmp_ne_u64_e32 vcc, s[6:7], v[30:31]
	s_nop 1
	v_cndmask_b32_e32 v31, v15, v31, vcc
	v_cndmask_b32_e32 v30, 0, v30, vcc
	v_lshrrev_b64 v[30:31], s48, v[30:31]
	v_and_b32_e32 v17, s33, v30
.LBB157_75:
	s_or_b64 exec, exec, s[4:5]
	s_and_saveexec_b64 s[4:5], s[20:21]
	s_cbranch_execz .LBB157_77
; %bb.76:
	ds_read_b64 v[30:31], v8 offset:26624
	s_mov_b32 s6, -1
	s_brev_b32 s7, -2
	v_bfrev_b32_e32 v15, 1
	s_waitcnt lgkmcnt(0)
	v_cmp_ne_u64_e32 vcc, s[6:7], v[30:31]
	s_nop 1
	v_cndmask_b32_e32 v31, v15, v31, vcc
	v_cndmask_b32_e32 v30, 0, v30, vcc
	v_lshrrev_b64 v[30:31], s48, v[30:31]
	v_and_b32_e32 v19, s33, v30
.LBB157_77:
	;; [unrolled: 34-line block ×3, first 2 shown]
	s_or_b64 exec, exec, s[4:5]
	s_barrier
	s_waitcnt vmcnt(0)
	ds_write_b64 v13, v[2:3] offset:2048
	ds_write_b64 v32, v[4:5] offset:2048
	;; [unrolled: 1-line block ×6, first 2 shown]
	s_waitcnt lgkmcnt(0)
	s_barrier
	s_and_saveexec_b64 s[4:5], s[14:15]
	s_cbranch_execz .LBB157_87
; %bb.82:
	v_lshlrev_b32_e32 v2, 3, v9
	ds_read_b64 v[2:3], v2
	ds_read_b64 v[4:5], v8 offset:2048
	v_mov_b32_e32 v9, 0
	s_waitcnt lgkmcnt(1)
	v_lshl_add_u64 v[2:3], v[2:3], 3, s[42:43]
	v_lshl_add_u64 v[2:3], v[2:3], 0, v[8:9]
	s_waitcnt lgkmcnt(0)
	global_store_dwordx2 v[2:3], v[4:5], off
	s_or_b64 exec, exec, s[4:5]
	s_and_saveexec_b64 s[4:5], s[16:17]
	s_cbranch_execnz .LBB157_88
.LBB157_83:
	s_or_b64 exec, exec, s[4:5]
	s_and_saveexec_b64 s[4:5], s[18:19]
	s_cbranch_execz .LBB157_89
.LBB157_84:
	v_lshlrev_b32_e32 v2, 3, v17
	ds_read_b64 v[2:3], v2
	ds_read_b64 v[4:5], v8 offset:18432
	v_mov_b32_e32 v17, 0
	s_waitcnt lgkmcnt(1)
	v_lshl_add_u64 v[2:3], v[2:3], 3, s[42:43]
	v_lshl_add_u64 v[2:3], v[2:3], 0, v[16:17]
	s_waitcnt lgkmcnt(0)
	global_store_dwordx2 v[2:3], v[4:5], off
	s_or_b64 exec, exec, s[4:5]
	s_and_saveexec_b64 s[4:5], s[20:21]
	s_cbranch_execnz .LBB157_90
.LBB157_85:
	s_or_b64 exec, exec, s[4:5]
	s_and_saveexec_b64 s[4:5], s[22:23]
	s_cbranch_execz .LBB157_91
.LBB157_86:
	v_lshlrev_b32_e32 v2, 3, v21
	ds_read_b64 v[2:3], v2
	ds_read_b64 v[4:5], v8 offset:34816
	v_mov_b32_e32 v21, 0
	s_waitcnt lgkmcnt(1)
	v_lshl_add_u64 v[2:3], v[2:3], 3, s[42:43]
	v_lshl_add_u64 v[2:3], v[2:3], 0, v[20:21]
	s_waitcnt lgkmcnt(0)
	global_store_dwordx2 v[2:3], v[4:5], off
	s_or_b64 exec, exec, s[4:5]
	s_and_saveexec_b64 s[4:5], s[24:25]
	s_cbranch_execnz .LBB157_92
	s_branch .LBB157_93
.LBB157_87:
	s_or_b64 exec, exec, s[4:5]
	s_and_saveexec_b64 s[4:5], s[16:17]
	s_cbranch_execz .LBB157_83
.LBB157_88:
	v_lshlrev_b32_e32 v2, 3, v7
	ds_read_b64 v[2:3], v2
	ds_read_b64 v[4:5], v8 offset:10240
	v_mov_b32_e32 v15, 0
	s_waitcnt lgkmcnt(1)
	v_lshl_add_u64 v[2:3], v[2:3], 3, s[42:43]
	v_lshl_add_u64 v[2:3], v[2:3], 0, v[14:15]
	s_waitcnt lgkmcnt(0)
	global_store_dwordx2 v[2:3], v[4:5], off
	s_or_b64 exec, exec, s[4:5]
	s_and_saveexec_b64 s[4:5], s[18:19]
	s_cbranch_execnz .LBB157_84
.LBB157_89:
	s_or_b64 exec, exec, s[4:5]
	s_and_saveexec_b64 s[4:5], s[20:21]
	s_cbranch_execz .LBB157_85
.LBB157_90:
	v_lshlrev_b32_e32 v2, 3, v19
	ds_read_b64 v[2:3], v2
	ds_read_b64 v[4:5], v8 offset:26624
	v_mov_b32_e32 v19, 0
	s_waitcnt lgkmcnt(1)
	v_lshl_add_u64 v[2:3], v[2:3], 3, s[42:43]
	v_lshl_add_u64 v[2:3], v[2:3], 0, v[18:19]
	s_waitcnt lgkmcnt(0)
	global_store_dwordx2 v[2:3], v[4:5], off
	s_or_b64 exec, exec, s[4:5]
	s_and_saveexec_b64 s[4:5], s[22:23]
	s_cbranch_execnz .LBB157_86
.LBB157_91:
	s_or_b64 exec, exec, s[4:5]
	s_and_saveexec_b64 s[4:5], s[24:25]
	s_cbranch_execz .LBB157_93
.LBB157_92:
	v_lshlrev_b32_e32 v2, 3, v30
	ds_read_b64 v[2:3], v2
	ds_read_b64 v[4:5], v8 offset:43008
	v_mov_b32_e32 v7, 0
	s_waitcnt lgkmcnt(1)
	v_lshl_add_u64 v[2:3], v[2:3], 3, s[42:43]
	v_lshl_add_u64 v[2:3], v[2:3], 0, v[6:7]
	s_waitcnt lgkmcnt(0)
	global_store_dwordx2 v[2:3], v[4:5], off
.LBB157_93:
	s_or_b64 exec, exec, s[4:5]
	s_add_i32 s3, s3, -1
	s_cmp_eq_u32 s2, s3
	s_cselect_b64 s[4:5], -1, 0
	s_xor_b64 s[6:7], s[12:13], -1
	s_and_b64 s[6:7], s[6:7], s[4:5]
	s_and_saveexec_b64 s[4:5], s[6:7]
	s_cbranch_execz .LBB157_95
; %bb.94:
	ds_read_b64 v[2:3], v8
	v_mov_b32_e32 v13, 0
	v_lshl_add_u64 v[4:5], v[10:11], 0, v[12:13]
	s_waitcnt lgkmcnt(0)
	v_lshl_add_u64 v[2:3], v[4:5], 0, v[2:3]
	global_store_dwordx2 v8, v[2:3], s[46:47]
.LBB157_95:
	s_or_b64 exec, exec, s[4:5]
	s_mov_b64 s[4:5], 0
.LBB157_96:
	s_and_b64 vcc, exec, s[4:5]
	s_cbranch_vccz .LBB157_131
; %bb.97:
	s_mov_b32 s35, 0
	s_lshl_b64 s[10:11], s[34:35], 3
	s_add_u32 s4, s36, s10
	v_mbcnt_hi_u32_b32 v3, -1, v1
	v_mov_b32_e32 v7, 0
	s_addc_u32 s5, s37, s11
	v_and_b32_e32 v1, 0x3c0, v0
	v_lshlrev_b32_e32 v8, 3, v3
	v_mov_b32_e32 v9, v7
	v_mul_u32_u24_e32 v1, 6, v1
	v_lshl_add_u64 v[4:5], s[4:5], 0, v[8:9]
	s_load_dword s3, s[0:1], 0x50
	s_load_dword s4, s[0:1], 0x5c
	v_lshlrev_b32_e32 v10, 3, v1
	v_mov_b32_e32 v11, v7
	v_lshl_add_u64 v[20:21], v[4:5], 0, v[10:11]
	global_load_dwordx2 v[24:25], v[20:21], off
	s_add_u32 s0, s0, 0x50
	s_addc_u32 s1, s1, 0
	s_waitcnt lgkmcnt(0)
	s_lshr_b32 s4, s4, 16
	s_cmp_lt_u32 s2, s3
	s_cselect_b32 s5, 12, 18
	s_add_u32 s0, s0, s5
	s_addc_u32 s1, s1, 0
	global_load_ushort v6, v7, s[0:1]
	v_and_b32_e32 v2, 0x3ff, v0
	v_mul_u32_u24_e32 v9, 20, v2
	ds_write2_b32 v9, v7, v7 offset0:16 offset1:17
	ds_write2_b32 v9, v7, v7 offset0:18 offset1:19
	ds_write_b32 v9, v7 offset:80
	global_load_dwordx2 v[4:5], v[20:21], off offset:512
	global_load_dwordx2 v[18:19], v[20:21], off offset:1024
	global_load_dwordx2 v[14:15], v[20:21], off offset:1536
	global_load_dwordx2 v[16:17], v[20:21], off offset:2048
	global_load_dwordx2 v[12:13], v[20:21], off offset:2560
	v_bfrev_b32_e32 v23, 1
	v_bfe_u32 v1, v0, 10, 10
	v_bfe_u32 v0, v0, 20, 10
	s_mov_b32 s12, -1
	v_mad_u32_u24 v11, v0, s4, v1
	s_brev_b32 s13, -2
	s_lshl_b32 s4, -1, s49
	v_mov_b32_e32 v28, v7
	v_mov_b32_e32 v30, v7
	s_not_b32 s14, s4
	v_mov_b32_e32 v32, v7
	v_mov_b32_e32 v34, v7
	s_movk_i32 s15, 0x44
	s_waitcnt lgkmcnt(0)
	s_barrier
	s_waitcnt vmcnt(6)
	; wave barrier
	v_cmp_lt_i64_e32 vcc, -1, v[24:25]
	s_nop 1
	v_cndmask_b32_e32 v0, -1, v23, vcc
	v_ashrrev_i32_e32 v20, 31, v25
	v_xor_b32_e32 v1, v0, v25
	v_xor_b32_e32 v0, v20, v24
	v_cmp_ne_u64_e32 vcc, s[12:13], v[0:1]
	s_waitcnt vmcnt(5)
	v_mad_u64_u32 v[24:25], s[0:1], v11, v6, v[2:3]
	v_cndmask_b32_e32 v21, v23, v1, vcc
	v_cndmask_b32_e32 v20, 0, v0, vcc
	v_lshrrev_b64 v[20:21], s48, v[20:21]
	v_bitop3_b32 v22, v20, s4, v20 bitop3:0x30
	v_and_b32_e32 v6, 1, v22
	v_lshlrev_b32_e32 v29, 30, v22
	v_lshlrev_b32_e32 v31, 29, v22
	v_lshl_add_u64 v[20:21], v[6:7], 0, -1
	v_cmp_ne_u32_e32 vcc, 0, v6
	v_not_b32_e32 v6, v29
	v_lshrrev_b32_e32 v27, 6, v24
	v_cmp_gt_i64_e64 s[0:1], 0, v[28:29]
	v_not_b32_e32 v24, v31
	v_xor_b32_e32 v21, vcc_hi, v21
	v_ashrrev_i32_e32 v6, 31, v6
	v_lshlrev_b32_e32 v33, 28, v22
	v_cmp_gt_i64_e64 s[4:5], 0, v[30:31]
	v_xor_b32_e32 v20, vcc_lo, v20
	v_ashrrev_i32_e32 v24, 31, v24
	v_and_b32_e32 v21, exec_hi, v21
	v_xor_b32_e32 v26, s1, v6
	v_lshlrev_b32_e32 v35, 27, v22
	v_not_b32_e32 v25, v33
	v_and_b32_e32 v20, exec_lo, v20
	v_xor_b32_e32 v6, s0, v6
	v_xor_b32_e32 v28, s5, v24
	v_and_b32_e32 v21, v21, v26
	v_cmp_gt_i64_e64 s[6:7], 0, v[32:33]
	v_ashrrev_i32_e32 v25, 31, v25
	v_xor_b32_e32 v24, s4, v24
	v_and_b32_e32 v6, v20, v6
	v_and_b32_e32 v20, v21, v28
	v_not_b32_e32 v21, v35
	v_cmp_gt_i64_e64 s[8:9], 0, v[34:35]
	v_xor_b32_e32 v29, s7, v25
	v_xor_b32_e32 v25, s6, v25
	v_and_b32_e32 v6, v6, v24
	v_ashrrev_i32_e32 v21, 31, v21
	v_and_b32_e32 v20, v20, v29
	v_and_b32_e32 v6, v6, v25
	v_xor_b32_e32 v24, s9, v21
	v_xor_b32_e32 v21, s8, v21
	v_and_b32_e32 v24, v20, v24
	v_and_b32_e32 v6, v6, v21
	v_lshlrev_b32_e32 v21, 26, v22
	v_mov_b32_e32 v20, v7
	v_cmp_gt_i64_e32 vcc, 0, v[20:21]
	v_not_b32_e32 v20, v21
	v_ashrrev_i32_e32 v20, 31, v20
	v_xor_b32_e32 v21, vcc_hi, v20
	v_xor_b32_e32 v20, vcc_lo, v20
	v_and_b32_e32 v24, v24, v21
	v_and_b32_e32 v6, v6, v20
	v_lshlrev_b32_e32 v21, 25, v22
	v_mov_b32_e32 v20, v7
	v_cmp_gt_i64_e32 vcc, 0, v[20:21]
	v_not_b32_e32 v20, v21
	v_ashrrev_i32_e32 v20, 31, v20
	v_xor_b32_e32 v21, vcc_hi, v20
	v_xor_b32_e32 v20, vcc_lo, v20
	v_and_b32_e32 v24, v24, v21
	v_and_b32_e32 v6, v6, v20
	v_lshlrev_b32_e32 v21, 24, v22
	v_mov_b32_e32 v20, v7
	v_cmp_gt_i64_e32 vcc, 0, v[20:21]
	v_not_b32_e32 v20, v21
	v_ashrrev_i32_e32 v20, 31, v20
	v_xor_b32_e32 v21, vcc_hi, v20
	v_xor_b32_e32 v20, vcc_lo, v20
	v_and_b32_e32 v20, v6, v20
	v_and_b32_e32 v21, v24, v21
	v_mbcnt_lo_u32_b32 v6, v20, 0
	v_mul_lo_u32 v11, v22, s15
	v_mbcnt_hi_u32_b32 v22, v21, v6
	v_cmp_eq_u32_e32 vcc, 0, v22
	v_cmp_ne_u64_e64 s[0:1], 0, v[20:21]
	v_lshl_add_u32 v11, v27, 2, v11
	s_and_b64 s[4:5], s[0:1], vcc
	s_and_saveexec_b64 s[0:1], s[4:5]
; %bb.98:
	v_bcnt_u32_b32 v6, v20, 0
	v_bcnt_u32_b32 v6, v21, v6
	ds_write_b32 v11, v6 offset:64
; %bb.99:
	s_or_b64 exec, exec, s[0:1]
	s_waitcnt vmcnt(4)
	v_cmp_lt_i64_e32 vcc, -1, v[4:5]
	v_ashrrev_i32_e32 v20, 31, v5
	v_xor_b32_e32 v4, v20, v4
	v_cndmask_b32_e32 v6, -1, v23, vcc
	v_xor_b32_e32 v5, v6, v5
	v_cmp_ne_u64_e32 vcc, s[12:13], v[4:5]
	; wave barrier
	s_nop 1
	v_cndmask_b32_e32 v21, v23, v5, vcc
	v_cndmask_b32_e32 v20, 0, v4, vcc
	v_lshrrev_b64 v[20:21], s48, v[20:21]
	v_and_b32_e32 v25, s14, v20
	v_mul_lo_u32 v6, v25, s15
	v_lshl_add_u32 v24, v27, 2, v6
	v_and_b32_e32 v6, 1, v25
	v_lshl_add_u64 v[20:21], v[6:7], 0, -1
	v_cmp_ne_u32_e32 vcc, 0, v6
	ds_read_b32 v23, v24 offset:64
	s_nop 0
	v_xor_b32_e32 v20, vcc_lo, v20
	v_xor_b32_e32 v6, vcc_hi, v21
	v_and_b32_e32 v26, exec_lo, v20
	v_lshlrev_b32_e32 v21, 30, v25
	v_mov_b32_e32 v20, v7
	v_cmp_gt_i64_e32 vcc, 0, v[20:21]
	v_not_b32_e32 v20, v21
	v_ashrrev_i32_e32 v20, 31, v20
	v_and_b32_e32 v6, exec_hi, v6
	v_xor_b32_e32 v21, vcc_hi, v20
	v_xor_b32_e32 v20, vcc_lo, v20
	v_and_b32_e32 v6, v6, v21
	v_and_b32_e32 v26, v26, v20
	v_lshlrev_b32_e32 v21, 29, v25
	v_mov_b32_e32 v20, v7
	v_cmp_gt_i64_e32 vcc, 0, v[20:21]
	v_not_b32_e32 v20, v21
	v_ashrrev_i32_e32 v20, 31, v20
	v_xor_b32_e32 v21, vcc_hi, v20
	v_xor_b32_e32 v20, vcc_lo, v20
	v_and_b32_e32 v6, v6, v21
	v_and_b32_e32 v26, v26, v20
	v_lshlrev_b32_e32 v21, 28, v25
	v_mov_b32_e32 v20, v7
	v_cmp_gt_i64_e32 vcc, 0, v[20:21]
	v_not_b32_e32 v20, v21
	v_ashrrev_i32_e32 v20, 31, v20
	v_xor_b32_e32 v21, vcc_hi, v20
	v_xor_b32_e32 v20, vcc_lo, v20
	v_and_b32_e32 v6, v6, v21
	v_and_b32_e32 v26, v26, v20
	v_lshlrev_b32_e32 v21, 27, v25
	v_mov_b32_e32 v20, v7
	v_cmp_gt_i64_e32 vcc, 0, v[20:21]
	v_not_b32_e32 v20, v21
	v_ashrrev_i32_e32 v20, 31, v20
	v_xor_b32_e32 v21, vcc_hi, v20
	v_xor_b32_e32 v20, vcc_lo, v20
	v_and_b32_e32 v6, v6, v21
	v_and_b32_e32 v26, v26, v20
	v_lshlrev_b32_e32 v21, 26, v25
	v_mov_b32_e32 v20, v7
	v_cmp_gt_i64_e32 vcc, 0, v[20:21]
	v_not_b32_e32 v20, v21
	v_ashrrev_i32_e32 v20, 31, v20
	v_xor_b32_e32 v21, vcc_hi, v20
	v_xor_b32_e32 v20, vcc_lo, v20
	v_and_b32_e32 v6, v6, v21
	v_and_b32_e32 v26, v26, v20
	v_lshlrev_b32_e32 v21, 25, v25
	v_mov_b32_e32 v20, v7
	v_cmp_gt_i64_e32 vcc, 0, v[20:21]
	v_not_b32_e32 v20, v21
	v_ashrrev_i32_e32 v20, 31, v20
	v_xor_b32_e32 v21, vcc_hi, v20
	v_xor_b32_e32 v20, vcc_lo, v20
	v_and_b32_e32 v6, v6, v21
	v_lshlrev_b32_e32 v21, 24, v25
	v_and_b32_e32 v26, v26, v20
	v_mov_b32_e32 v20, v7
	v_not_b32_e32 v7, v21
	v_cmp_gt_i64_e32 vcc, 0, v[20:21]
	v_ashrrev_i32_e32 v7, 31, v7
	; wave barrier
	s_nop 0
	v_xor_b32_e32 v20, vcc_hi, v7
	v_xor_b32_e32 v21, vcc_lo, v7
	v_and_b32_e32 v7, v6, v20
	v_and_b32_e32 v6, v26, v21
	v_mbcnt_lo_u32_b32 v20, v6, 0
	v_mbcnt_hi_u32_b32 v25, v7, v20
	v_cmp_eq_u32_e32 vcc, 0, v25
	v_cmp_ne_u64_e64 s[0:1], 0, v[6:7]
	s_and_b64 s[4:5], s[0:1], vcc
	s_and_saveexec_b64 s[0:1], s[4:5]
	s_cbranch_execz .LBB157_101
; %bb.100:
	v_bcnt_u32_b32 v6, v6, 0
	v_bcnt_u32_b32 v6, v7, v6
	s_waitcnt lgkmcnt(0)
	v_add_u32_e32 v6, v23, v6
	ds_write_b32 v24, v6 offset:64
.LBB157_101:
	s_or_b64 exec, exec, s[0:1]
	v_bfrev_b32_e32 v30, 1
	s_waitcnt vmcnt(3)
	v_cmp_lt_i64_e32 vcc, -1, v[18:19]
	s_mov_b32 s4, -1
	v_ashrrev_i32_e32 v20, 31, v19
	v_cndmask_b32_e32 v6, -1, v30, vcc
	s_brev_b32 s5, -2
	v_xor_b32_e32 v7, v6, v19
	v_xor_b32_e32 v6, v20, v18
	v_cmp_ne_u64_e32 vcc, s[4:5], v[6:7]
	s_movk_i32 s6, 0x44
	s_nop 0
	v_cndmask_b32_e32 v19, v30, v7, vcc
	v_cndmask_b32_e32 v18, 0, v6, vcc
	v_lshrrev_b64 v[18:19], s48, v[18:19]
	v_and_b32_e32 v29, s14, v18
	v_mul_lo_u32 v18, v29, s6
	v_lshl_add_u32 v28, v27, 2, v18
	v_and_b32_e32 v18, 1, v29
	v_mov_b32_e32 v19, 0
	v_lshl_add_u64 v[20:21], v[18:19], 0, -1
	v_cmp_ne_u32_e32 vcc, 0, v18
	; wave barrier
	ds_read_b32 v26, v28 offset:64
	s_nop 0
	v_xor_b32_e32 v20, vcc_lo, v20
	v_xor_b32_e32 v18, vcc_hi, v21
	v_and_b32_e32 v31, exec_lo, v20
	v_lshlrev_b32_e32 v21, 30, v29
	v_mov_b32_e32 v20, v19
	v_cmp_gt_i64_e32 vcc, 0, v[20:21]
	v_not_b32_e32 v20, v21
	v_ashrrev_i32_e32 v20, 31, v20
	v_and_b32_e32 v18, exec_hi, v18
	v_xor_b32_e32 v21, vcc_hi, v20
	v_xor_b32_e32 v20, vcc_lo, v20
	v_and_b32_e32 v18, v18, v21
	v_and_b32_e32 v31, v31, v20
	v_lshlrev_b32_e32 v21, 29, v29
	v_mov_b32_e32 v20, v19
	v_cmp_gt_i64_e32 vcc, 0, v[20:21]
	v_not_b32_e32 v20, v21
	v_ashrrev_i32_e32 v20, 31, v20
	v_xor_b32_e32 v21, vcc_hi, v20
	v_xor_b32_e32 v20, vcc_lo, v20
	v_and_b32_e32 v18, v18, v21
	v_and_b32_e32 v31, v31, v20
	v_lshlrev_b32_e32 v21, 28, v29
	v_mov_b32_e32 v20, v19
	v_cmp_gt_i64_e32 vcc, 0, v[20:21]
	v_not_b32_e32 v20, v21
	v_ashrrev_i32_e32 v20, 31, v20
	;; [unrolled: 9-line block ×6, first 2 shown]
	v_xor_b32_e32 v21, vcc_hi, v20
	v_xor_b32_e32 v20, vcc_lo, v20
	v_and_b32_e32 v20, v31, v20
	v_and_b32_e32 v21, v18, v21
	v_mbcnt_lo_u32_b32 v18, v20, 0
	v_mbcnt_hi_u32_b32 v29, v21, v18
	v_cmp_eq_u32_e32 vcc, 0, v29
	v_cmp_ne_u64_e64 s[0:1], 0, v[20:21]
	s_and_b64 s[8:9], s[0:1], vcc
	; wave barrier
	s_and_saveexec_b64 s[0:1], s[8:9]
	s_cbranch_execz .LBB157_103
; %bb.102:
	v_bcnt_u32_b32 v18, v20, 0
	v_bcnt_u32_b32 v18, v21, v18
	s_waitcnt lgkmcnt(0)
	v_add_u32_e32 v18, v26, v18
	ds_write_b32 v28, v18 offset:64
.LBB157_103:
	s_or_b64 exec, exec, s[0:1]
	s_waitcnt vmcnt(2)
	v_cmp_lt_i64_e32 vcc, -1, v[14:15]
	v_ashrrev_i32_e32 v20, 31, v15
	v_xor_b32_e32 v14, v20, v14
	v_cndmask_b32_e32 v18, -1, v30, vcc
	v_xor_b32_e32 v15, v18, v15
	v_cmp_ne_u64_e32 vcc, s[4:5], v[14:15]
	; wave barrier
	s_nop 1
	v_cndmask_b32_e32 v21, v30, v15, vcc
	v_cndmask_b32_e32 v20, 0, v14, vcc
	v_lshrrev_b64 v[20:21], s48, v[20:21]
	v_and_b32_e32 v32, s14, v20
	v_mul_lo_u32 v18, v32, s6
	v_lshl_add_u32 v31, v27, 2, v18
	v_and_b32_e32 v18, 1, v32
	v_lshl_add_u64 v[20:21], v[18:19], 0, -1
	v_cmp_ne_u32_e32 vcc, 0, v18
	ds_read_b32 v30, v31 offset:64
	s_nop 0
	v_xor_b32_e32 v20, vcc_lo, v20
	v_xor_b32_e32 v18, vcc_hi, v21
	v_and_b32_e32 v33, exec_lo, v20
	v_lshlrev_b32_e32 v21, 30, v32
	v_mov_b32_e32 v20, v19
	v_cmp_gt_i64_e32 vcc, 0, v[20:21]
	v_not_b32_e32 v20, v21
	v_ashrrev_i32_e32 v20, 31, v20
	v_and_b32_e32 v18, exec_hi, v18
	v_xor_b32_e32 v21, vcc_hi, v20
	v_xor_b32_e32 v20, vcc_lo, v20
	v_and_b32_e32 v18, v18, v21
	v_and_b32_e32 v33, v33, v20
	v_lshlrev_b32_e32 v21, 29, v32
	v_mov_b32_e32 v20, v19
	v_cmp_gt_i64_e32 vcc, 0, v[20:21]
	v_not_b32_e32 v20, v21
	v_ashrrev_i32_e32 v20, 31, v20
	v_xor_b32_e32 v21, vcc_hi, v20
	v_xor_b32_e32 v20, vcc_lo, v20
	v_and_b32_e32 v18, v18, v21
	v_and_b32_e32 v33, v33, v20
	v_lshlrev_b32_e32 v21, 28, v32
	v_mov_b32_e32 v20, v19
	v_cmp_gt_i64_e32 vcc, 0, v[20:21]
	v_not_b32_e32 v20, v21
	v_ashrrev_i32_e32 v20, 31, v20
	;; [unrolled: 9-line block ×5, first 2 shown]
	v_xor_b32_e32 v21, vcc_hi, v20
	v_xor_b32_e32 v20, vcc_lo, v20
	v_and_b32_e32 v18, v18, v21
	v_lshlrev_b32_e32 v21, 24, v32
	v_and_b32_e32 v33, v33, v20
	v_mov_b32_e32 v20, v19
	v_not_b32_e32 v19, v21
	v_cmp_gt_i64_e32 vcc, 0, v[20:21]
	v_ashrrev_i32_e32 v19, 31, v19
	; wave barrier
	s_nop 0
	v_xor_b32_e32 v20, vcc_hi, v19
	v_xor_b32_e32 v21, vcc_lo, v19
	v_and_b32_e32 v19, v18, v20
	v_and_b32_e32 v18, v33, v21
	v_mbcnt_lo_u32_b32 v20, v18, 0
	v_mbcnt_hi_u32_b32 v32, v19, v20
	v_cmp_eq_u32_e32 vcc, 0, v32
	v_cmp_ne_u64_e64 s[0:1], 0, v[18:19]
	s_and_b64 s[4:5], s[0:1], vcc
	s_and_saveexec_b64 s[0:1], s[4:5]
	s_cbranch_execz .LBB157_105
; %bb.104:
	v_bcnt_u32_b32 v18, v18, 0
	v_bcnt_u32_b32 v18, v19, v18
	s_waitcnt lgkmcnt(0)
	v_add_u32_e32 v18, v30, v18
	ds_write_b32 v31, v18 offset:64
.LBB157_105:
	s_or_b64 exec, exec, s[0:1]
	v_bfrev_b32_e32 v36, 1
	s_waitcnt vmcnt(1)
	v_cmp_lt_i64_e32 vcc, -1, v[16:17]
	s_mov_b32 s4, -1
	v_ashrrev_i32_e32 v20, 31, v17
	v_cndmask_b32_e32 v18, -1, v36, vcc
	s_brev_b32 s5, -2
	v_xor_b32_e32 v19, v18, v17
	v_xor_b32_e32 v18, v20, v16
	v_cmp_ne_u64_e32 vcc, s[4:5], v[18:19]
	; wave barrier
	s_nop 1
	v_cndmask_b32_e32 v17, v36, v19, vcc
	v_cndmask_b32_e32 v16, 0, v18, vcc
	v_lshrrev_b64 v[16:17], s48, v[16:17]
	v_and_b32_e32 v35, s14, v16
	v_mul_lo_u32 v16, v35, s6
	v_lshl_add_u32 v34, v27, 2, v16
	v_and_b32_e32 v16, 1, v35
	v_mov_b32_e32 v17, 0
	v_lshl_add_u64 v[20:21], v[16:17], 0, -1
	v_cmp_ne_u32_e32 vcc, 0, v16
	ds_read_b32 v33, v34 offset:64
	s_nop 0
	v_xor_b32_e32 v20, vcc_lo, v20
	v_xor_b32_e32 v16, vcc_hi, v21
	v_and_b32_e32 v37, exec_lo, v20
	v_lshlrev_b32_e32 v21, 30, v35
	v_mov_b32_e32 v20, v17
	v_cmp_gt_i64_e32 vcc, 0, v[20:21]
	v_not_b32_e32 v20, v21
	v_ashrrev_i32_e32 v20, 31, v20
	v_and_b32_e32 v16, exec_hi, v16
	v_xor_b32_e32 v21, vcc_hi, v20
	v_xor_b32_e32 v20, vcc_lo, v20
	v_and_b32_e32 v16, v16, v21
	v_and_b32_e32 v37, v37, v20
	v_lshlrev_b32_e32 v21, 29, v35
	v_mov_b32_e32 v20, v17
	v_cmp_gt_i64_e32 vcc, 0, v[20:21]
	v_not_b32_e32 v20, v21
	v_ashrrev_i32_e32 v20, 31, v20
	v_xor_b32_e32 v21, vcc_hi, v20
	v_xor_b32_e32 v20, vcc_lo, v20
	v_and_b32_e32 v16, v16, v21
	v_and_b32_e32 v37, v37, v20
	v_lshlrev_b32_e32 v21, 28, v35
	v_mov_b32_e32 v20, v17
	v_cmp_gt_i64_e32 vcc, 0, v[20:21]
	v_not_b32_e32 v20, v21
	v_ashrrev_i32_e32 v20, 31, v20
	;; [unrolled: 9-line block ×6, first 2 shown]
	v_xor_b32_e32 v21, vcc_hi, v20
	v_xor_b32_e32 v20, vcc_lo, v20
	v_and_b32_e32 v20, v37, v20
	v_and_b32_e32 v21, v16, v21
	v_mbcnt_lo_u32_b32 v16, v20, 0
	v_mbcnt_hi_u32_b32 v35, v21, v16
	v_cmp_eq_u32_e32 vcc, 0, v35
	v_cmp_ne_u64_e64 s[0:1], 0, v[20:21]
	s_and_b64 s[8:9], s[0:1], vcc
	; wave barrier
	s_and_saveexec_b64 s[0:1], s[8:9]
	s_cbranch_execz .LBB157_107
; %bb.106:
	v_bcnt_u32_b32 v16, v20, 0
	v_bcnt_u32_b32 v16, v21, v16
	s_waitcnt lgkmcnt(0)
	v_add_u32_e32 v16, v33, v16
	ds_write_b32 v34, v16 offset:64
.LBB157_107:
	s_or_b64 exec, exec, s[0:1]
	s_waitcnt vmcnt(0)
	v_cmp_lt_i64_e32 vcc, -1, v[12:13]
	v_ashrrev_i32_e32 v20, 31, v13
	v_xor_b32_e32 v20, v20, v12
	v_cndmask_b32_e32 v16, -1, v36, vcc
	v_xor_b32_e32 v21, v16, v13
	v_cmp_ne_u64_e32 vcc, s[4:5], v[20:21]
	; wave barrier
	s_nop 1
	v_cndmask_b32_e32 v13, v36, v21, vcc
	v_cndmask_b32_e32 v12, 0, v20, vcc
	v_lshrrev_b64 v[12:13], s48, v[12:13]
	v_and_b32_e32 v37, s14, v12
	v_mul_lo_u32 v12, v37, s6
	v_and_b32_e32 v16, 1, v37
	v_lshl_add_u32 v36, v27, 2, v12
	v_lshl_add_u64 v[12:13], v[16:17], 0, -1
	v_cmp_ne_u32_e32 vcc, 0, v16
	ds_read_b32 v27, v36 offset:64
	s_nop 0
	v_xor_b32_e32 v13, vcc_hi, v13
	v_xor_b32_e32 v12, vcc_lo, v12
	v_and_b32_e32 v16, exec_hi, v13
	v_and_b32_e32 v38, exec_lo, v12
	v_lshlrev_b32_e32 v13, 30, v37
	v_mov_b32_e32 v12, v17
	v_cmp_gt_i64_e32 vcc, 0, v[12:13]
	v_not_b32_e32 v12, v13
	v_ashrrev_i32_e32 v12, 31, v12
	v_xor_b32_e32 v13, vcc_hi, v12
	v_xor_b32_e32 v12, vcc_lo, v12
	v_and_b32_e32 v16, v16, v13
	v_and_b32_e32 v38, v38, v12
	v_lshlrev_b32_e32 v13, 29, v37
	v_mov_b32_e32 v12, v17
	v_cmp_gt_i64_e32 vcc, 0, v[12:13]
	v_not_b32_e32 v12, v13
	v_ashrrev_i32_e32 v12, 31, v12
	v_xor_b32_e32 v13, vcc_hi, v12
	v_xor_b32_e32 v12, vcc_lo, v12
	v_and_b32_e32 v16, v16, v13
	v_and_b32_e32 v38, v38, v12
	v_lshlrev_b32_e32 v13, 28, v37
	v_mov_b32_e32 v12, v17
	v_cmp_gt_i64_e32 vcc, 0, v[12:13]
	v_not_b32_e32 v12, v13
	v_ashrrev_i32_e32 v12, 31, v12
	v_xor_b32_e32 v13, vcc_hi, v12
	v_xor_b32_e32 v12, vcc_lo, v12
	v_and_b32_e32 v16, v16, v13
	v_and_b32_e32 v38, v38, v12
	v_lshlrev_b32_e32 v13, 27, v37
	v_mov_b32_e32 v12, v17
	v_cmp_gt_i64_e32 vcc, 0, v[12:13]
	v_not_b32_e32 v12, v13
	v_ashrrev_i32_e32 v12, 31, v12
	v_xor_b32_e32 v13, vcc_hi, v12
	v_xor_b32_e32 v12, vcc_lo, v12
	v_and_b32_e32 v16, v16, v13
	v_and_b32_e32 v38, v38, v12
	v_lshlrev_b32_e32 v13, 26, v37
	v_mov_b32_e32 v12, v17
	v_cmp_gt_i64_e32 vcc, 0, v[12:13]
	v_not_b32_e32 v12, v13
	v_ashrrev_i32_e32 v12, 31, v12
	v_xor_b32_e32 v13, vcc_hi, v12
	v_xor_b32_e32 v12, vcc_lo, v12
	v_and_b32_e32 v16, v16, v13
	v_and_b32_e32 v38, v38, v12
	v_lshlrev_b32_e32 v13, 25, v37
	v_mov_b32_e32 v12, v17
	v_cmp_gt_i64_e32 vcc, 0, v[12:13]
	v_not_b32_e32 v12, v13
	v_ashrrev_i32_e32 v12, 31, v12
	v_xor_b32_e32 v13, vcc_hi, v12
	v_xor_b32_e32 v12, vcc_lo, v12
	v_and_b32_e32 v16, v16, v13
	v_and_b32_e32 v38, v38, v12
	v_lshlrev_b32_e32 v13, 24, v37
	v_mov_b32_e32 v12, v17
	v_cmp_gt_i64_e32 vcc, 0, v[12:13]
	v_not_b32_e32 v12, v13
	v_ashrrev_i32_e32 v12, 31, v12
	v_xor_b32_e32 v13, vcc_hi, v12
	v_xor_b32_e32 v12, vcc_lo, v12
	v_and_b32_e32 v12, v38, v12
	v_and_b32_e32 v13, v16, v13
	v_mbcnt_lo_u32_b32 v16, v12, 0
	v_mbcnt_hi_u32_b32 v37, v13, v16
	v_cmp_eq_u32_e32 vcc, 0, v37
	v_cmp_ne_u64_e64 s[0:1], 0, v[12:13]
	s_and_b64 s[4:5], s[0:1], vcc
	; wave barrier
	s_and_saveexec_b64 s[0:1], s[4:5]
	s_cbranch_execz .LBB157_109
; %bb.108:
	v_bcnt_u32_b32 v12, v12, 0
	v_bcnt_u32_b32 v12, v13, v12
	s_waitcnt lgkmcnt(0)
	v_add_u32_e32 v12, v27, v12
	ds_write_b32 v36, v12 offset:64
.LBB157_109:
	s_or_b64 exec, exec, s[0:1]
	; wave barrier
	s_waitcnt lgkmcnt(0)
	s_barrier
	ds_read2_b32 v[16:17], v9 offset0:16 offset1:17
	ds_read2_b32 v[12:13], v9 offset0:18 offset1:19
	ds_read_b32 v38, v9 offset:80
	v_cmp_lt_u32_e64 s[8:9], 31, v3
	s_waitcnt lgkmcnt(1)
	v_add3_u32 v39, v17, v16, v12
	s_waitcnt lgkmcnt(0)
	v_add3_u32 v38, v39, v13, v38
	v_and_b32_e32 v39, 15, v3
	v_cmp_eq_u32_e32 vcc, 0, v39
	v_mov_b32_dpp v40, v38 row_shr:1 row_mask:0xf bank_mask:0xf
	v_cmp_lt_u32_e64 s[0:1], 1, v39
	v_cndmask_b32_e64 v40, v40, 0, vcc
	v_add_u32_e32 v38, v40, v38
	v_cmp_lt_u32_e64 s[6:7], 3, v39
	v_cmp_lt_u32_e64 s[4:5], 7, v39
	v_mov_b32_dpp v40, v38 row_shr:2 row_mask:0xf bank_mask:0xf
	v_cndmask_b32_e64 v40, 0, v40, s[0:1]
	v_add_u32_e32 v38, v38, v40
	s_nop 1
	v_mov_b32_dpp v40, v38 row_shr:4 row_mask:0xf bank_mask:0xf
	v_cndmask_b32_e64 v40, 0, v40, s[6:7]
	v_add_u32_e32 v38, v38, v40
	s_nop 1
	v_mov_b32_dpp v40, v38 row_shr:8 row_mask:0xf bank_mask:0xf
	v_cndmask_b32_e64 v39, 0, v40, s[4:5]
	v_add_u32_e32 v38, v38, v39
	v_bfe_i32 v40, v3, 4, 1
	s_nop 0
	v_mov_b32_dpp v39, v38 row_bcast:15 row_mask:0xf bank_mask:0xf
	v_and_b32_e32 v39, v40, v39
	v_add_u32_e32 v38, v38, v39
	v_and_b32_e32 v40, 63, v2
	s_nop 0
	v_mov_b32_dpp v39, v38 row_bcast:31 row_mask:0xf bank_mask:0xf
	v_cndmask_b32_e64 v39, 0, v39, s[8:9]
	v_add_u32_e32 v38, v38, v39
	v_lshrrev_b32_e32 v39, 6, v2
	v_cmp_eq_u32_e64 s[8:9], 63, v40
	s_and_saveexec_b64 s[12:13], s[8:9]
; %bb.110:
	v_lshlrev_b32_e32 v40, 2, v39
	ds_write_b32 v40, v38
; %bb.111:
	s_or_b64 exec, exec, s[12:13]
	v_cmp_gt_u32_e64 s[8:9], 16, v2
	s_waitcnt lgkmcnt(0)
	s_barrier
	s_and_saveexec_b64 s[12:13], s[8:9]
	s_cbranch_execz .LBB157_113
; %bb.112:
	v_lshlrev_b32_e32 v40, 2, v2
	ds_read_b32 v41, v40
	s_waitcnt lgkmcnt(0)
	s_nop 0
	v_mov_b32_dpp v42, v41 row_shr:1 row_mask:0xf bank_mask:0xf
	v_cndmask_b32_e64 v42, v42, 0, vcc
	v_add_u32_e32 v41, v42, v41
	s_nop 1
	v_mov_b32_dpp v42, v41 row_shr:2 row_mask:0xf bank_mask:0xf
	v_cndmask_b32_e64 v42, 0, v42, s[0:1]
	v_add_u32_e32 v41, v41, v42
	s_nop 1
	v_mov_b32_dpp v42, v41 row_shr:4 row_mask:0xf bank_mask:0xf
	v_cndmask_b32_e64 v42, 0, v42, s[6:7]
	;; [unrolled: 4-line block ×3, first 2 shown]
	v_add_u32_e32 v41, v41, v42
	ds_write_b32 v40, v41
.LBB157_113:
	s_or_b64 exec, exec, s[12:13]
	v_cmp_lt_u32_e32 vcc, 63, v2
	v_mov_b32_e32 v40, 0
	s_waitcnt lgkmcnt(0)
	s_barrier
	s_and_saveexec_b64 s[0:1], vcc
; %bb.114:
	v_lshl_add_u32 v39, v39, 2, -4
	ds_read_b32 v40, v39
; %bb.115:
	s_or_b64 exec, exec, s[0:1]
	v_add_u32_e32 v39, -1, v3
	v_and_b32_e32 v41, 64, v3
	v_cmp_lt_i32_e32 vcc, v39, v41
	s_waitcnt lgkmcnt(0)
	v_add_u32_e32 v38, v40, v38
	s_movk_i32 s0, 0xff
	v_cndmask_b32_e32 v39, v39, v3, vcc
	v_lshlrev_b32_e32 v39, 2, v39
	ds_bpermute_b32 v38, v39, v38
	v_cmp_eq_u32_e32 vcc, 0, v3
	s_movk_i32 s4, 0x100
	s_waitcnt lgkmcnt(0)
	v_cndmask_b32_e32 v3, v38, v40, vcc
	v_cmp_ne_u32_e32 vcc, 0, v2
	s_nop 1
	v_cndmask_b32_e32 v3, 0, v3, vcc
	v_add_u32_e32 v16, v3, v16
	v_add_u32_e32 v17, v16, v17
	;; [unrolled: 1-line block ×4, first 2 shown]
	ds_write2_b32 v9, v3, v16 offset0:16 offset1:17
	ds_write2_b32 v9, v17, v12 offset0:18 offset1:19
	ds_write_b32 v9, v13 offset:80
	s_waitcnt lgkmcnt(0)
	s_barrier
	ds_read_b32 v17, v11 offset:64
	ds_read_b32 v38, v24 offset:64
	ds_read_b32 v24, v28 offset:64
	ds_read_b32 v11, v31 offset:64
	ds_read_b32 v9, v34 offset:64
	ds_read_b32 v3, v36 offset:64
	v_cmp_lt_u32_e32 vcc, s0, v2
	v_cmp_gt_u32_e64 s[0:1], s4, v2
	v_mov_b64_e32 v[12:13], 0
                                        ; implicit-def: $vgpr16
	s_and_saveexec_b64 s[6:7], s[0:1]
	s_cbranch_execz .LBB157_119
; %bb.116:
	v_mul_u32_u24_e32 v12, 0x44, v2
	ds_read_b32 v12, v12 offset:64
	v_add_u32_e32 v16, 1, v2
	v_cmp_ne_u32_e64 s[4:5], s4, v16
	v_mov_b32_e32 v13, 0x1800
	s_and_saveexec_b64 s[8:9], s[4:5]
; %bb.117:
	v_mul_u32_u24_e32 v13, 0x44, v16
	ds_read_b32 v13, v13 offset:64
; %bb.118:
	s_or_b64 exec, exec, s[8:9]
	s_waitcnt lgkmcnt(0)
	v_sub_u32_e32 v16, v13, v12
	v_mov_b32_e32 v13, 0
.LBB157_119:
	s_or_b64 exec, exec, s[6:7]
	v_lshlrev_b32_e32 v22, 3, v22
	s_waitcnt lgkmcnt(5)
	v_lshl_add_u32 v17, v17, 3, v22
	s_waitcnt lgkmcnt(0)
	s_barrier
	ds_write_b64 v17, v[0:1] offset:2048
	v_lshlrev_b32_e32 v0, 3, v25
	v_lshlrev_b32_e32 v1, 3, v23
	;; [unrolled: 1-line block ×3, first 2 shown]
	v_add3_u32 v22, v0, v1, v22
	ds_write_b64 v22, v[4:5] offset:2048
	v_lshlrev_b32_e32 v0, 3, v29
	v_lshlrev_b32_e32 v1, 3, v26
	v_lshlrev_b32_e32 v4, 3, v24
	v_add3_u32 v23, v0, v1, v4
	v_lshlrev_b32_e32 v0, 3, v32
	v_lshlrev_b32_e32 v1, 3, v30
	v_lshlrev_b32_e32 v4, 3, v11
	v_add3_u32 v24, v0, v1, v4
	v_lshlrev_b32_e32 v0, 3, v35
	v_lshlrev_b32_e32 v1, 3, v33
	v_lshlrev_b32_e32 v4, 3, v9
	v_add3_u32 v25, v0, v1, v4
	v_lshlrev_b32_e32 v0, 3, v37
	v_lshlrev_b32_e32 v1, 3, v27
	;; [unrolled: 1-line block ×3, first 2 shown]
	ds_write_b64 v23, v[6:7] offset:2048
	ds_write_b64 v24, v[14:15] offset:2048
	;; [unrolled: 1-line block ×3, first 2 shown]
	v_add3_u32 v18, v0, v1, v3
	v_mov_b32_e32 v1, 0
	v_lshlrev_b32_e32 v14, 3, v2
	ds_write_b64 v18, v[20:21] offset:2048
	s_waitcnt lgkmcnt(0)
	s_barrier
	s_and_saveexec_b64 s[4:5], s[0:1]
	s_cbranch_execz .LBB157_129
; %bb.120:
	v_lshl_add_u32 v0, s2, 8, v2
	v_lshl_add_u64 v[4:5], v[0:1], 2, s[30:31]
	v_or_b32_e32 v0, 2.0, v16
	s_mov_b64 s[6:7], 0
	s_brev_b32 s15, -4
	s_mov_b32 s16, s2
	v_mov_b32_e32 v3, 0
	global_store_dword v[4:5], v0, off sc1
                                        ; implicit-def: $sgpr0_sgpr1
	s_branch .LBB157_123
.LBB157_121:                            ;   in Loop: Header=BB157_123 Depth=1
	s_or_b64 exec, exec, s[12:13]
.LBB157_122:                            ;   in Loop: Header=BB157_123 Depth=1
	s_or_b64 exec, exec, s[8:9]
	v_and_b32_e32 v6, 0x3fffffff, v0
	v_add_u32_e32 v3, v6, v3
	v_cmp_gt_i32_e64 s[0:1], -2.0, v0
	s_and_b64 s[8:9], exec, s[0:1]
	s_or_b64 s[6:7], s[8:9], s[6:7]
	s_andn2_b64 exec, exec, s[6:7]
	s_cbranch_execz .LBB157_128
.LBB157_123:                            ; =>This Loop Header: Depth=1
                                        ;     Child Loop BB157_126 Depth 2
	s_or_b64 s[0:1], s[0:1], exec
	s_cmp_eq_u32 s16, 0
	s_cbranch_scc1 .LBB157_127
; %bb.124:                              ;   in Loop: Header=BB157_123 Depth=1
	s_add_i32 s16, s16, -1
	v_lshl_or_b32 v0, s16, 8, v2
	v_lshl_add_u64 v[6:7], v[0:1], 2, s[30:31]
	global_load_dword v0, v[6:7], off sc1
	s_waitcnt vmcnt(0)
	v_cmp_gt_u32_e64 s[0:1], 2.0, v0
	s_and_saveexec_b64 s[8:9], s[0:1]
	s_cbranch_execz .LBB157_122
; %bb.125:                              ;   in Loop: Header=BB157_123 Depth=1
	s_mov_b64 s[12:13], 0
.LBB157_126:                            ;   Parent Loop BB157_123 Depth=1
                                        ; =>  This Inner Loop Header: Depth=2
	global_load_dword v0, v[6:7], off sc1
	s_waitcnt vmcnt(0)
	v_cmp_lt_u32_e64 s[0:1], s15, v0
	s_or_b64 s[12:13], s[0:1], s[12:13]
	s_andn2_b64 exec, exec, s[12:13]
	s_cbranch_execnz .LBB157_126
	s_branch .LBB157_121
.LBB157_127:                            ;   in Loop: Header=BB157_123 Depth=1
                                        ; implicit-def: $sgpr16
	s_and_b64 s[8:9], exec, s[0:1]
	s_or_b64 s[6:7], s[8:9], s[6:7]
	s_andn2_b64 exec, exec, s[6:7]
	s_cbranch_execnz .LBB157_123
.LBB157_128:
	s_or_b64 exec, exec, s[6:7]
	v_add_u32_e32 v0, v3, v16
	v_or_b32_e32 v0, 0x80000000, v0
	global_store_dword v[4:5], v0, off sc1
	global_load_dwordx2 v[0:1], v14, s[44:45]
	v_sub_co_u32_e64 v2, s[0:1], v3, v12
	s_nop 1
	v_subb_co_u32_e64 v3, s[0:1], 0, v13, s[0:1]
	s_waitcnt vmcnt(0)
	v_lshl_add_u64 v[0:1], v[2:3], 0, v[0:1]
	ds_write_b64 v14, v[0:1]
.LBB157_129:
	s_or_b64 exec, exec, s[4:5]
	s_waitcnt lgkmcnt(0)
	s_barrier
	ds_read2st64_b64 v[0:3], v14 offset0:4 offset1:20
	s_mov_b32 s4, -1
	s_brev_b32 s5, -2
	v_bfrev_b32_e32 v19, 1
	v_mov_b32_e32 v15, 0
	s_waitcnt lgkmcnt(0)
	v_cmp_ne_u64_e64 s[0:1], s[4:5], v[0:1]
	v_ashrrev_i32_e32 v6, 31, v1
	v_not_b32_e32 v6, v6
	v_cndmask_b32_e64 v5, v19, v1, s[0:1]
	v_cndmask_b32_e64 v4, 0, v0, s[0:1]
	v_lshrrev_b64 v[4:5], s48, v[4:5]
	v_cmp_lt_i64_e64 s[0:1], -1, v[0:1]
	v_and_b32_e32 v4, s14, v4
	v_xor_b32_e32 v0, v6, v0
	v_cndmask_b32_e64 v5, v19, -1, s[0:1]
	v_xor_b32_e32 v1, v5, v1
	v_lshlrev_b32_e32 v42, 3, v4
	ds_read2st64_b64 v[4:7], v14 offset0:36 offset1:52
	v_cmp_ne_u64_e64 s[0:1], s[4:5], v[2:3]
	v_mov_b32_e32 v11, v15
	ds_read_b64 v[20:21], v42
	v_cndmask_b32_e64 v27, v19, v3, s[0:1]
	v_cndmask_b32_e64 v26, 0, v2, s[0:1]
	v_lshrrev_b64 v[26:27], s48, v[26:27]
	s_waitcnt lgkmcnt(1)
	v_cmp_ne_u64_e64 s[0:1], s[4:5], v[4:5]
	v_and_b32_e32 v9, s14, v26
	v_lshlrev_b32_e32 v43, 3, v9
	v_cndmask_b32_e64 v27, v19, v5, s[0:1]
	v_cndmask_b32_e64 v26, 0, v4, s[0:1]
	v_lshrrev_b64 v[26:27], s48, v[26:27]
	v_cmp_ne_u64_e64 s[0:1], s[4:5], v[6:7]
	v_and_b32_e32 v9, s14, v26
	v_lshlrev_b32_e32 v44, 3, v9
	v_cndmask_b32_e64 v27, v19, v7, s[0:1]
	v_cndmask_b32_e64 v26, 0, v6, s[0:1]
	v_lshrrev_b64 v[26:27], s48, v[26:27]
	v_and_b32_e32 v9, s14, v26
	s_add_u32 s0, s40, s10
	v_lshlrev_b32_e32 v45, 3, v9
	s_addc_u32 s1, s41, s11
	v_mov_b32_e32 v9, v15
	v_lshl_add_u64 v[8:9], s[0:1], 0, v[8:9]
	v_lshl_add_u64 v[8:9], v[8:9], 0, v[10:11]
	ds_read_b64 v[26:27], v43
	ds_read_b64 v[28:29], v44
	;; [unrolled: 1-line block ×3, first 2 shown]
	global_load_dwordx2 v[10:11], v[8:9], off
	global_load_dwordx2 v[32:33], v[8:9], off offset:512
	global_load_dwordx2 v[34:35], v[8:9], off offset:1024
	;; [unrolled: 1-line block ×5, first 2 shown]
	s_waitcnt lgkmcnt(3)
	v_lshl_add_u64 v[20:21], v[20:21], 3, s[38:39]
	v_lshl_add_u64 v[20:21], v[20:21], 0, v[14:15]
	global_store_dwordx2 v[20:21], v[0:1], off
	v_cmp_lt_i64_e64 s[0:1], -1, v[2:3]
	v_ashrrev_i32_e32 v1, 31, v3
	v_not_b32_e32 v8, v1
	v_cndmask_b32_e64 v0, v19, -1, s[0:1]
	v_xor_b32_e32 v1, v0, v3
	v_xor_b32_e32 v0, v8, v2
	s_waitcnt lgkmcnt(2)
	v_lshl_add_u64 v[2:3], v[26:27], 3, s[38:39]
	v_or_b32_e32 v8, 0x2000, v14
	v_mov_b32_e32 v9, v15
	v_lshl_add_u64 v[2:3], v[2:3], 0, v[8:9]
	global_store_dwordx2 v[2:3], v[0:1], off
	v_cmp_lt_i64_e64 s[0:1], -1, v[4:5]
	v_ashrrev_i32_e32 v1, 31, v5
	v_not_b32_e32 v2, v1
	v_cndmask_b32_e64 v0, v19, -1, s[0:1]
	v_xor_b32_e32 v1, v0, v5
	v_xor_b32_e32 v0, v2, v4
	s_waitcnt lgkmcnt(1)
	v_lshl_add_u64 v[2:3], v[28:29], 3, s[38:39]
	v_or_b32_e32 v20, 0x4000, v14
	v_mov_b32_e32 v21, v15
	v_lshl_add_u64 v[2:3], v[2:3], 0, v[20:21]
	global_store_dwordx2 v[2:3], v[0:1], off
	v_cmp_lt_i64_e64 s[0:1], -1, v[6:7]
	v_ashrrev_i32_e32 v1, 31, v7
	v_not_b32_e32 v1, v1
	v_cndmask_b32_e64 v0, v19, -1, s[0:1]
	v_xor_b32_e32 v5, v0, v7
	v_xor_b32_e32 v4, v1, v6
	ds_read2st64_b64 v[0:3], v14 offset0:68 offset1:84
	s_waitcnt lgkmcnt(1)
	v_lshl_add_u64 v[6:7], v[30:31], 3, s[38:39]
	v_or_b32_e32 v26, 0x6000, v14
	v_mov_b32_e32 v27, v15
	v_lshl_add_u64 v[6:7], v[6:7], 0, v[26:27]
	s_waitcnt lgkmcnt(0)
	v_cmp_ne_u64_e64 s[0:1], s[4:5], v[0:1]
	global_store_dwordx2 v[6:7], v[4:5], off
	v_ashrrev_i32_e32 v6, 31, v1
	v_cndmask_b32_e64 v5, v19, v1, s[0:1]
	v_cndmask_b32_e64 v4, 0, v0, s[0:1]
	v_lshrrev_b64 v[4:5], s48, v[4:5]
	v_and_b32_e32 v4, s14, v4
	v_cmp_lt_i64_e64 s[0:1], -1, v[0:1]
	v_not_b32_e32 v6, v6
	v_lshlrev_b32_e32 v46, 3, v4
	v_cndmask_b32_e64 v5, v19, -1, s[0:1]
	v_cmp_ne_u64_e64 s[0:1], s[4:5], v[2:3]
	v_xor_b32_e32 v1, v5, v1
	v_xor_b32_e32 v0, v6, v0
	ds_read_b64 v[4:5], v46
	v_cndmask_b32_e64 v7, v19, v3, s[0:1]
	v_cndmask_b32_e64 v6, 0, v2, s[0:1]
	v_lshrrev_b64 v[6:7], s48, v[6:7]
	v_and_b32_e32 v6, s14, v6
	v_lshlrev_b32_e32 v47, 3, v6
	ds_read_b64 v[6:7], v47
	s_waitcnt lgkmcnt(1)
	v_lshl_add_u64 v[4:5], v[4:5], 3, s[38:39]
	v_or_b32_e32 v28, 0x8000, v14
	v_mov_b32_e32 v29, v15
	v_lshl_add_u64 v[4:5], v[4:5], 0, v[28:29]
	global_store_dwordx2 v[4:5], v[0:1], off
	v_cmp_lt_i64_e64 s[0:1], -1, v[2:3]
	v_ashrrev_i32_e32 v1, 31, v3
	v_not_b32_e32 v4, v1
	v_cndmask_b32_e64 v0, v19, -1, s[0:1]
	v_xor_b32_e32 v1, v0, v3
	v_xor_b32_e32 v0, v4, v2
	s_waitcnt lgkmcnt(0)
	v_lshl_add_u64 v[2:3], v[6:7], 3, s[38:39]
	v_or_b32_e32 v30, 0xa000, v14
	v_mov_b32_e32 v31, v15
	v_lshl_add_u64 v[2:3], v[2:3], 0, v[30:31]
	global_store_dwordx2 v[2:3], v[0:1], off
	s_barrier
	s_waitcnt vmcnt(11)
	ds_write_b64 v17, v[10:11] offset:2048
	s_waitcnt vmcnt(10)
	ds_write_b64 v22, v[32:33] offset:2048
	;; [unrolled: 2-line block ×6, first 2 shown]
	s_waitcnt lgkmcnt(0)
	s_barrier
	ds_read_b64 v[4:5], v42
	ds_read2st64_b64 v[0:3], v14 offset0:4 offset1:20
	ds_read_b64 v[6:7], v43
	ds_read_b64 v[10:11], v44
	;; [unrolled: 1-line block ×3, first 2 shown]
	s_waitcnt lgkmcnt(4)
	v_lshl_add_u64 v[4:5], v[4:5], 3, s[42:43]
	v_lshl_add_u64 v[4:5], v[4:5], 0, v[14:15]
	s_waitcnt lgkmcnt(3)
	global_store_dwordx2 v[4:5], v[0:1], off
	s_waitcnt lgkmcnt(2)
	v_lshl_add_u64 v[0:1], v[6:7], 3, s[42:43]
	ds_read2st64_b64 v[4:7], v14 offset0:36 offset1:52
	v_lshl_add_u64 v[0:1], v[0:1], 0, v[8:9]
	global_store_dwordx2 v[0:1], v[2:3], off
	s_waitcnt lgkmcnt(2)
	v_lshl_add_u64 v[0:1], v[10:11], 3, s[42:43]
	v_lshl_add_u64 v[0:1], v[0:1], 0, v[20:21]
	s_waitcnt lgkmcnt(0)
	global_store_dwordx2 v[0:1], v[4:5], off
	ds_read_b64 v[4:5], v46
	v_lshl_add_u64 v[0:1], v[18:19], 3, s[42:43]
	v_lshl_add_u64 v[8:9], v[0:1], 0, v[26:27]
	ds_read2st64_b64 v[0:3], v14 offset0:68 offset1:84
	ds_read_b64 v[10:11], v47
	s_add_i32 s3, s3, -1
	s_waitcnt lgkmcnt(2)
	v_lshl_add_u64 v[4:5], v[4:5], 3, s[42:43]
	v_lshl_add_u64 v[4:5], v[4:5], 0, v[28:29]
	s_cmp_eq_u32 s2, s3
	global_store_dwordx2 v[8:9], v[6:7], off
	s_waitcnt lgkmcnt(1)
	global_store_dwordx2 v[4:5], v[0:1], off
	s_waitcnt lgkmcnt(0)
	v_lshl_add_u64 v[0:1], v[10:11], 3, s[42:43]
	s_cselect_b64 s[0:1], -1, 0
	s_xor_b64 s[2:3], vcc, -1
	v_lshl_add_u64 v[0:1], v[0:1], 0, v[30:31]
	s_and_b64 s[0:1], s[2:3], s[0:1]
	global_store_dwordx2 v[0:1], v[2:3], off
	s_and_saveexec_b64 s[2:3], s[0:1]
	s_cbranch_execz .LBB157_131
; %bb.130:
	ds_read_b64 v[0:1], v14
	v_mov_b32_e32 v17, v15
	v_lshl_add_u64 v[2:3], v[12:13], 0, v[16:17]
	s_waitcnt lgkmcnt(0)
	v_lshl_add_u64 v[0:1], v[2:3], 0, v[0:1]
	global_store_dwordx2 v14, v[0:1], s[46:47]
.LBB157_131:
	s_endpgm
	.section	.rodata,"a",@progbits
	.p2align	6, 0x0
	.amdhsa_kernel _ZN7rocprim17ROCPRIM_304000_NS6detail25onesweep_iteration_kernelINS1_34wrapped_radix_sort_onesweep_configINS0_14default_configEdN2at4cuda3cub6detail10OpaqueTypeILi8EEEEELb0EPdSC_PSA_SD_mNS0_19identity_decomposerEEEvT1_T2_T3_T4_jPT5_SK_PNS1_23onesweep_lookback_stateET6_jjj
		.amdhsa_group_segment_fixed_size 51200
		.amdhsa_private_segment_fixed_size 0
		.amdhsa_kernarg_size 336
		.amdhsa_user_sgpr_count 2
		.amdhsa_user_sgpr_dispatch_ptr 0
		.amdhsa_user_sgpr_queue_ptr 0
		.amdhsa_user_sgpr_kernarg_segment_ptr 1
		.amdhsa_user_sgpr_dispatch_id 0
		.amdhsa_user_sgpr_kernarg_preload_length 0
		.amdhsa_user_sgpr_kernarg_preload_offset 0
		.amdhsa_user_sgpr_private_segment_size 0
		.amdhsa_uses_dynamic_stack 0
		.amdhsa_enable_private_segment 0
		.amdhsa_system_sgpr_workgroup_id_x 1
		.amdhsa_system_sgpr_workgroup_id_y 0
		.amdhsa_system_sgpr_workgroup_id_z 0
		.amdhsa_system_sgpr_workgroup_info 0
		.amdhsa_system_vgpr_workitem_id 2
		.amdhsa_next_free_vgpr 48
		.amdhsa_next_free_sgpr 54
		.amdhsa_accum_offset 48
		.amdhsa_reserve_vcc 1
		.amdhsa_float_round_mode_32 0
		.amdhsa_float_round_mode_16_64 0
		.amdhsa_float_denorm_mode_32 3
		.amdhsa_float_denorm_mode_16_64 3
		.amdhsa_dx10_clamp 1
		.amdhsa_ieee_mode 1
		.amdhsa_fp16_overflow 0
		.amdhsa_tg_split 0
		.amdhsa_exception_fp_ieee_invalid_op 0
		.amdhsa_exception_fp_denorm_src 0
		.amdhsa_exception_fp_ieee_div_zero 0
		.amdhsa_exception_fp_ieee_overflow 0
		.amdhsa_exception_fp_ieee_underflow 0
		.amdhsa_exception_fp_ieee_inexact 0
		.amdhsa_exception_int_div_zero 0
	.end_amdhsa_kernel
	.section	.text._ZN7rocprim17ROCPRIM_304000_NS6detail25onesweep_iteration_kernelINS1_34wrapped_radix_sort_onesweep_configINS0_14default_configEdN2at4cuda3cub6detail10OpaqueTypeILi8EEEEELb0EPdSC_PSA_SD_mNS0_19identity_decomposerEEEvT1_T2_T3_T4_jPT5_SK_PNS1_23onesweep_lookback_stateET6_jjj,"axG",@progbits,_ZN7rocprim17ROCPRIM_304000_NS6detail25onesweep_iteration_kernelINS1_34wrapped_radix_sort_onesweep_configINS0_14default_configEdN2at4cuda3cub6detail10OpaqueTypeILi8EEEEELb0EPdSC_PSA_SD_mNS0_19identity_decomposerEEEvT1_T2_T3_T4_jPT5_SK_PNS1_23onesweep_lookback_stateET6_jjj,comdat
.Lfunc_end157:
	.size	_ZN7rocprim17ROCPRIM_304000_NS6detail25onesweep_iteration_kernelINS1_34wrapped_radix_sort_onesweep_configINS0_14default_configEdN2at4cuda3cub6detail10OpaqueTypeILi8EEEEELb0EPdSC_PSA_SD_mNS0_19identity_decomposerEEEvT1_T2_T3_T4_jPT5_SK_PNS1_23onesweep_lookback_stateET6_jjj, .Lfunc_end157-_ZN7rocprim17ROCPRIM_304000_NS6detail25onesweep_iteration_kernelINS1_34wrapped_radix_sort_onesweep_configINS0_14default_configEdN2at4cuda3cub6detail10OpaqueTypeILi8EEEEELb0EPdSC_PSA_SD_mNS0_19identity_decomposerEEEvT1_T2_T3_T4_jPT5_SK_PNS1_23onesweep_lookback_stateET6_jjj
                                        ; -- End function
	.set _ZN7rocprim17ROCPRIM_304000_NS6detail25onesweep_iteration_kernelINS1_34wrapped_radix_sort_onesweep_configINS0_14default_configEdN2at4cuda3cub6detail10OpaqueTypeILi8EEEEELb0EPdSC_PSA_SD_mNS0_19identity_decomposerEEEvT1_T2_T3_T4_jPT5_SK_PNS1_23onesweep_lookback_stateET6_jjj.num_vgpr, 48
	.set _ZN7rocprim17ROCPRIM_304000_NS6detail25onesweep_iteration_kernelINS1_34wrapped_radix_sort_onesweep_configINS0_14default_configEdN2at4cuda3cub6detail10OpaqueTypeILi8EEEEELb0EPdSC_PSA_SD_mNS0_19identity_decomposerEEEvT1_T2_T3_T4_jPT5_SK_PNS1_23onesweep_lookback_stateET6_jjj.num_agpr, 0
	.set _ZN7rocprim17ROCPRIM_304000_NS6detail25onesweep_iteration_kernelINS1_34wrapped_radix_sort_onesweep_configINS0_14default_configEdN2at4cuda3cub6detail10OpaqueTypeILi8EEEEELb0EPdSC_PSA_SD_mNS0_19identity_decomposerEEEvT1_T2_T3_T4_jPT5_SK_PNS1_23onesweep_lookback_stateET6_jjj.numbered_sgpr, 54
	.set _ZN7rocprim17ROCPRIM_304000_NS6detail25onesweep_iteration_kernelINS1_34wrapped_radix_sort_onesweep_configINS0_14default_configEdN2at4cuda3cub6detail10OpaqueTypeILi8EEEEELb0EPdSC_PSA_SD_mNS0_19identity_decomposerEEEvT1_T2_T3_T4_jPT5_SK_PNS1_23onesweep_lookback_stateET6_jjj.num_named_barrier, 0
	.set _ZN7rocprim17ROCPRIM_304000_NS6detail25onesweep_iteration_kernelINS1_34wrapped_radix_sort_onesweep_configINS0_14default_configEdN2at4cuda3cub6detail10OpaqueTypeILi8EEEEELb0EPdSC_PSA_SD_mNS0_19identity_decomposerEEEvT1_T2_T3_T4_jPT5_SK_PNS1_23onesweep_lookback_stateET6_jjj.private_seg_size, 0
	.set _ZN7rocprim17ROCPRIM_304000_NS6detail25onesweep_iteration_kernelINS1_34wrapped_radix_sort_onesweep_configINS0_14default_configEdN2at4cuda3cub6detail10OpaqueTypeILi8EEEEELb0EPdSC_PSA_SD_mNS0_19identity_decomposerEEEvT1_T2_T3_T4_jPT5_SK_PNS1_23onesweep_lookback_stateET6_jjj.uses_vcc, 1
	.set _ZN7rocprim17ROCPRIM_304000_NS6detail25onesweep_iteration_kernelINS1_34wrapped_radix_sort_onesweep_configINS0_14default_configEdN2at4cuda3cub6detail10OpaqueTypeILi8EEEEELb0EPdSC_PSA_SD_mNS0_19identity_decomposerEEEvT1_T2_T3_T4_jPT5_SK_PNS1_23onesweep_lookback_stateET6_jjj.uses_flat_scratch, 0
	.set _ZN7rocprim17ROCPRIM_304000_NS6detail25onesweep_iteration_kernelINS1_34wrapped_radix_sort_onesweep_configINS0_14default_configEdN2at4cuda3cub6detail10OpaqueTypeILi8EEEEELb0EPdSC_PSA_SD_mNS0_19identity_decomposerEEEvT1_T2_T3_T4_jPT5_SK_PNS1_23onesweep_lookback_stateET6_jjj.has_dyn_sized_stack, 0
	.set _ZN7rocprim17ROCPRIM_304000_NS6detail25onesweep_iteration_kernelINS1_34wrapped_radix_sort_onesweep_configINS0_14default_configEdN2at4cuda3cub6detail10OpaqueTypeILi8EEEEELb0EPdSC_PSA_SD_mNS0_19identity_decomposerEEEvT1_T2_T3_T4_jPT5_SK_PNS1_23onesweep_lookback_stateET6_jjj.has_recursion, 0
	.set _ZN7rocprim17ROCPRIM_304000_NS6detail25onesweep_iteration_kernelINS1_34wrapped_radix_sort_onesweep_configINS0_14default_configEdN2at4cuda3cub6detail10OpaqueTypeILi8EEEEELb0EPdSC_PSA_SD_mNS0_19identity_decomposerEEEvT1_T2_T3_T4_jPT5_SK_PNS1_23onesweep_lookback_stateET6_jjj.has_indirect_call, 0
	.section	.AMDGPU.csdata,"",@progbits
; Kernel info:
; codeLenInByte = 12496
; TotalNumSgprs: 60
; NumVgprs: 48
; NumAgprs: 0
; TotalNumVgprs: 48
; ScratchSize: 0
; MemoryBound: 0
; FloatMode: 240
; IeeeMode: 1
; LDSByteSize: 51200 bytes/workgroup (compile time only)
; SGPRBlocks: 7
; VGPRBlocks: 5
; NumSGPRsForWavesPerEU: 60
; NumVGPRsForWavesPerEU: 48
; AccumOffset: 48
; Occupancy: 8
; WaveLimiterHint : 1
; COMPUTE_PGM_RSRC2:SCRATCH_EN: 0
; COMPUTE_PGM_RSRC2:USER_SGPR: 2
; COMPUTE_PGM_RSRC2:TRAP_HANDLER: 0
; COMPUTE_PGM_RSRC2:TGID_X_EN: 1
; COMPUTE_PGM_RSRC2:TGID_Y_EN: 0
; COMPUTE_PGM_RSRC2:TGID_Z_EN: 0
; COMPUTE_PGM_RSRC2:TIDIG_COMP_CNT: 2
; COMPUTE_PGM_RSRC3_GFX90A:ACCUM_OFFSET: 11
; COMPUTE_PGM_RSRC3_GFX90A:TG_SPLIT: 0
	.section	.text._ZN7rocprim17ROCPRIM_304000_NS6detail28radix_sort_block_sort_kernelINS1_36wrapped_radix_sort_block_sort_configINS0_13kernel_configILj256ELj4ELj4294967295EEEbN2at4cuda3cub6detail10OpaqueTypeILi8EEEEELb1EPKbPbPKSB_PSB_NS0_19identity_decomposerEEEvT1_T2_T3_T4_jT5_jj,"axG",@progbits,_ZN7rocprim17ROCPRIM_304000_NS6detail28radix_sort_block_sort_kernelINS1_36wrapped_radix_sort_block_sort_configINS0_13kernel_configILj256ELj4ELj4294967295EEEbN2at4cuda3cub6detail10OpaqueTypeILi8EEEEELb1EPKbPbPKSB_PSB_NS0_19identity_decomposerEEEvT1_T2_T3_T4_jT5_jj,comdat
	.protected	_ZN7rocprim17ROCPRIM_304000_NS6detail28radix_sort_block_sort_kernelINS1_36wrapped_radix_sort_block_sort_configINS0_13kernel_configILj256ELj4ELj4294967295EEEbN2at4cuda3cub6detail10OpaqueTypeILi8EEEEELb1EPKbPbPKSB_PSB_NS0_19identity_decomposerEEEvT1_T2_T3_T4_jT5_jj ; -- Begin function _ZN7rocprim17ROCPRIM_304000_NS6detail28radix_sort_block_sort_kernelINS1_36wrapped_radix_sort_block_sort_configINS0_13kernel_configILj256ELj4ELj4294967295EEEbN2at4cuda3cub6detail10OpaqueTypeILi8EEEEELb1EPKbPbPKSB_PSB_NS0_19identity_decomposerEEEvT1_T2_T3_T4_jT5_jj
	.globl	_ZN7rocprim17ROCPRIM_304000_NS6detail28radix_sort_block_sort_kernelINS1_36wrapped_radix_sort_block_sort_configINS0_13kernel_configILj256ELj4ELj4294967295EEEbN2at4cuda3cub6detail10OpaqueTypeILi8EEEEELb1EPKbPbPKSB_PSB_NS0_19identity_decomposerEEEvT1_T2_T3_T4_jT5_jj
	.p2align	8
	.type	_ZN7rocprim17ROCPRIM_304000_NS6detail28radix_sort_block_sort_kernelINS1_36wrapped_radix_sort_block_sort_configINS0_13kernel_configILj256ELj4ELj4294967295EEEbN2at4cuda3cub6detail10OpaqueTypeILi8EEEEELb1EPKbPbPKSB_PSB_NS0_19identity_decomposerEEEvT1_T2_T3_T4_jT5_jj,@function
_ZN7rocprim17ROCPRIM_304000_NS6detail28radix_sort_block_sort_kernelINS1_36wrapped_radix_sort_block_sort_configINS0_13kernel_configILj256ELj4ELj4294967295EEEbN2at4cuda3cub6detail10OpaqueTypeILi8EEEEELb1EPKbPbPKSB_PSB_NS0_19identity_decomposerEEEvT1_T2_T3_T4_jT5_jj: ; @_ZN7rocprim17ROCPRIM_304000_NS6detail28radix_sort_block_sort_kernelINS1_36wrapped_radix_sort_block_sort_configINS0_13kernel_configILj256ELj4ELj4294967295EEEbN2at4cuda3cub6detail10OpaqueTypeILi8EEEEELb1EPKbPbPKSB_PSB_NS0_19identity_decomposerEEEvT1_T2_T3_T4_jT5_jj
; %bb.0:
	s_load_dword s4, s[0:1], 0x20
	s_load_dwordx8 s[36:43], s[0:1], 0x0
	s_lshl_b32 s28, s2, 10
	v_and_b32_e32 v8, 0x3ff, v0
	v_mbcnt_lo_u32_b32 v1, -1, 0
	s_waitcnt lgkmcnt(0)
	s_lshr_b32 s3, s4, 10
	s_cmp_lg_u32 s2, s3
	s_cselect_b64 s[30:31], -1, 0
	s_add_u32 s6, s36, s28
	s_addc_u32 s7, s37, 0
	v_mbcnt_hi_u32_b32 v2, -1, v1
	v_lshlrev_b32_e32 v1, 2, v8
	v_mov_b32_e32 v3, 0
	v_and_b32_e32 v12, 0x300, v1
	v_lshl_add_u64 v[4:5], s[6:7], 0, v[2:3]
	v_mov_b32_e32 v13, v3
	s_mov_b32 s29, 0
	s_cmp_eq_u32 s2, s3
	v_lshl_add_u64 v[10:11], v[4:5], 0, v[12:13]
	v_lshlrev_b32_e32 v6, 3, v2
	v_lshlrev_b32_e32 v4, 3, v12
	v_add_u32_e32 v17, v2, v12
	s_cbranch_scc1 .LBB158_2
; %bb.1:
	s_lshl_b64 s[2:3], s[28:29], 3
	s_add_u32 s2, s40, s2
	s_addc_u32 s3, s41, s3
	v_mov_b32_e32 v7, v3
	v_lshl_add_u64 v[18:19], s[2:3], 0, v[6:7]
	v_mov_b32_e32 v5, v3
	v_lshl_add_u64 v[18:19], v[18:19], 0, v[4:5]
	global_load_ubyte v16, v[10:11], off offset:192
	global_load_ubyte v14, v[10:11], off offset:128
	;; [unrolled: 1-line block ×3, first 2 shown]
	global_load_ubyte v13, v[10:11], off
	global_load_dwordx2 v[38:39], v[18:19], off
	global_load_dwordx2 v[40:41], v[18:19], off offset:512
	global_load_dwordx2 v[42:43], v[18:19], off offset:1024
	;; [unrolled: 1-line block ×3, first 2 shown]
	v_add_u32_e32 v22, v2, v12
	v_add_u32_e32 v9, 64, v22
	;; [unrolled: 1-line block ×4, first 2 shown]
	s_sub_i32 s33, s4, s28
	s_cbranch_execz .LBB158_3
	s_branch .LBB158_17
.LBB158_2:
                                        ; implicit-def: $vgpr13
                                        ; implicit-def: $vgpr15
                                        ; implicit-def: $vgpr14
                                        ; implicit-def: $vgpr16
                                        ; implicit-def: $vgpr38_vgpr39
                                        ; implicit-def: $vgpr40_vgpr41
                                        ; implicit-def: $vgpr42_vgpr43
                                        ; implicit-def: $vgpr44_vgpr45
                                        ; implicit-def: $vgpr22
                                        ; implicit-def: $vgpr9
                                        ; implicit-def: $vgpr20
                                        ; implicit-def: $vgpr21
	s_sub_i32 s33, s4, s28
.LBB158_3:
	v_cmp_gt_u32_e32 vcc, s33, v17
	s_waitcnt vmcnt(6)
	v_mov_b32_e32 v14, 0
	s_waitcnt vmcnt(4)
	v_mov_b32_e32 v13, 0
	v_mov_b32_e32 v16, 0
	s_and_saveexec_b64 s[2:3], vcc
	s_cbranch_execz .LBB158_5
; %bb.4:
	global_load_ubyte v13, v[10:11], off
	v_mov_b32_e32 v16, 0
.LBB158_5:
	s_or_b64 exec, exec, s[2:3]
	v_add_u32_e32 v9, 64, v17
	v_cmp_gt_u32_e64 s[2:3], s33, v9
	v_mov_b32_e32 v15, v14
	s_and_saveexec_b64 s[4:5], s[2:3]
	s_cbranch_execz .LBB158_7
; %bb.6:
	global_load_ubyte v15, v[10:11], off offset:64
.LBB158_7:
	s_or_b64 exec, exec, s[4:5]
	v_add_u32_e32 v20, 0x80, v17
	v_cmp_gt_u32_e64 s[4:5], s33, v20
	s_and_saveexec_b64 s[6:7], s[4:5]
	s_cbranch_execz .LBB158_9
; %bb.8:
	global_load_ubyte v14, v[10:11], off offset:128
.LBB158_9:
	s_or_b64 exec, exec, s[6:7]
	v_add_u32_e32 v21, 0xc0, v17
	v_cmp_gt_u32_e64 s[6:7], s33, v21
	s_and_saveexec_b64 s[8:9], s[6:7]
	s_cbranch_execz .LBB158_11
; %bb.10:
	global_load_ubyte v16, v[10:11], off offset:192
.LBB158_11:
	s_or_b64 exec, exec, s[8:9]
	s_lshl_b64 s[8:9], s[28:29], 3
	s_add_u32 s8, s40, s8
	s_addc_u32 s9, s41, s9
	v_mov_b32_e32 v7, 0
	v_lshl_add_u64 v[10:11], s[8:9], 0, v[6:7]
	v_mov_b32_e32 v5, v7
	v_lshl_add_u64 v[4:5], v[10:11], 0, v[4:5]
                                        ; implicit-def: $vgpr38_vgpr39
	s_and_saveexec_b64 s[8:9], vcc
	s_cbranch_execnz .LBB158_54
; %bb.12:
	s_or_b64 exec, exec, s[8:9]
                                        ; implicit-def: $vgpr40_vgpr41
	s_and_saveexec_b64 s[8:9], s[2:3]
	s_cbranch_execnz .LBB158_55
.LBB158_13:
	s_or_b64 exec, exec, s[8:9]
                                        ; implicit-def: $vgpr42_vgpr43
	s_and_saveexec_b64 s[2:3], s[4:5]
	s_cbranch_execnz .LBB158_56
.LBB158_14:
	s_or_b64 exec, exec, s[2:3]
                                        ; implicit-def: $vgpr44_vgpr45
	s_and_saveexec_b64 s[2:3], s[6:7]
	s_cbranch_execz .LBB158_16
.LBB158_15:
	global_load_dwordx2 v[44:45], v[4:5], off offset:1536
.LBB158_16:
	s_or_b64 exec, exec, s[2:3]
	v_mov_b32_e32 v22, v17
.LBB158_17:
	s_waitcnt vmcnt(0)
	v_and_b32_e32 v3, 1, v16
	v_and_b32_e32 v4, 1, v14
	v_cmp_eq_u32_e32 vcc, 1, v3
	v_and_b32_e32 v3, 1, v15
	s_load_dwordx2 s[34:35], s[0:1], 0x28
	s_load_dword s6, s[0:1], 0x3c
	v_cmp_eq_u32_e64 s[0:1], 1, v4
	v_cmp_eq_u32_e64 s[2:3], 1, v3
	v_and_b32_e32 v3, 1, v13
	v_cmp_eq_u32_e64 s[4:5], 1, v3
	s_xor_b64 s[2:3], s[2:3], -1
	s_xor_b64 s[0:1], s[0:1], -1
	;; [unrolled: 1-line block ×3, first 2 shown]
	v_cndmask_b32_e64 v4, 0, 1, s[2:3]
	v_cndmask_b32_e64 v5, 0, 1, s[0:1]
	s_xor_b64 s[0:1], vcc, -1
	v_cndmask_b32_e64 v3, 0, 1, s[4:5]
	v_cndmask_b32_e64 v6, 0, 1, s[0:1]
	v_lshlrev_b16_e32 v4, 8, v4
	v_or_b32_e32 v3, v3, v4
	v_lshlrev_b16_e32 v4, 8, v6
	v_or_b32_sdwa v4, v5, v4 dst_sel:WORD_1 dst_unused:UNUSED_PAD src0_sel:DWORD src1_sel:DWORD
	s_waitcnt lgkmcnt(0)
	s_lshr_b32 s0, s6, 16
	v_or_b32_sdwa v25, v3, v4 dst_sel:DWORD dst_unused:UNUSED_PAD src0_sel:WORD_0 src1_sel:DWORD
	v_bfe_u32 v3, v0, 10, 10
	v_bfe_u32 v0, v0, 20, 10
	s_and_b32 s1, s6, 0xffff
	v_mad_u32_u24 v0, v0, s0, v3
	v_mad_u64_u32 v[4:5], s[0:1], v0, s1, v[8:9]
	v_lshrrev_b32_e32 v0, 4, v4
	v_and_b32_e32 v24, 0xffffffc, v0
	v_and_b32_e32 v0, 15, v2
	v_cmp_eq_u32_e64 s[0:1], 0, v0
	v_cmp_lt_u32_e64 s[2:3], 1, v0
	v_cmp_lt_u32_e64 s[4:5], 3, v0
	;; [unrolled: 1-line block ×3, first 2 shown]
	v_and_b32_e32 v0, 16, v2
	v_cmp_eq_u32_e64 s[8:9], 0, v0
	v_and_b32_e32 v0, 0x3c0, v8
	v_min_u32_e32 v0, 0xc0, v0
	v_or_b32_e32 v0, 63, v0
	v_lshlrev_b32_e32 v23, 2, v1
	v_cmp_eq_u32_e64 s[12:13], v8, v0
	v_subrev_co_u32_e64 v0, s[18:19], 1, v2
	v_and_b32_e32 v1, 64, v2
	v_cmp_lt_i32_e32 vcc, v0, v1
	s_mov_b32 s26, 0
	v_and_b32_e32 v1, 3, v2
	v_cndmask_b32_e32 v0, v0, v2, vcc
	v_lshlrev_b32_e32 v26, 2, v0
	v_lshrrev_b32_e32 v0, 4, v8
	v_cmp_lt_u32_e64 s[10:11], 31, v2
	v_and_b32_e32 v27, 60, v0
	v_mul_i32_i24_e32 v0, -12, v8
	v_cmp_eq_u32_e64 s[22:23], 0, v1
	v_cmp_lt_u32_e64 s[24:25], 1, v1
	v_mul_lo_u32 v1, v22, 7
	v_mul_lo_u32 v2, v9, 7
	;; [unrolled: 1-line block ×4, first 2 shown]
	s_mov_b32 s27, s26
	s_mov_b32 s40, s26
	;; [unrolled: 1-line block ×3, first 2 shown]
	s_add_i32 s36, s35, s34
	v_cmp_gt_u32_e64 s[14:15], 4, v8
	v_cmp_lt_u32_e64 s[16:17], 63, v8
	v_cmp_eq_u32_e64 s[20:21], 0, v8
	v_add_u32_e32 v28, -4, v27
	v_mov_b64_e32 v[14:15], s[26:27]
	v_mov_b64_e32 v[16:17], s[40:41]
	v_mov_b32_e32 v19, 0
	v_add_u32_e32 v29, v23, v0
	s_mov_b32 s37, 0xc0c0004
	v_add_u32_e32 v30, v22, v1
	v_add_u32_e32 v31, v9, v2
	;; [unrolled: 1-line block ×4, first 2 shown]
	s_branch .LBB158_19
.LBB158_18:                             ;   in Loop: Header=BB158_19 Depth=1
	s_andn2_b64 vcc, exec, s[26:27]
	s_mov_b32 s35, s40
	s_cbranch_vccz .LBB158_35
.LBB158_19:                             ; =>This Inner Loop Header: Depth=1
	s_min_u32 s26, s35, 8
	s_lshl_b32 s40, -1, s26
	v_lshrrev_b32_sdwa v0, s34, v25 dst_sel:DWORD dst_unused:UNUSED_PAD src0_sel:DWORD src1_sel:BYTE_0
	v_bitop3_b32 v18, v0, s40, v0 bitop3:0x30
	v_cmp_ne_u32_e32 vcc, 0, v18
	v_lshl_add_u64 v[0:1], v[18:19], 0, -1
	v_lshlrev_b32_e32 v2, 4, v18
	v_xor_b32_e32 v0, vcc_lo, v0
	v_xor_b32_e32 v1, vcc_hi, v1
	v_and_b32_e32 v0, exec_lo, v0
	v_and_b32_e32 v1, exec_hi, v1
	v_mbcnt_lo_u32_b32 v3, v0, 0
	v_mbcnt_hi_u32_b32 v34, v1, v3
	v_cmp_eq_u32_e32 vcc, 0, v34
	v_cmp_ne_u64_e64 s[26:27], 0, v[0:1]
	v_mov_b64_e32 v[12:13], v[38:39]
	v_mov_b64_e32 v[10:11], v[40:41]
	;; [unrolled: 1-line block ×4, first 2 shown]
	s_and_b64 s[44:45], s[26:27], vcc
	v_add_u32_e32 v36, v24, v2
	ds_write2_b64 v23, v[14:15], v[16:17] offset0:2 offset1:3
	s_waitcnt lgkmcnt(0)
	s_barrier
	; wave barrier
	s_and_saveexec_b64 s[26:27], s[44:45]
; %bb.20:                               ;   in Loop: Header=BB158_19 Depth=1
	v_bcnt_u32_b32 v0, v0, 0
	v_bcnt_u32_b32 v0, v1, v0
	ds_write_b32 v36, v0 offset:16
; %bb.21:                               ;   in Loop: Header=BB158_19 Depth=1
	s_or_b64 exec, exec, s[26:27]
	s_not_b32 s40, s40
	v_lshrrev_b32_sdwa v0, s34, v25 dst_sel:DWORD dst_unused:UNUSED_PAD src0_sel:DWORD src1_sel:BYTE_1
	v_and_b32_e32 v18, s40, v0
	v_lshlrev_b32_e32 v0, 4, v18
	v_add_u32_e32 v38, v24, v0
	v_cmp_ne_u32_e32 vcc, 0, v18
	v_lshl_add_u64 v[0:1], v[18:19], 0, -1
	s_nop 0
	v_xor_b32_e32 v0, vcc_lo, v0
	; wave barrier
	ds_read_b32 v37, v38 offset:16
	v_xor_b32_e32 v1, vcc_hi, v1
	v_and_b32_e32 v0, exec_lo, v0
	v_and_b32_e32 v1, exec_hi, v1
	v_mbcnt_lo_u32_b32 v2, v0, 0
	v_mbcnt_hi_u32_b32 v39, v1, v2
	v_cmp_eq_u32_e32 vcc, 0, v39
	v_cmp_ne_u64_e64 s[26:27], 0, v[0:1]
	s_and_b64 s[44:45], s[26:27], vcc
	; wave barrier
	s_and_saveexec_b64 s[26:27], s[44:45]
	s_cbranch_execz .LBB158_23
; %bb.22:                               ;   in Loop: Header=BB158_19 Depth=1
	v_bcnt_u32_b32 v0, v0, 0
	v_bcnt_u32_b32 v0, v1, v0
	s_waitcnt lgkmcnt(0)
	v_add_u32_e32 v0, v37, v0
	ds_write_b32 v38, v0 offset:16
.LBB158_23:                             ;   in Loop: Header=BB158_19 Depth=1
	s_or_b64 exec, exec, s[26:27]
	v_lshrrev_b32_sdwa v0, s34, v25 dst_sel:DWORD dst_unused:UNUSED_PAD src0_sel:DWORD src1_sel:BYTE_2
	v_and_b32_e32 v18, s40, v0
	v_lshlrev_b32_e32 v0, 4, v18
	v_add_u32_e32 v41, v24, v0
	v_cmp_ne_u32_e32 vcc, 0, v18
	v_lshl_add_u64 v[0:1], v[18:19], 0, -1
	s_nop 0
	v_xor_b32_e32 v0, vcc_lo, v0
	; wave barrier
	ds_read_b32 v40, v41 offset:16
	v_xor_b32_e32 v1, vcc_hi, v1
	v_and_b32_e32 v0, exec_lo, v0
	v_and_b32_e32 v1, exec_hi, v1
	v_mbcnt_lo_u32_b32 v2, v0, 0
	v_mbcnt_hi_u32_b32 v42, v1, v2
	v_cmp_eq_u32_e32 vcc, 0, v42
	v_cmp_ne_u64_e64 s[26:27], 0, v[0:1]
	s_and_b64 s[44:45], s[26:27], vcc
	; wave barrier
	s_and_saveexec_b64 s[26:27], s[44:45]
	s_cbranch_execz .LBB158_25
; %bb.24:                               ;   in Loop: Header=BB158_19 Depth=1
	v_bcnt_u32_b32 v0, v0, 0
	v_bcnt_u32_b32 v0, v1, v0
	s_waitcnt lgkmcnt(0)
	v_add_u32_e32 v0, v40, v0
	ds_write_b32 v41, v0 offset:16
.LBB158_25:                             ;   in Loop: Header=BB158_19 Depth=1
	s_or_b64 exec, exec, s[26:27]
	v_lshrrev_b32_e32 v35, 24, v25
	v_lshrrev_b32_e32 v0, s34, v35
	v_and_b32_e32 v18, s40, v0
	v_lshlrev_b32_e32 v0, 4, v18
	v_add_u32_e32 v44, v24, v0
	v_cmp_ne_u32_e32 vcc, 0, v18
	v_lshl_add_u64 v[0:1], v[18:19], 0, -1
	s_nop 0
	v_xor_b32_e32 v0, vcc_lo, v0
	; wave barrier
	ds_read_b32 v43, v44 offset:16
	v_xor_b32_e32 v1, vcc_hi, v1
	v_and_b32_e32 v0, exec_lo, v0
	v_and_b32_e32 v1, exec_hi, v1
	v_mbcnt_lo_u32_b32 v2, v0, 0
	v_mbcnt_hi_u32_b32 v45, v1, v2
	v_cmp_eq_u32_e32 vcc, 0, v45
	v_cmp_ne_u64_e64 s[26:27], 0, v[0:1]
	s_and_b64 s[40:41], s[26:27], vcc
	; wave barrier
	s_and_saveexec_b64 s[26:27], s[40:41]
	s_cbranch_execz .LBB158_27
; %bb.26:                               ;   in Loop: Header=BB158_19 Depth=1
	v_bcnt_u32_b32 v0, v0, 0
	v_bcnt_u32_b32 v0, v1, v0
	s_waitcnt lgkmcnt(0)
	v_add_u32_e32 v0, v43, v0
	ds_write_b32 v44, v0 offset:16
.LBB158_27:                             ;   in Loop: Header=BB158_19 Depth=1
	s_or_b64 exec, exec, s[26:27]
	; wave barrier
	s_waitcnt lgkmcnt(0)
	s_barrier
	ds_read2_b64 v[0:3], v23 offset0:2 offset1:3
	s_waitcnt lgkmcnt(0)
	v_add_u32_e32 v18, v1, v0
	v_add3_u32 v3, v18, v2, v3
	s_nop 1
	v_mov_b32_dpp v18, v3 row_shr:1 row_mask:0xf bank_mask:0xf
	v_cndmask_b32_e64 v18, v18, 0, s[0:1]
	v_add_u32_e32 v3, v18, v3
	s_nop 1
	v_mov_b32_dpp v18, v3 row_shr:2 row_mask:0xf bank_mask:0xf
	v_cndmask_b32_e64 v18, 0, v18, s[2:3]
	v_add_u32_e32 v3, v3, v18
	;; [unrolled: 4-line block ×4, first 2 shown]
	s_nop 1
	v_mov_b32_dpp v18, v3 row_bcast:15 row_mask:0xf bank_mask:0xf
	v_cndmask_b32_e64 v18, v18, 0, s[8:9]
	v_add_u32_e32 v3, v3, v18
	s_nop 1
	v_mov_b32_dpp v18, v3 row_bcast:31 row_mask:0xf bank_mask:0xf
	v_cndmask_b32_e64 v18, 0, v18, s[10:11]
	v_add_u32_e32 v3, v3, v18
	s_and_saveexec_b64 s[26:27], s[12:13]
; %bb.28:                               ;   in Loop: Header=BB158_19 Depth=1
	ds_write_b32 v27, v3
; %bb.29:                               ;   in Loop: Header=BB158_19 Depth=1
	s_or_b64 exec, exec, s[26:27]
	s_waitcnt lgkmcnt(0)
	s_barrier
	s_and_saveexec_b64 s[26:27], s[14:15]
	s_cbranch_execz .LBB158_31
; %bb.30:                               ;   in Loop: Header=BB158_19 Depth=1
	ds_read_b32 v18, v29
	s_waitcnt lgkmcnt(0)
	s_nop 0
	v_mov_b32_dpp v46, v18 row_shr:1 row_mask:0xf bank_mask:0xf
	v_cndmask_b32_e64 v46, v46, 0, s[22:23]
	v_add_u32_e32 v18, v46, v18
	s_nop 1
	v_mov_b32_dpp v46, v18 row_shr:2 row_mask:0xf bank_mask:0xf
	v_cndmask_b32_e64 v46, 0, v46, s[24:25]
	v_add_u32_e32 v18, v18, v46
	ds_write_b32 v29, v18
.LBB158_31:                             ;   in Loop: Header=BB158_19 Depth=1
	s_or_b64 exec, exec, s[26:27]
	v_mov_b32_e32 v18, 0
	s_waitcnt lgkmcnt(0)
	s_barrier
	s_and_saveexec_b64 s[26:27], s[16:17]
; %bb.32:                               ;   in Loop: Header=BB158_19 Depth=1
	ds_read_b32 v18, v28
; %bb.33:                               ;   in Loop: Header=BB158_19 Depth=1
	s_or_b64 exec, exec, s[26:27]
	s_waitcnt lgkmcnt(0)
	v_add_u32_e32 v3, v18, v3
	ds_bpermute_b32 v47, v26, v3
	s_add_i32 s34, s34, 8
	v_mov_b32_e32 v3, v25
	v_lshrrev_b32_e32 v46, 8, v25
	s_cmp_ge_u32 s34, s36
	s_waitcnt lgkmcnt(0)
	v_cndmask_b32_e64 v18, v47, v18, s[18:19]
	v_cndmask_b32_e64 v48, v18, 0, s[20:21]
	v_add_u32_e32 v49, v48, v0
	v_add_u32_e32 v0, v49, v1
	;; [unrolled: 1-line block ×3, first 2 shown]
	ds_write2_b64 v23, v[48:49], v[0:1] offset0:2 offset1:3
	s_waitcnt lgkmcnt(0)
	s_barrier
	ds_read_b32 v0, v36 offset:16
	ds_read_b32 v2, v38 offset:16
	;; [unrolled: 1-line block ×4, first 2 shown]
	v_lshrrev_b32_e32 v36, 16, v25
	s_waitcnt lgkmcnt(3)
	v_add_u32_e32 v1, v0, v34
	s_waitcnt lgkmcnt(2)
	v_add3_u32 v18, v39, v37, v2
	s_waitcnt lgkmcnt(1)
	v_add3_u32 v2, v42, v40, v38
	;; [unrolled: 2-line block ×3, first 2 shown]
	v_mul_lo_u32 v34, v1, 7
	s_mov_b64 s[26:27], -1
	v_readfirstlane_b32 s40, v0
                                        ; implicit-def: $vgpr38_vgpr39
                                        ; implicit-def: $vgpr40_vgpr41
                                        ; implicit-def: $vgpr42_vgpr43
                                        ; implicit-def: $vgpr44_vgpr45
	s_cbranch_scc1 .LBB158_18
; %bb.34:                               ;   in Loop: Header=BB158_19 Depth=1
	s_barrier
	ds_write_b8 v1, v25
	ds_write_b8 v18, v46
	;; [unrolled: 1-line block ×4, first 2 shown]
	s_waitcnt lgkmcnt(0)
	s_barrier
	ds_read_u8 v25, v9
	ds_read_u8 v37, v20
	;; [unrolled: 1-line block ×4, first 2 shown]
	s_waitcnt lgkmcnt(0)
	s_barrier
	v_perm_b32 v25, v38, v25, s37
	v_perm_b32 v37, v37, v39, s37
	v_lshl_or_b32 v25, v37, 16, v25
	v_add_u32_e32 v37, v1, v34
	v_mad_u64_u32 v[38:39], s[26:27], v18, 7, v[18:19]
	ds_write_b64 v37, v[12:13]
	ds_write_b64 v38, v[10:11]
	v_mad_u64_u32 v[38:39], s[26:27], v2, 7, v[2:3]
	ds_write_b64 v38, v[6:7]
	v_mad_u64_u32 v[38:39], s[26:27], v0, 7, v[0:1]
	ds_write_b64 v38, v[4:5]
	s_waitcnt lgkmcnt(0)
	s_barrier
	ds_read_b64 v[38:39], v30
	ds_read_b64 v[40:41], v31
	;; [unrolled: 1-line block ×4, first 2 shown]
	s_add_i32 s40, s35, -8
	s_mov_b64 s[26:27], 0
	s_waitcnt lgkmcnt(0)
	s_barrier
	s_branch .LBB158_18
.LBB158_35:
	s_barrier
	ds_write_b8 v1, v3
	ds_write_b8 v18, v46
	;; [unrolled: 1-line block ×4, first 2 shown]
	s_waitcnt lgkmcnt(0)
	s_barrier
	ds_read_u8 v9, v8
	ds_read_u8 v14, v8 offset:256
	ds_read_u8 v15, v8 offset:512
	;; [unrolled: 1-line block ×3, first 2 shown]
	v_add_u32_e32 v1, v1, v34
	s_waitcnt lgkmcnt(0)
	s_barrier
	ds_write_b64 v1, v[12:13]
	v_mad_u64_u32 v[12:13], s[0:1], v18, 7, v[18:19]
	v_mad_u64_u32 v[2:3], s[0:1], v2, 7, v[2:3]
	;; [unrolled: 1-line block ×3, first 2 shown]
	ds_write_b64 v12, v[10:11]
	ds_write_b64 v2, v[6:7]
	;; [unrolled: 1-line block ×3, first 2 shown]
	v_mad_u32_u24 v0, v8, 7, v8
	s_waitcnt lgkmcnt(0)
	s_barrier
	ds_read2st64_b64 v[4:7], v0 offset1:4
	ds_read2st64_b64 v[0:3], v0 offset0:8 offset1:12
	s_add_u32 s0, s38, s28
	v_xor_b32_e32 v17, 1, v9
	s_addc_u32 s1, s39, 0
	v_mov_b32_e32 v9, 0
	v_xor_b32_e32 v16, 1, v14
	v_xor_b32_e32 v15, 1, v15
	;; [unrolled: 1-line block ×3, first 2 shown]
	v_lshl_add_u64 v[12:13], s[0:1], 0, v[8:9]
	s_andn2_b64 vcc, exec, s[30:31]
	v_lshlrev_b32_e32 v10, 3, v8
	s_cbranch_vccnz .LBB158_37
; %bb.36:
	s_lshl_b64 s[0:1], s[28:29], 3
	s_add_u32 s0, s42, s0
	s_addc_u32 s1, s43, s1
	v_mov_b32_e32 v11, v9
	v_lshl_add_u64 v[18:19], s[0:1], 0, v[10:11]
	v_add_co_u32_e32 v18, vcc, 0x1000, v18
	global_store_byte v[12:13], v17, off
	global_store_byte v[12:13], v16, off offset:256
	global_store_byte v[12:13], v15, off offset:512
	;; [unrolled: 1-line block ×3, first 2 shown]
	s_waitcnt lgkmcnt(1)
	global_store_dwordx2 v10, v[4:5], s[0:1]
	global_store_dwordx2 v10, v[6:7], s[0:1] offset:2048
	v_addc_co_u32_e32 v19, vcc, 0, v19, vcc
	s_mov_b64 s[4:5], -1
	s_waitcnt lgkmcnt(0)
	global_store_dwordx2 v[18:19], v[0:1], off
	s_cbranch_execz .LBB158_38
	s_branch .LBB158_51
.LBB158_37:
	s_mov_b64 s[4:5], 0
.LBB158_38:
	v_cmp_gt_u32_e32 vcc, s33, v8
	s_and_saveexec_b64 s[0:1], vcc
	s_cbranch_execz .LBB158_40
; %bb.39:
	global_store_byte v[12:13], v17, off
.LBB158_40:
	s_or_b64 exec, exec, s[0:1]
	v_add_u32_e32 v9, 0x100, v8
	v_cmp_gt_u32_e64 s[0:1], s33, v9
	s_and_saveexec_b64 s[2:3], s[0:1]
	s_cbranch_execz .LBB158_42
; %bb.41:
	global_store_byte v[12:13], v16, off offset:256
.LBB158_42:
	s_or_b64 exec, exec, s[2:3]
	v_add_u32_e32 v9, 0x200, v8
	v_cmp_gt_u32_e64 s[2:3], s33, v9
	s_and_saveexec_b64 s[4:5], s[2:3]
	s_cbranch_execz .LBB158_44
; %bb.43:
	global_store_byte v[12:13], v15, off offset:512
.LBB158_44:
	;; [unrolled: 8-line block ×3, first 2 shown]
	s_or_b64 exec, exec, s[6:7]
	s_lshl_b64 s[6:7], s[28:29], 3
	s_add_u32 s6, s42, s6
	s_addc_u32 s7, s43, s7
	v_mov_b32_e32 v11, 0
	v_lshl_add_u64 v[8:9], s[6:7], 0, v[10:11]
	s_and_saveexec_b64 s[6:7], vcc
	s_cbranch_execnz .LBB158_57
; %bb.47:
	s_or_b64 exec, exec, s[6:7]
	s_and_saveexec_b64 s[6:7], s[0:1]
	s_cbranch_execnz .LBB158_58
.LBB158_48:
	s_or_b64 exec, exec, s[6:7]
	s_and_saveexec_b64 s[0:1], s[2:3]
	s_cbranch_execz .LBB158_50
.LBB158_49:
	s_waitcnt lgkmcnt(1)
	v_add_co_u32_e32 v4, vcc, 0x1000, v8
	s_nop 1
	v_addc_co_u32_e32 v5, vcc, 0, v9, vcc
	s_waitcnt lgkmcnt(0)
	global_store_dwordx2 v[4:5], v[0:1], off
.LBB158_50:
	s_or_b64 exec, exec, s[0:1]
.LBB158_51:
	s_and_saveexec_b64 s[0:1], s[4:5]
	s_cbranch_execnz .LBB158_53
; %bb.52:
	s_endpgm
.LBB158_53:
	s_lshl_b64 s[0:1], s[28:29], 3
	s_add_u32 s0, s42, s0
	s_addc_u32 s1, s43, s1
	v_mov_b32_e32 v11, 0
	s_waitcnt lgkmcnt(0)
	v_lshl_add_u64 v[0:1], s[0:1], 0, v[10:11]
	v_add_co_u32_e32 v0, vcc, 0x1000, v0
	s_nop 1
	v_addc_co_u32_e32 v1, vcc, 0, v1, vcc
	global_store_dwordx2 v[0:1], v[2:3], off offset:2048
	s_endpgm
.LBB158_54:
	global_load_dwordx2 v[38:39], v[4:5], off
	s_or_b64 exec, exec, s[8:9]
                                        ; implicit-def: $vgpr40_vgpr41
	s_and_saveexec_b64 s[8:9], s[2:3]
	s_cbranch_execz .LBB158_13
.LBB158_55:
	global_load_dwordx2 v[40:41], v[4:5], off offset:512
	s_or_b64 exec, exec, s[8:9]
                                        ; implicit-def: $vgpr42_vgpr43
	s_and_saveexec_b64 s[2:3], s[4:5]
	s_cbranch_execz .LBB158_14
.LBB158_56:
	global_load_dwordx2 v[42:43], v[4:5], off offset:1024
	s_or_b64 exec, exec, s[2:3]
                                        ; implicit-def: $vgpr44_vgpr45
	s_and_saveexec_b64 s[2:3], s[6:7]
	s_cbranch_execnz .LBB158_15
	s_branch .LBB158_16
.LBB158_57:
	s_waitcnt lgkmcnt(1)
	global_store_dwordx2 v[8:9], v[4:5], off
	s_or_b64 exec, exec, s[6:7]
	s_and_saveexec_b64 s[6:7], s[0:1]
	s_cbranch_execz .LBB158_48
.LBB158_58:
	s_waitcnt lgkmcnt(1)
	global_store_dwordx2 v[8:9], v[6:7], off offset:2048
	s_or_b64 exec, exec, s[6:7]
	s_and_saveexec_b64 s[0:1], s[2:3]
	s_cbranch_execnz .LBB158_49
	s_branch .LBB158_50
	.section	.rodata,"a",@progbits
	.p2align	6, 0x0
	.amdhsa_kernel _ZN7rocprim17ROCPRIM_304000_NS6detail28radix_sort_block_sort_kernelINS1_36wrapped_radix_sort_block_sort_configINS0_13kernel_configILj256ELj4ELj4294967295EEEbN2at4cuda3cub6detail10OpaqueTypeILi8EEEEELb1EPKbPbPKSB_PSB_NS0_19identity_decomposerEEEvT1_T2_T3_T4_jT5_jj
		.amdhsa_group_segment_fixed_size 8192
		.amdhsa_private_segment_fixed_size 0
		.amdhsa_kernarg_size 304
		.amdhsa_user_sgpr_count 2
		.amdhsa_user_sgpr_dispatch_ptr 0
		.amdhsa_user_sgpr_queue_ptr 0
		.amdhsa_user_sgpr_kernarg_segment_ptr 1
		.amdhsa_user_sgpr_dispatch_id 0
		.amdhsa_user_sgpr_kernarg_preload_length 0
		.amdhsa_user_sgpr_kernarg_preload_offset 0
		.amdhsa_user_sgpr_private_segment_size 0
		.amdhsa_uses_dynamic_stack 0
		.amdhsa_enable_private_segment 0
		.amdhsa_system_sgpr_workgroup_id_x 1
		.amdhsa_system_sgpr_workgroup_id_y 0
		.amdhsa_system_sgpr_workgroup_id_z 0
		.amdhsa_system_sgpr_workgroup_info 0
		.amdhsa_system_vgpr_workitem_id 2
		.amdhsa_next_free_vgpr 50
		.amdhsa_next_free_sgpr 46
		.amdhsa_accum_offset 52
		.amdhsa_reserve_vcc 1
		.amdhsa_float_round_mode_32 0
		.amdhsa_float_round_mode_16_64 0
		.amdhsa_float_denorm_mode_32 3
		.amdhsa_float_denorm_mode_16_64 3
		.amdhsa_dx10_clamp 1
		.amdhsa_ieee_mode 1
		.amdhsa_fp16_overflow 0
		.amdhsa_tg_split 0
		.amdhsa_exception_fp_ieee_invalid_op 0
		.amdhsa_exception_fp_denorm_src 0
		.amdhsa_exception_fp_ieee_div_zero 0
		.amdhsa_exception_fp_ieee_overflow 0
		.amdhsa_exception_fp_ieee_underflow 0
		.amdhsa_exception_fp_ieee_inexact 0
		.amdhsa_exception_int_div_zero 0
	.end_amdhsa_kernel
	.section	.text._ZN7rocprim17ROCPRIM_304000_NS6detail28radix_sort_block_sort_kernelINS1_36wrapped_radix_sort_block_sort_configINS0_13kernel_configILj256ELj4ELj4294967295EEEbN2at4cuda3cub6detail10OpaqueTypeILi8EEEEELb1EPKbPbPKSB_PSB_NS0_19identity_decomposerEEEvT1_T2_T3_T4_jT5_jj,"axG",@progbits,_ZN7rocprim17ROCPRIM_304000_NS6detail28radix_sort_block_sort_kernelINS1_36wrapped_radix_sort_block_sort_configINS0_13kernel_configILj256ELj4ELj4294967295EEEbN2at4cuda3cub6detail10OpaqueTypeILi8EEEEELb1EPKbPbPKSB_PSB_NS0_19identity_decomposerEEEvT1_T2_T3_T4_jT5_jj,comdat
.Lfunc_end158:
	.size	_ZN7rocprim17ROCPRIM_304000_NS6detail28radix_sort_block_sort_kernelINS1_36wrapped_radix_sort_block_sort_configINS0_13kernel_configILj256ELj4ELj4294967295EEEbN2at4cuda3cub6detail10OpaqueTypeILi8EEEEELb1EPKbPbPKSB_PSB_NS0_19identity_decomposerEEEvT1_T2_T3_T4_jT5_jj, .Lfunc_end158-_ZN7rocprim17ROCPRIM_304000_NS6detail28radix_sort_block_sort_kernelINS1_36wrapped_radix_sort_block_sort_configINS0_13kernel_configILj256ELj4ELj4294967295EEEbN2at4cuda3cub6detail10OpaqueTypeILi8EEEEELb1EPKbPbPKSB_PSB_NS0_19identity_decomposerEEEvT1_T2_T3_T4_jT5_jj
                                        ; -- End function
	.set _ZN7rocprim17ROCPRIM_304000_NS6detail28radix_sort_block_sort_kernelINS1_36wrapped_radix_sort_block_sort_configINS0_13kernel_configILj256ELj4ELj4294967295EEEbN2at4cuda3cub6detail10OpaqueTypeILi8EEEEELb1EPKbPbPKSB_PSB_NS0_19identity_decomposerEEEvT1_T2_T3_T4_jT5_jj.num_vgpr, 50
	.set _ZN7rocprim17ROCPRIM_304000_NS6detail28radix_sort_block_sort_kernelINS1_36wrapped_radix_sort_block_sort_configINS0_13kernel_configILj256ELj4ELj4294967295EEEbN2at4cuda3cub6detail10OpaqueTypeILi8EEEEELb1EPKbPbPKSB_PSB_NS0_19identity_decomposerEEEvT1_T2_T3_T4_jT5_jj.num_agpr, 0
	.set _ZN7rocprim17ROCPRIM_304000_NS6detail28radix_sort_block_sort_kernelINS1_36wrapped_radix_sort_block_sort_configINS0_13kernel_configILj256ELj4ELj4294967295EEEbN2at4cuda3cub6detail10OpaqueTypeILi8EEEEELb1EPKbPbPKSB_PSB_NS0_19identity_decomposerEEEvT1_T2_T3_T4_jT5_jj.numbered_sgpr, 46
	.set _ZN7rocprim17ROCPRIM_304000_NS6detail28radix_sort_block_sort_kernelINS1_36wrapped_radix_sort_block_sort_configINS0_13kernel_configILj256ELj4ELj4294967295EEEbN2at4cuda3cub6detail10OpaqueTypeILi8EEEEELb1EPKbPbPKSB_PSB_NS0_19identity_decomposerEEEvT1_T2_T3_T4_jT5_jj.num_named_barrier, 0
	.set _ZN7rocprim17ROCPRIM_304000_NS6detail28radix_sort_block_sort_kernelINS1_36wrapped_radix_sort_block_sort_configINS0_13kernel_configILj256ELj4ELj4294967295EEEbN2at4cuda3cub6detail10OpaqueTypeILi8EEEEELb1EPKbPbPKSB_PSB_NS0_19identity_decomposerEEEvT1_T2_T3_T4_jT5_jj.private_seg_size, 0
	.set _ZN7rocprim17ROCPRIM_304000_NS6detail28radix_sort_block_sort_kernelINS1_36wrapped_radix_sort_block_sort_configINS0_13kernel_configILj256ELj4ELj4294967295EEEbN2at4cuda3cub6detail10OpaqueTypeILi8EEEEELb1EPKbPbPKSB_PSB_NS0_19identity_decomposerEEEvT1_T2_T3_T4_jT5_jj.uses_vcc, 1
	.set _ZN7rocprim17ROCPRIM_304000_NS6detail28radix_sort_block_sort_kernelINS1_36wrapped_radix_sort_block_sort_configINS0_13kernel_configILj256ELj4ELj4294967295EEEbN2at4cuda3cub6detail10OpaqueTypeILi8EEEEELb1EPKbPbPKSB_PSB_NS0_19identity_decomposerEEEvT1_T2_T3_T4_jT5_jj.uses_flat_scratch, 0
	.set _ZN7rocprim17ROCPRIM_304000_NS6detail28radix_sort_block_sort_kernelINS1_36wrapped_radix_sort_block_sort_configINS0_13kernel_configILj256ELj4ELj4294967295EEEbN2at4cuda3cub6detail10OpaqueTypeILi8EEEEELb1EPKbPbPKSB_PSB_NS0_19identity_decomposerEEEvT1_T2_T3_T4_jT5_jj.has_dyn_sized_stack, 0
	.set _ZN7rocprim17ROCPRIM_304000_NS6detail28radix_sort_block_sort_kernelINS1_36wrapped_radix_sort_block_sort_configINS0_13kernel_configILj256ELj4ELj4294967295EEEbN2at4cuda3cub6detail10OpaqueTypeILi8EEEEELb1EPKbPbPKSB_PSB_NS0_19identity_decomposerEEEvT1_T2_T3_T4_jT5_jj.has_recursion, 0
	.set _ZN7rocprim17ROCPRIM_304000_NS6detail28radix_sort_block_sort_kernelINS1_36wrapped_radix_sort_block_sort_configINS0_13kernel_configILj256ELj4ELj4294967295EEEbN2at4cuda3cub6detail10OpaqueTypeILi8EEEEELb1EPKbPbPKSB_PSB_NS0_19identity_decomposerEEEvT1_T2_T3_T4_jT5_jj.has_indirect_call, 0
	.section	.AMDGPU.csdata,"",@progbits
; Kernel info:
; codeLenInByte = 3032
; TotalNumSgprs: 52
; NumVgprs: 50
; NumAgprs: 0
; TotalNumVgprs: 50
; ScratchSize: 0
; MemoryBound: 0
; FloatMode: 240
; IeeeMode: 1
; LDSByteSize: 8192 bytes/workgroup (compile time only)
; SGPRBlocks: 6
; VGPRBlocks: 6
; NumSGPRsForWavesPerEU: 52
; NumVGPRsForWavesPerEU: 50
; AccumOffset: 52
; Occupancy: 8
; WaveLimiterHint : 1
; COMPUTE_PGM_RSRC2:SCRATCH_EN: 0
; COMPUTE_PGM_RSRC2:USER_SGPR: 2
; COMPUTE_PGM_RSRC2:TRAP_HANDLER: 0
; COMPUTE_PGM_RSRC2:TGID_X_EN: 1
; COMPUTE_PGM_RSRC2:TGID_Y_EN: 0
; COMPUTE_PGM_RSRC2:TGID_Z_EN: 0
; COMPUTE_PGM_RSRC2:TIDIG_COMP_CNT: 2
; COMPUTE_PGM_RSRC3_GFX90A:ACCUM_OFFSET: 12
; COMPUTE_PGM_RSRC3_GFX90A:TG_SPLIT: 0
	.section	.text._ZN7rocprim17ROCPRIM_304000_NS6detail39device_merge_sort_compile_time_verifierINS1_36wrapped_merge_sort_block_sort_configINS1_28merge_sort_block_sort_configILj256ELj4ELNS0_20block_sort_algorithmE0EEEbN2at4cuda3cub6detail10OpaqueTypeILi8EEEEENS1_37wrapped_merge_sort_block_merge_configINS0_14default_configEbSC_EEEEvv,"axG",@progbits,_ZN7rocprim17ROCPRIM_304000_NS6detail39device_merge_sort_compile_time_verifierINS1_36wrapped_merge_sort_block_sort_configINS1_28merge_sort_block_sort_configILj256ELj4ELNS0_20block_sort_algorithmE0EEEbN2at4cuda3cub6detail10OpaqueTypeILi8EEEEENS1_37wrapped_merge_sort_block_merge_configINS0_14default_configEbSC_EEEEvv,comdat
	.protected	_ZN7rocprim17ROCPRIM_304000_NS6detail39device_merge_sort_compile_time_verifierINS1_36wrapped_merge_sort_block_sort_configINS1_28merge_sort_block_sort_configILj256ELj4ELNS0_20block_sort_algorithmE0EEEbN2at4cuda3cub6detail10OpaqueTypeILi8EEEEENS1_37wrapped_merge_sort_block_merge_configINS0_14default_configEbSC_EEEEvv ; -- Begin function _ZN7rocprim17ROCPRIM_304000_NS6detail39device_merge_sort_compile_time_verifierINS1_36wrapped_merge_sort_block_sort_configINS1_28merge_sort_block_sort_configILj256ELj4ELNS0_20block_sort_algorithmE0EEEbN2at4cuda3cub6detail10OpaqueTypeILi8EEEEENS1_37wrapped_merge_sort_block_merge_configINS0_14default_configEbSC_EEEEvv
	.globl	_ZN7rocprim17ROCPRIM_304000_NS6detail39device_merge_sort_compile_time_verifierINS1_36wrapped_merge_sort_block_sort_configINS1_28merge_sort_block_sort_configILj256ELj4ELNS0_20block_sort_algorithmE0EEEbN2at4cuda3cub6detail10OpaqueTypeILi8EEEEENS1_37wrapped_merge_sort_block_merge_configINS0_14default_configEbSC_EEEEvv
	.p2align	8
	.type	_ZN7rocprim17ROCPRIM_304000_NS6detail39device_merge_sort_compile_time_verifierINS1_36wrapped_merge_sort_block_sort_configINS1_28merge_sort_block_sort_configILj256ELj4ELNS0_20block_sort_algorithmE0EEEbN2at4cuda3cub6detail10OpaqueTypeILi8EEEEENS1_37wrapped_merge_sort_block_merge_configINS0_14default_configEbSC_EEEEvv,@function
_ZN7rocprim17ROCPRIM_304000_NS6detail39device_merge_sort_compile_time_verifierINS1_36wrapped_merge_sort_block_sort_configINS1_28merge_sort_block_sort_configILj256ELj4ELNS0_20block_sort_algorithmE0EEEbN2at4cuda3cub6detail10OpaqueTypeILi8EEEEENS1_37wrapped_merge_sort_block_merge_configINS0_14default_configEbSC_EEEEvv: ; @_ZN7rocprim17ROCPRIM_304000_NS6detail39device_merge_sort_compile_time_verifierINS1_36wrapped_merge_sort_block_sort_configINS1_28merge_sort_block_sort_configILj256ELj4ELNS0_20block_sort_algorithmE0EEEbN2at4cuda3cub6detail10OpaqueTypeILi8EEEEENS1_37wrapped_merge_sort_block_merge_configINS0_14default_configEbSC_EEEEvv
; %bb.0:
	s_endpgm
	.section	.rodata,"a",@progbits
	.p2align	6, 0x0
	.amdhsa_kernel _ZN7rocprim17ROCPRIM_304000_NS6detail39device_merge_sort_compile_time_verifierINS1_36wrapped_merge_sort_block_sort_configINS1_28merge_sort_block_sort_configILj256ELj4ELNS0_20block_sort_algorithmE0EEEbN2at4cuda3cub6detail10OpaqueTypeILi8EEEEENS1_37wrapped_merge_sort_block_merge_configINS0_14default_configEbSC_EEEEvv
		.amdhsa_group_segment_fixed_size 0
		.amdhsa_private_segment_fixed_size 0
		.amdhsa_kernarg_size 0
		.amdhsa_user_sgpr_count 0
		.amdhsa_user_sgpr_dispatch_ptr 0
		.amdhsa_user_sgpr_queue_ptr 0
		.amdhsa_user_sgpr_kernarg_segment_ptr 0
		.amdhsa_user_sgpr_dispatch_id 0
		.amdhsa_user_sgpr_kernarg_preload_length 0
		.amdhsa_user_sgpr_kernarg_preload_offset 0
		.amdhsa_user_sgpr_private_segment_size 0
		.amdhsa_uses_dynamic_stack 0
		.amdhsa_enable_private_segment 0
		.amdhsa_system_sgpr_workgroup_id_x 1
		.amdhsa_system_sgpr_workgroup_id_y 0
		.amdhsa_system_sgpr_workgroup_id_z 0
		.amdhsa_system_sgpr_workgroup_info 0
		.amdhsa_system_vgpr_workitem_id 0
		.amdhsa_next_free_vgpr 1
		.amdhsa_next_free_sgpr 0
		.amdhsa_accum_offset 4
		.amdhsa_reserve_vcc 0
		.amdhsa_float_round_mode_32 0
		.amdhsa_float_round_mode_16_64 0
		.amdhsa_float_denorm_mode_32 3
		.amdhsa_float_denorm_mode_16_64 3
		.amdhsa_dx10_clamp 1
		.amdhsa_ieee_mode 1
		.amdhsa_fp16_overflow 0
		.amdhsa_tg_split 0
		.amdhsa_exception_fp_ieee_invalid_op 0
		.amdhsa_exception_fp_denorm_src 0
		.amdhsa_exception_fp_ieee_div_zero 0
		.amdhsa_exception_fp_ieee_overflow 0
		.amdhsa_exception_fp_ieee_underflow 0
		.amdhsa_exception_fp_ieee_inexact 0
		.amdhsa_exception_int_div_zero 0
	.end_amdhsa_kernel
	.section	.text._ZN7rocprim17ROCPRIM_304000_NS6detail39device_merge_sort_compile_time_verifierINS1_36wrapped_merge_sort_block_sort_configINS1_28merge_sort_block_sort_configILj256ELj4ELNS0_20block_sort_algorithmE0EEEbN2at4cuda3cub6detail10OpaqueTypeILi8EEEEENS1_37wrapped_merge_sort_block_merge_configINS0_14default_configEbSC_EEEEvv,"axG",@progbits,_ZN7rocprim17ROCPRIM_304000_NS6detail39device_merge_sort_compile_time_verifierINS1_36wrapped_merge_sort_block_sort_configINS1_28merge_sort_block_sort_configILj256ELj4ELNS0_20block_sort_algorithmE0EEEbN2at4cuda3cub6detail10OpaqueTypeILi8EEEEENS1_37wrapped_merge_sort_block_merge_configINS0_14default_configEbSC_EEEEvv,comdat
.Lfunc_end159:
	.size	_ZN7rocprim17ROCPRIM_304000_NS6detail39device_merge_sort_compile_time_verifierINS1_36wrapped_merge_sort_block_sort_configINS1_28merge_sort_block_sort_configILj256ELj4ELNS0_20block_sort_algorithmE0EEEbN2at4cuda3cub6detail10OpaqueTypeILi8EEEEENS1_37wrapped_merge_sort_block_merge_configINS0_14default_configEbSC_EEEEvv, .Lfunc_end159-_ZN7rocprim17ROCPRIM_304000_NS6detail39device_merge_sort_compile_time_verifierINS1_36wrapped_merge_sort_block_sort_configINS1_28merge_sort_block_sort_configILj256ELj4ELNS0_20block_sort_algorithmE0EEEbN2at4cuda3cub6detail10OpaqueTypeILi8EEEEENS1_37wrapped_merge_sort_block_merge_configINS0_14default_configEbSC_EEEEvv
                                        ; -- End function
	.set _ZN7rocprim17ROCPRIM_304000_NS6detail39device_merge_sort_compile_time_verifierINS1_36wrapped_merge_sort_block_sort_configINS1_28merge_sort_block_sort_configILj256ELj4ELNS0_20block_sort_algorithmE0EEEbN2at4cuda3cub6detail10OpaqueTypeILi8EEEEENS1_37wrapped_merge_sort_block_merge_configINS0_14default_configEbSC_EEEEvv.num_vgpr, 0
	.set _ZN7rocprim17ROCPRIM_304000_NS6detail39device_merge_sort_compile_time_verifierINS1_36wrapped_merge_sort_block_sort_configINS1_28merge_sort_block_sort_configILj256ELj4ELNS0_20block_sort_algorithmE0EEEbN2at4cuda3cub6detail10OpaqueTypeILi8EEEEENS1_37wrapped_merge_sort_block_merge_configINS0_14default_configEbSC_EEEEvv.num_agpr, 0
	.set _ZN7rocprim17ROCPRIM_304000_NS6detail39device_merge_sort_compile_time_verifierINS1_36wrapped_merge_sort_block_sort_configINS1_28merge_sort_block_sort_configILj256ELj4ELNS0_20block_sort_algorithmE0EEEbN2at4cuda3cub6detail10OpaqueTypeILi8EEEEENS1_37wrapped_merge_sort_block_merge_configINS0_14default_configEbSC_EEEEvv.numbered_sgpr, 0
	.set _ZN7rocprim17ROCPRIM_304000_NS6detail39device_merge_sort_compile_time_verifierINS1_36wrapped_merge_sort_block_sort_configINS1_28merge_sort_block_sort_configILj256ELj4ELNS0_20block_sort_algorithmE0EEEbN2at4cuda3cub6detail10OpaqueTypeILi8EEEEENS1_37wrapped_merge_sort_block_merge_configINS0_14default_configEbSC_EEEEvv.num_named_barrier, 0
	.set _ZN7rocprim17ROCPRIM_304000_NS6detail39device_merge_sort_compile_time_verifierINS1_36wrapped_merge_sort_block_sort_configINS1_28merge_sort_block_sort_configILj256ELj4ELNS0_20block_sort_algorithmE0EEEbN2at4cuda3cub6detail10OpaqueTypeILi8EEEEENS1_37wrapped_merge_sort_block_merge_configINS0_14default_configEbSC_EEEEvv.private_seg_size, 0
	.set _ZN7rocprim17ROCPRIM_304000_NS6detail39device_merge_sort_compile_time_verifierINS1_36wrapped_merge_sort_block_sort_configINS1_28merge_sort_block_sort_configILj256ELj4ELNS0_20block_sort_algorithmE0EEEbN2at4cuda3cub6detail10OpaqueTypeILi8EEEEENS1_37wrapped_merge_sort_block_merge_configINS0_14default_configEbSC_EEEEvv.uses_vcc, 0
	.set _ZN7rocprim17ROCPRIM_304000_NS6detail39device_merge_sort_compile_time_verifierINS1_36wrapped_merge_sort_block_sort_configINS1_28merge_sort_block_sort_configILj256ELj4ELNS0_20block_sort_algorithmE0EEEbN2at4cuda3cub6detail10OpaqueTypeILi8EEEEENS1_37wrapped_merge_sort_block_merge_configINS0_14default_configEbSC_EEEEvv.uses_flat_scratch, 0
	.set _ZN7rocprim17ROCPRIM_304000_NS6detail39device_merge_sort_compile_time_verifierINS1_36wrapped_merge_sort_block_sort_configINS1_28merge_sort_block_sort_configILj256ELj4ELNS0_20block_sort_algorithmE0EEEbN2at4cuda3cub6detail10OpaqueTypeILi8EEEEENS1_37wrapped_merge_sort_block_merge_configINS0_14default_configEbSC_EEEEvv.has_dyn_sized_stack, 0
	.set _ZN7rocprim17ROCPRIM_304000_NS6detail39device_merge_sort_compile_time_verifierINS1_36wrapped_merge_sort_block_sort_configINS1_28merge_sort_block_sort_configILj256ELj4ELNS0_20block_sort_algorithmE0EEEbN2at4cuda3cub6detail10OpaqueTypeILi8EEEEENS1_37wrapped_merge_sort_block_merge_configINS0_14default_configEbSC_EEEEvv.has_recursion, 0
	.set _ZN7rocprim17ROCPRIM_304000_NS6detail39device_merge_sort_compile_time_verifierINS1_36wrapped_merge_sort_block_sort_configINS1_28merge_sort_block_sort_configILj256ELj4ELNS0_20block_sort_algorithmE0EEEbN2at4cuda3cub6detail10OpaqueTypeILi8EEEEENS1_37wrapped_merge_sort_block_merge_configINS0_14default_configEbSC_EEEEvv.has_indirect_call, 0
	.section	.AMDGPU.csdata,"",@progbits
; Kernel info:
; codeLenInByte = 4
; TotalNumSgprs: 6
; NumVgprs: 0
; NumAgprs: 0
; TotalNumVgprs: 0
; ScratchSize: 0
; MemoryBound: 0
; FloatMode: 240
; IeeeMode: 1
; LDSByteSize: 0 bytes/workgroup (compile time only)
; SGPRBlocks: 0
; VGPRBlocks: 0
; NumSGPRsForWavesPerEU: 6
; NumVGPRsForWavesPerEU: 1
; AccumOffset: 4
; Occupancy: 8
; WaveLimiterHint : 0
; COMPUTE_PGM_RSRC2:SCRATCH_EN: 0
; COMPUTE_PGM_RSRC2:USER_SGPR: 0
; COMPUTE_PGM_RSRC2:TRAP_HANDLER: 0
; COMPUTE_PGM_RSRC2:TGID_X_EN: 1
; COMPUTE_PGM_RSRC2:TGID_Y_EN: 0
; COMPUTE_PGM_RSRC2:TGID_Z_EN: 0
; COMPUTE_PGM_RSRC2:TIDIG_COMP_CNT: 0
; COMPUTE_PGM_RSRC3_GFX90A:ACCUM_OFFSET: 0
; COMPUTE_PGM_RSRC3_GFX90A:TG_SPLIT: 0
	.section	.text._ZN7rocprim17ROCPRIM_304000_NS6detail45device_block_merge_mergepath_partition_kernelINS1_37wrapped_merge_sort_block_merge_configINS0_14default_configEbN2at4cuda3cub6detail10OpaqueTypeILi8EEEEEPbjNS1_19radix_merge_compareILb1ELb0EbNS0_19identity_decomposerEEEEEvT0_T1_jPSH_T2_SH_,"axG",@progbits,_ZN7rocprim17ROCPRIM_304000_NS6detail45device_block_merge_mergepath_partition_kernelINS1_37wrapped_merge_sort_block_merge_configINS0_14default_configEbN2at4cuda3cub6detail10OpaqueTypeILi8EEEEEPbjNS1_19radix_merge_compareILb1ELb0EbNS0_19identity_decomposerEEEEEvT0_T1_jPSH_T2_SH_,comdat
	.protected	_ZN7rocprim17ROCPRIM_304000_NS6detail45device_block_merge_mergepath_partition_kernelINS1_37wrapped_merge_sort_block_merge_configINS0_14default_configEbN2at4cuda3cub6detail10OpaqueTypeILi8EEEEEPbjNS1_19radix_merge_compareILb1ELb0EbNS0_19identity_decomposerEEEEEvT0_T1_jPSH_T2_SH_ ; -- Begin function _ZN7rocprim17ROCPRIM_304000_NS6detail45device_block_merge_mergepath_partition_kernelINS1_37wrapped_merge_sort_block_merge_configINS0_14default_configEbN2at4cuda3cub6detail10OpaqueTypeILi8EEEEEPbjNS1_19radix_merge_compareILb1ELb0EbNS0_19identity_decomposerEEEEEvT0_T1_jPSH_T2_SH_
	.globl	_ZN7rocprim17ROCPRIM_304000_NS6detail45device_block_merge_mergepath_partition_kernelINS1_37wrapped_merge_sort_block_merge_configINS0_14default_configEbN2at4cuda3cub6detail10OpaqueTypeILi8EEEEEPbjNS1_19radix_merge_compareILb1ELb0EbNS0_19identity_decomposerEEEEEvT0_T1_jPSH_T2_SH_
	.p2align	8
	.type	_ZN7rocprim17ROCPRIM_304000_NS6detail45device_block_merge_mergepath_partition_kernelINS1_37wrapped_merge_sort_block_merge_configINS0_14default_configEbN2at4cuda3cub6detail10OpaqueTypeILi8EEEEEPbjNS1_19radix_merge_compareILb1ELb0EbNS0_19identity_decomposerEEEEEvT0_T1_jPSH_T2_SH_,@function
_ZN7rocprim17ROCPRIM_304000_NS6detail45device_block_merge_mergepath_partition_kernelINS1_37wrapped_merge_sort_block_merge_configINS0_14default_configEbN2at4cuda3cub6detail10OpaqueTypeILi8EEEEEPbjNS1_19radix_merge_compareILb1ELb0EbNS0_19identity_decomposerEEEEEvT0_T1_jPSH_T2_SH_: ; @_ZN7rocprim17ROCPRIM_304000_NS6detail45device_block_merge_mergepath_partition_kernelINS1_37wrapped_merge_sort_block_merge_configINS0_14default_configEbN2at4cuda3cub6detail10OpaqueTypeILi8EEEEEPbjNS1_19radix_merge_compareILb1ELb0EbNS0_19identity_decomposerEEEEEvT0_T1_jPSH_T2_SH_
; %bb.0:
	s_load_dwordx2 s[4:5], s[0:1], 0x8
	v_lshl_or_b32 v0, s2, 7, v0
	s_waitcnt lgkmcnt(0)
	v_cmp_gt_u32_e32 vcc, s5, v0
	s_and_saveexec_b64 s[2:3], vcc
	s_cbranch_execz .LBB160_6
; %bb.1:
	s_load_dword s2, s[0:1], 0x1c
	s_waitcnt lgkmcnt(0)
	s_lshr_b32 s3, s2, 9
	s_and_b32 s3, s3, 0x7ffffe
	s_add_i32 s5, s3, -1
	s_sub_i32 s3, 0, s3
	v_and_b32_e32 v1, s3, v0
	v_and_b32_e32 v2, s5, v0
	v_lshlrev_b32_e32 v1, 10, v1
	v_lshlrev_b32_e32 v3, 10, v2
	v_min_u32_e32 v2, s4, v1
	v_add_u32_e32 v1, s2, v1
	v_min_u32_e32 v4, s4, v1
	v_add_u32_e32 v1, s2, v4
	v_min_u32_e32 v1, s4, v1
	v_sub_u32_e32 v5, v1, v2
	v_min_u32_e32 v10, v5, v3
	v_sub_u32_e32 v3, v4, v2
	v_sub_u32_e32 v1, v1, v4
	v_sub_u32_e64 v1, v10, v1 clamp
	v_min_u32_e32 v11, v10, v3
	v_cmp_lt_u32_e32 vcc, v1, v11
	s_and_saveexec_b64 s[2:3], vcc
	s_cbranch_execz .LBB160_5
; %bb.2:
	s_load_dwordx2 s[4:5], s[0:1], 0x0
	v_mov_b32_e32 v5, 0
	v_mov_b32_e32 v3, v5
	s_waitcnt lgkmcnt(0)
	v_lshl_add_u64 v[6:7], s[4:5], 0, v[2:3]
	v_lshl_add_u64 v[8:9], s[4:5], 0, v[4:5]
	s_mov_b64 s[4:5], 0
.LBB160_3:                              ; =>This Inner Loop Header: Depth=1
	v_add_u32_e32 v3, v11, v1
	v_lshrrev_b32_e32 v4, 1, v3
	v_mov_b32_e32 v13, v5
	v_xad_u32 v12, v4, -1, v10
	v_lshl_add_u64 v[14:15], v[6:7], 0, v[4:5]
	v_lshl_add_u64 v[12:13], v[8:9], 0, v[12:13]
	global_load_ubyte v3, v[14:15], off
	global_load_ubyte v16, v[12:13], off
	v_add_u32_e32 v12, 1, v4
	s_waitcnt vmcnt(0)
	v_cmp_gt_u16_e32 vcc, v16, v3
	s_nop 1
	v_cndmask_b32_e32 v11, v11, v4, vcc
	v_cndmask_b32_e32 v1, v12, v1, vcc
	v_cmp_ge_u32_e32 vcc, v1, v11
	s_or_b64 s[4:5], vcc, s[4:5]
	s_andn2_b64 exec, exec, s[4:5]
	s_cbranch_execnz .LBB160_3
; %bb.4:
	s_or_b64 exec, exec, s[4:5]
.LBB160_5:
	s_or_b64 exec, exec, s[2:3]
	s_load_dwordx2 s[0:1], s[0:1], 0x10
	v_add_u32_e32 v2, v1, v2
	v_mov_b32_e32 v1, 0
	s_waitcnt lgkmcnt(0)
	v_lshl_add_u64 v[0:1], v[0:1], 2, s[0:1]
	global_store_dword v[0:1], v2, off
.LBB160_6:
	s_endpgm
	.section	.rodata,"a",@progbits
	.p2align	6, 0x0
	.amdhsa_kernel _ZN7rocprim17ROCPRIM_304000_NS6detail45device_block_merge_mergepath_partition_kernelINS1_37wrapped_merge_sort_block_merge_configINS0_14default_configEbN2at4cuda3cub6detail10OpaqueTypeILi8EEEEEPbjNS1_19radix_merge_compareILb1ELb0EbNS0_19identity_decomposerEEEEEvT0_T1_jPSH_T2_SH_
		.amdhsa_group_segment_fixed_size 0
		.amdhsa_private_segment_fixed_size 0
		.amdhsa_kernarg_size 32
		.amdhsa_user_sgpr_count 2
		.amdhsa_user_sgpr_dispatch_ptr 0
		.amdhsa_user_sgpr_queue_ptr 0
		.amdhsa_user_sgpr_kernarg_segment_ptr 1
		.amdhsa_user_sgpr_dispatch_id 0
		.amdhsa_user_sgpr_kernarg_preload_length 0
		.amdhsa_user_sgpr_kernarg_preload_offset 0
		.amdhsa_user_sgpr_private_segment_size 0
		.amdhsa_uses_dynamic_stack 0
		.amdhsa_enable_private_segment 0
		.amdhsa_system_sgpr_workgroup_id_x 1
		.amdhsa_system_sgpr_workgroup_id_y 0
		.amdhsa_system_sgpr_workgroup_id_z 0
		.amdhsa_system_sgpr_workgroup_info 0
		.amdhsa_system_vgpr_workitem_id 0
		.amdhsa_next_free_vgpr 17
		.amdhsa_next_free_sgpr 6
		.amdhsa_accum_offset 20
		.amdhsa_reserve_vcc 1
		.amdhsa_float_round_mode_32 0
		.amdhsa_float_round_mode_16_64 0
		.amdhsa_float_denorm_mode_32 3
		.amdhsa_float_denorm_mode_16_64 3
		.amdhsa_dx10_clamp 1
		.amdhsa_ieee_mode 1
		.amdhsa_fp16_overflow 0
		.amdhsa_tg_split 0
		.amdhsa_exception_fp_ieee_invalid_op 0
		.amdhsa_exception_fp_denorm_src 0
		.amdhsa_exception_fp_ieee_div_zero 0
		.amdhsa_exception_fp_ieee_overflow 0
		.amdhsa_exception_fp_ieee_underflow 0
		.amdhsa_exception_fp_ieee_inexact 0
		.amdhsa_exception_int_div_zero 0
	.end_amdhsa_kernel
	.section	.text._ZN7rocprim17ROCPRIM_304000_NS6detail45device_block_merge_mergepath_partition_kernelINS1_37wrapped_merge_sort_block_merge_configINS0_14default_configEbN2at4cuda3cub6detail10OpaqueTypeILi8EEEEEPbjNS1_19radix_merge_compareILb1ELb0EbNS0_19identity_decomposerEEEEEvT0_T1_jPSH_T2_SH_,"axG",@progbits,_ZN7rocprim17ROCPRIM_304000_NS6detail45device_block_merge_mergepath_partition_kernelINS1_37wrapped_merge_sort_block_merge_configINS0_14default_configEbN2at4cuda3cub6detail10OpaqueTypeILi8EEEEEPbjNS1_19radix_merge_compareILb1ELb0EbNS0_19identity_decomposerEEEEEvT0_T1_jPSH_T2_SH_,comdat
.Lfunc_end160:
	.size	_ZN7rocprim17ROCPRIM_304000_NS6detail45device_block_merge_mergepath_partition_kernelINS1_37wrapped_merge_sort_block_merge_configINS0_14default_configEbN2at4cuda3cub6detail10OpaqueTypeILi8EEEEEPbjNS1_19radix_merge_compareILb1ELb0EbNS0_19identity_decomposerEEEEEvT0_T1_jPSH_T2_SH_, .Lfunc_end160-_ZN7rocprim17ROCPRIM_304000_NS6detail45device_block_merge_mergepath_partition_kernelINS1_37wrapped_merge_sort_block_merge_configINS0_14default_configEbN2at4cuda3cub6detail10OpaqueTypeILi8EEEEEPbjNS1_19radix_merge_compareILb1ELb0EbNS0_19identity_decomposerEEEEEvT0_T1_jPSH_T2_SH_
                                        ; -- End function
	.set _ZN7rocprim17ROCPRIM_304000_NS6detail45device_block_merge_mergepath_partition_kernelINS1_37wrapped_merge_sort_block_merge_configINS0_14default_configEbN2at4cuda3cub6detail10OpaqueTypeILi8EEEEEPbjNS1_19radix_merge_compareILb1ELb0EbNS0_19identity_decomposerEEEEEvT0_T1_jPSH_T2_SH_.num_vgpr, 17
	.set _ZN7rocprim17ROCPRIM_304000_NS6detail45device_block_merge_mergepath_partition_kernelINS1_37wrapped_merge_sort_block_merge_configINS0_14default_configEbN2at4cuda3cub6detail10OpaqueTypeILi8EEEEEPbjNS1_19radix_merge_compareILb1ELb0EbNS0_19identity_decomposerEEEEEvT0_T1_jPSH_T2_SH_.num_agpr, 0
	.set _ZN7rocprim17ROCPRIM_304000_NS6detail45device_block_merge_mergepath_partition_kernelINS1_37wrapped_merge_sort_block_merge_configINS0_14default_configEbN2at4cuda3cub6detail10OpaqueTypeILi8EEEEEPbjNS1_19radix_merge_compareILb1ELb0EbNS0_19identity_decomposerEEEEEvT0_T1_jPSH_T2_SH_.numbered_sgpr, 6
	.set _ZN7rocprim17ROCPRIM_304000_NS6detail45device_block_merge_mergepath_partition_kernelINS1_37wrapped_merge_sort_block_merge_configINS0_14default_configEbN2at4cuda3cub6detail10OpaqueTypeILi8EEEEEPbjNS1_19radix_merge_compareILb1ELb0EbNS0_19identity_decomposerEEEEEvT0_T1_jPSH_T2_SH_.num_named_barrier, 0
	.set _ZN7rocprim17ROCPRIM_304000_NS6detail45device_block_merge_mergepath_partition_kernelINS1_37wrapped_merge_sort_block_merge_configINS0_14default_configEbN2at4cuda3cub6detail10OpaqueTypeILi8EEEEEPbjNS1_19radix_merge_compareILb1ELb0EbNS0_19identity_decomposerEEEEEvT0_T1_jPSH_T2_SH_.private_seg_size, 0
	.set _ZN7rocprim17ROCPRIM_304000_NS6detail45device_block_merge_mergepath_partition_kernelINS1_37wrapped_merge_sort_block_merge_configINS0_14default_configEbN2at4cuda3cub6detail10OpaqueTypeILi8EEEEEPbjNS1_19radix_merge_compareILb1ELb0EbNS0_19identity_decomposerEEEEEvT0_T1_jPSH_T2_SH_.uses_vcc, 1
	.set _ZN7rocprim17ROCPRIM_304000_NS6detail45device_block_merge_mergepath_partition_kernelINS1_37wrapped_merge_sort_block_merge_configINS0_14default_configEbN2at4cuda3cub6detail10OpaqueTypeILi8EEEEEPbjNS1_19radix_merge_compareILb1ELb0EbNS0_19identity_decomposerEEEEEvT0_T1_jPSH_T2_SH_.uses_flat_scratch, 0
	.set _ZN7rocprim17ROCPRIM_304000_NS6detail45device_block_merge_mergepath_partition_kernelINS1_37wrapped_merge_sort_block_merge_configINS0_14default_configEbN2at4cuda3cub6detail10OpaqueTypeILi8EEEEEPbjNS1_19radix_merge_compareILb1ELb0EbNS0_19identity_decomposerEEEEEvT0_T1_jPSH_T2_SH_.has_dyn_sized_stack, 0
	.set _ZN7rocprim17ROCPRIM_304000_NS6detail45device_block_merge_mergepath_partition_kernelINS1_37wrapped_merge_sort_block_merge_configINS0_14default_configEbN2at4cuda3cub6detail10OpaqueTypeILi8EEEEEPbjNS1_19radix_merge_compareILb1ELb0EbNS0_19identity_decomposerEEEEEvT0_T1_jPSH_T2_SH_.has_recursion, 0
	.set _ZN7rocprim17ROCPRIM_304000_NS6detail45device_block_merge_mergepath_partition_kernelINS1_37wrapped_merge_sort_block_merge_configINS0_14default_configEbN2at4cuda3cub6detail10OpaqueTypeILi8EEEEEPbjNS1_19radix_merge_compareILb1ELb0EbNS0_19identity_decomposerEEEEEvT0_T1_jPSH_T2_SH_.has_indirect_call, 0
	.section	.AMDGPU.csdata,"",@progbits
; Kernel info:
; codeLenInByte = 320
; TotalNumSgprs: 12
; NumVgprs: 17
; NumAgprs: 0
; TotalNumVgprs: 17
; ScratchSize: 0
; MemoryBound: 0
; FloatMode: 240
; IeeeMode: 1
; LDSByteSize: 0 bytes/workgroup (compile time only)
; SGPRBlocks: 1
; VGPRBlocks: 2
; NumSGPRsForWavesPerEU: 12
; NumVGPRsForWavesPerEU: 17
; AccumOffset: 20
; Occupancy: 8
; WaveLimiterHint : 0
; COMPUTE_PGM_RSRC2:SCRATCH_EN: 0
; COMPUTE_PGM_RSRC2:USER_SGPR: 2
; COMPUTE_PGM_RSRC2:TRAP_HANDLER: 0
; COMPUTE_PGM_RSRC2:TGID_X_EN: 1
; COMPUTE_PGM_RSRC2:TGID_Y_EN: 0
; COMPUTE_PGM_RSRC2:TGID_Z_EN: 0
; COMPUTE_PGM_RSRC2:TIDIG_COMP_CNT: 0
; COMPUTE_PGM_RSRC3_GFX90A:ACCUM_OFFSET: 4
; COMPUTE_PGM_RSRC3_GFX90A:TG_SPLIT: 0
	.section	.text._ZN7rocprim17ROCPRIM_304000_NS6detail35device_block_merge_mergepath_kernelINS1_37wrapped_merge_sort_block_merge_configINS0_14default_configEbN2at4cuda3cub6detail10OpaqueTypeILi8EEEEEPbSC_PSA_SD_jNS1_19radix_merge_compareILb1ELb0EbNS0_19identity_decomposerEEEEEvT0_T1_T2_T3_T4_SL_jT5_PKSL_NS1_7vsmem_tE,"axG",@progbits,_ZN7rocprim17ROCPRIM_304000_NS6detail35device_block_merge_mergepath_kernelINS1_37wrapped_merge_sort_block_merge_configINS0_14default_configEbN2at4cuda3cub6detail10OpaqueTypeILi8EEEEEPbSC_PSA_SD_jNS1_19radix_merge_compareILb1ELb0EbNS0_19identity_decomposerEEEEEvT0_T1_T2_T3_T4_SL_jT5_PKSL_NS1_7vsmem_tE,comdat
	.protected	_ZN7rocprim17ROCPRIM_304000_NS6detail35device_block_merge_mergepath_kernelINS1_37wrapped_merge_sort_block_merge_configINS0_14default_configEbN2at4cuda3cub6detail10OpaqueTypeILi8EEEEEPbSC_PSA_SD_jNS1_19radix_merge_compareILb1ELb0EbNS0_19identity_decomposerEEEEEvT0_T1_T2_T3_T4_SL_jT5_PKSL_NS1_7vsmem_tE ; -- Begin function _ZN7rocprim17ROCPRIM_304000_NS6detail35device_block_merge_mergepath_kernelINS1_37wrapped_merge_sort_block_merge_configINS0_14default_configEbN2at4cuda3cub6detail10OpaqueTypeILi8EEEEEPbSC_PSA_SD_jNS1_19radix_merge_compareILb1ELb0EbNS0_19identity_decomposerEEEEEvT0_T1_T2_T3_T4_SL_jT5_PKSL_NS1_7vsmem_tE
	.globl	_ZN7rocprim17ROCPRIM_304000_NS6detail35device_block_merge_mergepath_kernelINS1_37wrapped_merge_sort_block_merge_configINS0_14default_configEbN2at4cuda3cub6detail10OpaqueTypeILi8EEEEEPbSC_PSA_SD_jNS1_19radix_merge_compareILb1ELb0EbNS0_19identity_decomposerEEEEEvT0_T1_T2_T3_T4_SL_jT5_PKSL_NS1_7vsmem_tE
	.p2align	8
	.type	_ZN7rocprim17ROCPRIM_304000_NS6detail35device_block_merge_mergepath_kernelINS1_37wrapped_merge_sort_block_merge_configINS0_14default_configEbN2at4cuda3cub6detail10OpaqueTypeILi8EEEEEPbSC_PSA_SD_jNS1_19radix_merge_compareILb1ELb0EbNS0_19identity_decomposerEEEEEvT0_T1_T2_T3_T4_SL_jT5_PKSL_NS1_7vsmem_tE,@function
_ZN7rocprim17ROCPRIM_304000_NS6detail35device_block_merge_mergepath_kernelINS1_37wrapped_merge_sort_block_merge_configINS0_14default_configEbN2at4cuda3cub6detail10OpaqueTypeILi8EEEEEPbSC_PSA_SD_jNS1_19radix_merge_compareILb1ELb0EbNS0_19identity_decomposerEEEEEvT0_T1_T2_T3_T4_SL_jT5_PKSL_NS1_7vsmem_tE: ; @_ZN7rocprim17ROCPRIM_304000_NS6detail35device_block_merge_mergepath_kernelINS1_37wrapped_merge_sort_block_merge_configINS0_14default_configEbN2at4cuda3cub6detail10OpaqueTypeILi8EEEEEPbSC_PSA_SD_jNS1_19radix_merge_compareILb1ELb0EbNS0_19identity_decomposerEEEEEvT0_T1_T2_T3_T4_SL_jT5_PKSL_NS1_7vsmem_tE
; %bb.0:
	s_load_dwordx2 s[24:25], s[0:1], 0x40
	s_load_dwordx4 s[12:15], s[0:1], 0x20
	s_add_u32 s22, s0, 64
	s_addc_u32 s23, s1, 0
	s_waitcnt lgkmcnt(0)
	s_mul_i32 s4, s25, s4
	s_add_i32 s3, s4, s3
	s_mul_i32 s3, s3, s24
	s_add_i32 s20, s3, s2
	s_cmp_ge_u32 s20, s14
	s_cbranch_scc1 .LBB161_51
; %bb.1:
	s_load_dwordx8 s[4:11], s[0:1], 0x0
	s_load_dwordx2 s[16:17], s[0:1], 0x30
	s_lshr_b32 s3, s12, 10
	s_cmp_lg_u32 s20, s3
	s_mov_b32 s21, 0
	s_cselect_b64 s[14:15], -1, 0
	s_lshl_b64 s[0:1], s[20:21], 2
	s_waitcnt lgkmcnt(0)
	s_add_u32 s0, s16, s0
	s_addc_u32 s1, s17, s1
	s_load_dwordx2 s[16:17], s[0:1], 0x0
	s_lshr_b32 s0, s13, 9
	s_and_b32 s0, s0, 0x7ffffe
	s_sub_i32 s0, 0, s0
	s_and_b32 s1, s20, s0
	s_lshl_b32 s19, s1, 10
	s_lshl_b32 s25, s20, 10
	s_lshl_b32 s1, s1, 11
	s_sub_i32 s18, s25, s19
	s_add_i32 s1, s1, s13
	s_add_i32 s26, s1, s18
	s_waitcnt lgkmcnt(0)
	s_sub_i32 s18, s26, s16
	s_sub_i32 s26, s26, s17
	;; [unrolled: 1-line block ×3, first 2 shown]
	s_min_u32 s18, s12, s18
	s_addk_i32 s26, 0x400
	s_or_b32 s0, s20, s0
	s_min_u32 s19, s12, s1
	s_add_i32 s1, s1, s13
	s_cmp_eq_u32 s0, -1
	s_cselect_b32 s0, s1, s26
	s_cselect_b32 s1, s19, s17
	s_min_u32 s0, s0, s12
	s_sub_i32 s13, s1, s16
	s_sub_i32 s26, s0, s18
	s_add_u32 s27, s4, s16
	s_addc_u32 s28, s5, 0
	s_add_u32 s4, s4, s18
	s_addc_u32 s5, s5, 0
	s_cmp_lt_u32 s2, s24
	v_mov_b32_e32 v3, 0
	s_cselect_b32 s0, 12, 18
	global_load_dword v1, v3, s[22:23] offset:14
	s_add_u32 s0, s22, s0
	s_addc_u32 s1, s23, 0
	global_load_ushort v2, v3, s[0:1]
	s_mov_b32 s19, s21
	s_mov_b32 s17, s21
	s_cmp_eq_u32 s20, s3
	v_cmp_gt_u32_e32 vcc, s13, v0
	s_waitcnt vmcnt(1)
	v_lshrrev_b32_e32 v4, 16, v1
	v_and_b32_e32 v1, 0xffff, v1
	v_mul_lo_u32 v1, v1, v4
	s_waitcnt vmcnt(0)
	v_mul_lo_u32 v4, v1, v2
	v_add_u32_e32 v1, v4, v0
	s_cbranch_scc1 .LBB161_3
; %bb.2:
	v_mov_b32_e32 v5, s5
	v_mov_b32_e32 v6, s28
	v_subrev_u32_e32 v2, s13, v0
	v_cndmask_b32_e32 v7, v5, v6, vcc
	v_mov_b32_e32 v5, s4
	v_mov_b32_e32 v6, s27
	v_min_u32_e32 v2, v0, v2
	v_cndmask_b32_e32 v6, v5, v6, vcc
	v_lshl_add_u64 v[2:3], v[6:7], 0, v[2:3]
	global_load_ubyte v6, v[2:3], off
	s_add_i32 s20, s26, s13
	v_add_u32_e32 v2, v4, v0
	s_mov_b64 s[0:1], -1
	v_mov_b32_e32 v7, s20
	s_cbranch_execz .LBB161_4
	s_branch .LBB161_7
.LBB161_3:
	s_mov_b64 s[0:1], 0
                                        ; implicit-def: $vgpr2
                                        ; implicit-def: $vgpr6
                                        ; implicit-def: $vgpr7
.LBB161_4:
	s_add_i32 s2, s26, s13
	v_cmp_gt_u32_e32 vcc, s2, v0
	s_waitcnt vmcnt(0)
	v_mov_b32_e32 v6, 0
	s_and_saveexec_b64 s[0:1], vcc
	s_cbranch_execz .LBB161_6
; %bb.5:
	v_mov_b32_e32 v2, s5
	v_mov_b32_e32 v3, s28
	v_cmp_gt_u32_e32 vcc, s13, v0
	v_mov_b32_e32 v4, s27
	v_mov_b32_e32 v5, 0
	v_cndmask_b32_e32 v3, v2, v3, vcc
	v_mov_b32_e32 v2, s4
	v_cndmask_b32_e32 v2, v2, v4, vcc
	v_subrev_u32_e32 v4, s13, v0
	v_min_u32_e32 v4, v0, v4
	v_lshl_add_u64 v[2:3], v[2:3], 0, v[4:5]
	global_load_ubyte v6, v[2:3], off
.LBB161_6:
	s_or_b64 exec, exec, s[0:1]
	v_cmp_gt_u32_e64 s[0:1], s2, v1
	v_mov_b32_e32 v7, s2
	v_mov_b32_e32 v2, v1
.LBB161_7:
	s_and_saveexec_b64 s[2:3], s[0:1]
	s_cbranch_execz .LBB161_9
; %bb.8:
	v_subrev_u32_e32 v1, s13, v2
	v_min_u32_e32 v4, v2, v1
	v_mov_b32_e32 v1, s5
	v_mov_b32_e32 v3, s28
	v_cmp_gt_u32_e32 vcc, s13, v2
	v_mov_b32_e32 v2, s27
	v_mov_b32_e32 v5, 0
	v_cndmask_b32_e32 v3, v1, v3, vcc
	v_mov_b32_e32 v1, s4
	v_cndmask_b32_e32 v2, v1, v2, vcc
	v_lshl_add_u64 v[2:3], v[2:3], 0, v[4:5]
	global_load_ubyte v1, v[2:3], off
	s_mov_b32 s0, 0xc0c0004
	s_waitcnt vmcnt(0)
	v_perm_b32 v6, v6, v1, s0
.LBB161_9:
	s_or_b64 exec, exec, s[2:3]
	v_lshlrev_b32_e32 v8, 1, v0
	s_waitcnt vmcnt(0)
	v_lshrrev_b16_e32 v1, 8, v6
	v_min_u32_e32 v2, v7, v8
	ds_write_b8 v0, v1 offset:512
	v_sub_u32_e64 v1, v2, s26 clamp
	v_min_u32_e32 v3, s13, v2
	v_cmp_lt_u32_e32 vcc, v1, v3
	ds_write_b8 v0, v6
	s_waitcnt lgkmcnt(0)
	s_barrier
	s_and_saveexec_b64 s[0:1], vcc
	s_cbranch_execz .LBB161_13
; %bb.10:
	v_add_u32_e32 v4, s13, v2
	s_mov_b64 s[2:3], 0
.LBB161_11:                             ; =>This Inner Loop Header: Depth=1
	v_add_u32_e32 v5, v3, v1
	v_lshrrev_b32_e32 v5, 1, v5
	v_xad_u32 v9, v5, -1, v4
	ds_read_u8 v10, v5
	ds_read_u8 v9, v9
	v_add_u32_e32 v11, 1, v5
	s_waitcnt lgkmcnt(0)
	v_cmp_gt_u16_e32 vcc, v9, v10
	s_nop 1
	v_cndmask_b32_e32 v3, v3, v5, vcc
	v_cndmask_b32_e32 v1, v11, v1, vcc
	v_cmp_ge_u32_e32 vcc, v1, v3
	s_or_b64 s[2:3], vcc, s[2:3]
	s_andn2_b64 exec, exec, s[2:3]
	s_cbranch_execnz .LBB161_11
; %bb.12:
	s_or_b64 exec, exec, s[2:3]
.LBB161_13:
	s_or_b64 exec, exec, s[0:1]
	v_sub_u32_e32 v2, v2, v1
	v_add_u32_e32 v2, s13, v2
	v_cmp_ge_u32_e32 vcc, s13, v1
	v_cmp_le_u32_e64 s[0:1], v2, v7
	s_or_b64 s[0:1], vcc, s[0:1]
	v_mov_b32_e32 v9, 0
	v_mov_b32_e32 v10, 0
	s_and_saveexec_b64 s[4:5], s[0:1]
	s_cbranch_execz .LBB161_19
; %bb.14:
	v_cmp_gt_u32_e32 vcc, s13, v1
                                        ; implicit-def: $vgpr3
	s_and_saveexec_b64 s[0:1], vcc
; %bb.15:
	ds_read_u8 v3, v1
; %bb.16:
	s_or_b64 exec, exec, s[0:1]
	v_cmp_ge_u32_e64 s[0:1], v2, v7
	v_cmp_lt_u32_e64 s[2:3], v2, v7
                                        ; implicit-def: $vgpr4
	s_and_saveexec_b64 s[20:21], s[2:3]
; %bb.17:
	ds_read_u8 v4, v2
; %bb.18:
	s_or_b64 exec, exec, s[20:21]
	s_waitcnt lgkmcnt(0)
	v_cmp_le_u16_sdwa s[2:3], v4, v3 src0_sel:BYTE_0 src1_sel:BYTE_0
	s_and_b64 s[2:3], vcc, s[2:3]
	s_or_b64 vcc, s[0:1], s[2:3]
	v_mov_b32_e32 v5, s13
	v_cndmask_b32_e32 v10, v2, v1, vcc
	v_cndmask_b32_e32 v5, v7, v5, vcc
	v_add_u32_e32 v6, 1, v10
	v_add_u32_e32 v5, -1, v5
	v_min_u32_e32 v5, v6, v5
	ds_read_u8 v5, v5
	v_cndmask_b32_e32 v11, v4, v3, vcc
	v_cndmask_b32_e32 v1, v1, v6, vcc
	;; [unrolled: 1-line block ×3, first 2 shown]
	v_cmp_gt_u32_e64 s[0:1], s13, v1
	s_waitcnt lgkmcnt(0)
	v_cndmask_b32_e32 v4, v5, v4, vcc
	v_cndmask_b32_e32 v3, v3, v5, vcc
	v_cmp_le_u16_sdwa s[2:3], v4, v3 src0_sel:BYTE_0 src1_sel:BYTE_0
	v_cmp_ge_u32_e32 vcc, v2, v7
	s_and_b64 s[0:1], s[0:1], s[2:3]
	s_or_b64 vcc, vcc, s[0:1]
	s_movk_i32 s20, 0xff
	v_cndmask_b32_e32 v9, v2, v1, vcc
	v_cndmask_b32_sdwa v1, v4, v3, vcc dst_sel:BYTE_1 dst_unused:UNUSED_PAD src0_sel:DWORD src1_sel:DWORD
	s_nop 0
	v_bitop3_b16 v1, v11, v1, s20 bitop3:0xec
	v_and_b32_e32 v6, 0xffff, v1
.LBB161_19:
	s_or_b64 exec, exec, s[4:5]
	s_lshl_b64 s[0:1], s[16:17], 3
	s_add_u32 s16, s8, s0
	s_addc_u32 s17, s9, s1
	s_lshl_b64 s[0:1], s[18:19], 3
	s_add_u32 s8, s8, s0
	v_cndmask_b32_e64 v2, 0, 1, s[14:15]
	v_mov_b32_e32 v1, 0
	s_addc_u32 s9, s9, s1
	v_cmp_gt_u32_e64 s[4:5], s13, v0
	v_cmp_ne_u32_e64 s[0:1], 1, v2
	s_andn2_b64 vcc, exec, s[14:15]
	v_cmp_le_u32_e64 s[2:3], s13, v0
	s_barrier
	s_cbranch_vccnz .LBB161_21
; %bb.20:
	v_subrev_u32_e32 v4, s13, v0
	v_lshlrev_b32_e32 v2, 3, v0
	v_mov_b32_e32 v3, v1
	v_lshlrev_b32_e32 v4, 3, v4
	v_mov_b32_e32 v5, v1
	v_lshl_add_u64 v[2:3], s[16:17], 0, v[2:3]
	v_lshl_add_u64 v[4:5], s[8:9], 0, v[4:5]
	v_cndmask_b32_e64 v3, v5, v3, s[4:5]
	v_cndmask_b32_e64 v2, v4, v2, s[4:5]
	global_load_dwordx2 v[12:13], v[2:3], off
	v_or_b32_e32 v11, 0x200, v0
	v_mov_b32_e32 v2, s9
	v_mov_b32_e32 v3, s17
	;; [unrolled: 1-line block ×4, first 2 shown]
	v_subrev_u32_e32 v4, s13, v11
	v_cmp_gt_u32_e32 vcc, s13, v11
	v_mad_u32_u24 v5, v0, 7, v0
	s_nop 0
	v_cndmask_b32_e32 v3, v2, v3, vcc
	v_min_u32_e32 v4, v11, v4
	v_cndmask_b32_e32 v2, v14, v15, vcc
	s_mov_b64 s[4:5], -1
	s_waitcnt vmcnt(0)
	ds_write_b64 v5, v[12:13]
	s_cbranch_execz .LBB161_22
	s_branch .LBB161_31
.LBB161_21:
	s_mov_b64 s[4:5], 0
                                        ; implicit-def: $vgpr11
                                        ; implicit-def: $vgpr2_vgpr3
                                        ; implicit-def: $vgpr4
.LBB161_22:
	s_and_saveexec_b64 s[4:5], s[2:3]
	s_xor_b64 s[2:3], exec, s[4:5]
	s_cbranch_execz .LBB161_26
; %bb.23:
	v_subrev_u32_e32 v2, s13, v0
	v_cmp_gt_u32_e32 vcc, s26, v2
	s_and_saveexec_b64 s[4:5], vcc
	s_cbranch_execz .LBB161_25
; %bb.24:
	v_lshlrev_b32_e32 v2, 3, v2
	global_load_dwordx2 v[2:3], v2, s[8:9]
	v_mad_u32_u24 v4, v0, 7, v0
	s_waitcnt vmcnt(0)
	ds_write_b64 v4, v[2:3]
.LBB161_25:
	s_or_b64 exec, exec, s[4:5]
.LBB161_26:
	s_andn2_saveexec_b64 s[2:3], s[2:3]
	s_cbranch_execz .LBB161_28
; %bb.27:
	v_lshlrev_b32_e32 v2, 3, v0
	global_load_dwordx2 v[2:3], v2, s[16:17]
	v_mad_u32_u24 v4, v0, 7, v0
	s_waitcnt vmcnt(0)
	ds_write_b64 v4, v[2:3]
.LBB161_28:
	s_or_b64 exec, exec, s[2:3]
	v_or_b32_e32 v11, 0x200, v0
	v_cmp_le_u32_e32 vcc, s13, v11
	s_mov_b64 s[4:5], -1
	v_mov_b64_e32 v[2:3], s[16:17]
	v_mov_b32_e32 v4, v11
	s_and_saveexec_b64 s[2:3], vcc
; %bb.29:
	v_subrev_u32_e32 v4, s13, v11
	v_cmp_gt_u32_e32 vcc, s26, v4
	v_mov_b64_e32 v[2:3], s[8:9]
	s_orn2_b64 s[4:5], vcc, exec
; %bb.30:
	s_or_b64 exec, exec, s[2:3]
.LBB161_31:
	s_and_saveexec_b64 s[2:3], s[4:5]
	s_cbranch_execz .LBB161_33
; %bb.32:
	v_mov_b32_e32 v5, 0
	v_lshl_add_u64 v[2:3], v[4:5], 3, v[2:3]
	global_load_dwordx2 v[2:3], v[2:3], off
	v_lshlrev_b32_e32 v4, 3, v11
	s_waitcnt vmcnt(0)
	ds_write_b64 v4, v[2:3]
.LBB161_33:
	s_or_b64 exec, exec, s[2:3]
	s_and_b64 vcc, exec, s[0:1]
	v_add_u32_e32 v2, s25, v8
	s_waitcnt lgkmcnt(0)
	s_barrier
	s_cbranch_vccnz .LBB161_35
; %bb.34:
	v_lshlrev_b32_e32 v3, 3, v10
	ds_read_b64 v[4:5], v3
	v_mov_b32_e32 v3, 0
	v_lshl_add_u64 v[12:13], v[2:3], 3, s[10:11]
	s_mov_b64 s[0:1], -1
	s_waitcnt lgkmcnt(0)
	global_store_dwordx2 v[12:13], v[4:5], off
	s_cbranch_execz .LBB161_36
	s_branch .LBB161_41
.LBB161_35:
	s_mov_b64 s[0:1], 0
.LBB161_36:
	v_cmp_lt_u32_e32 vcc, v8, v7
	s_and_saveexec_b64 s[2:3], vcc
	s_cbranch_execz .LBB161_38
; %bb.37:
	v_lshlrev_b32_e32 v3, 3, v10
	ds_read_b64 v[4:5], v3
	v_mov_b32_e32 v3, 0
	v_lshl_add_u64 v[10:11], v[2:3], 3, s[10:11]
	s_waitcnt lgkmcnt(0)
	global_store_dwordx2 v[10:11], v[4:5], off
.LBB161_38:
	s_or_b64 exec, exec, s[2:3]
	v_or_b32_e32 v3, 1, v8
	v_cmp_lt_u32_e32 vcc, v3, v7
	s_and_saveexec_b64 s[2:3], vcc
; %bb.39:
	v_mov_b32_e32 v3, 0
	s_or_b64 s[0:1], s[0:1], exec
; %bb.40:
	s_or_b64 exec, exec, s[2:3]
.LBB161_41:
	s_and_saveexec_b64 s[2:3], s[0:1]
	s_cbranch_execz .LBB161_43
; %bb.42:
	v_lshlrev_b32_e32 v4, 3, v9
	ds_read_b64 v[4:5], v4
	v_lshl_add_u64 v[2:3], v[2:3], 3, s[10:11]
	s_waitcnt lgkmcnt(0)
	global_store_dwordx2 v[2:3], v[4:5], off offset:8
.LBB161_43:
	s_or_b64 exec, exec, s[2:3]
	v_lshrrev_b32_e32 v2, 4, v0
	v_and_b32_e32 v2, 28, v2
	v_add_u32_e32 v2, v2, v8
	s_barrier
	s_barrier
	ds_write_b16 v2, v6
	v_lshrrev_b32_e32 v2, 5, v0
	v_or_b32_e32 v4, 0x200, v0
	s_add_u32 s0, s6, s25
	v_and_b32_e32 v5, 12, v2
	v_lshrrev_b32_e32 v2, 5, v4
	s_addc_u32 s1, s7, 0
	v_and_b32_e32 v6, 28, v2
	v_lshl_add_u64 v[2:3], s[0:1], 0, v[0:1]
	s_and_b64 vcc, exec, s[14:15]
	v_add_u32_e32 v6, v6, v0
	s_waitcnt lgkmcnt(0)
	s_cbranch_vccz .LBB161_45
; %bb.44:
	v_add_u32_e32 v1, v5, v0
	s_barrier
	ds_read_u8 v7, v1
	ds_read_u8 v1, v6 offset:512
	s_mov_b64 s[0:1], -1
	s_waitcnt lgkmcnt(1)
	global_store_byte v[2:3], v7, off
	s_cbranch_execz .LBB161_46
	s_branch .LBB161_49
.LBB161_45:
	s_mov_b64 s[0:1], 0
                                        ; implicit-def: $vgpr1
.LBB161_46:
	s_barrier
	s_waitcnt lgkmcnt(0)
	ds_read_u8 v1, v6 offset:512
	s_sub_i32 s2, s12, s25
	v_cmp_gt_u32_e32 vcc, s2, v0
	s_and_saveexec_b64 s[0:1], vcc
	s_cbranch_execz .LBB161_48
; %bb.47:
	v_add_u32_e32 v0, v5, v0
	ds_read_u8 v0, v0
	s_waitcnt lgkmcnt(0)
	global_store_byte v[2:3], v0, off
.LBB161_48:
	s_or_b64 exec, exec, s[0:1]
	v_cmp_gt_u32_e64 s[0:1], s2, v4
.LBB161_49:
	s_and_saveexec_b64 s[2:3], s[0:1]
	s_cbranch_execz .LBB161_51
; %bb.50:
	s_waitcnt lgkmcnt(0)
	global_store_byte v[2:3], v1, off offset:512
.LBB161_51:
	s_endpgm
	.section	.rodata,"a",@progbits
	.p2align	6, 0x0
	.amdhsa_kernel _ZN7rocprim17ROCPRIM_304000_NS6detail35device_block_merge_mergepath_kernelINS1_37wrapped_merge_sort_block_merge_configINS0_14default_configEbN2at4cuda3cub6detail10OpaqueTypeILi8EEEEEPbSC_PSA_SD_jNS1_19radix_merge_compareILb1ELb0EbNS0_19identity_decomposerEEEEEvT0_T1_T2_T3_T4_SL_jT5_PKSL_NS1_7vsmem_tE
		.amdhsa_group_segment_fixed_size 8208
		.amdhsa_private_segment_fixed_size 0
		.amdhsa_kernarg_size 320
		.amdhsa_user_sgpr_count 2
		.amdhsa_user_sgpr_dispatch_ptr 0
		.amdhsa_user_sgpr_queue_ptr 0
		.amdhsa_user_sgpr_kernarg_segment_ptr 1
		.amdhsa_user_sgpr_dispatch_id 0
		.amdhsa_user_sgpr_kernarg_preload_length 0
		.amdhsa_user_sgpr_kernarg_preload_offset 0
		.amdhsa_user_sgpr_private_segment_size 0
		.amdhsa_uses_dynamic_stack 0
		.amdhsa_enable_private_segment 0
		.amdhsa_system_sgpr_workgroup_id_x 1
		.amdhsa_system_sgpr_workgroup_id_y 1
		.amdhsa_system_sgpr_workgroup_id_z 1
		.amdhsa_system_sgpr_workgroup_info 0
		.amdhsa_system_vgpr_workitem_id 0
		.amdhsa_next_free_vgpr 16
		.amdhsa_next_free_sgpr 29
		.amdhsa_accum_offset 16
		.amdhsa_reserve_vcc 1
		.amdhsa_float_round_mode_32 0
		.amdhsa_float_round_mode_16_64 0
		.amdhsa_float_denorm_mode_32 3
		.amdhsa_float_denorm_mode_16_64 3
		.amdhsa_dx10_clamp 1
		.amdhsa_ieee_mode 1
		.amdhsa_fp16_overflow 0
		.amdhsa_tg_split 0
		.amdhsa_exception_fp_ieee_invalid_op 0
		.amdhsa_exception_fp_denorm_src 0
		.amdhsa_exception_fp_ieee_div_zero 0
		.amdhsa_exception_fp_ieee_overflow 0
		.amdhsa_exception_fp_ieee_underflow 0
		.amdhsa_exception_fp_ieee_inexact 0
		.amdhsa_exception_int_div_zero 0
	.end_amdhsa_kernel
	.section	.text._ZN7rocprim17ROCPRIM_304000_NS6detail35device_block_merge_mergepath_kernelINS1_37wrapped_merge_sort_block_merge_configINS0_14default_configEbN2at4cuda3cub6detail10OpaqueTypeILi8EEEEEPbSC_PSA_SD_jNS1_19radix_merge_compareILb1ELb0EbNS0_19identity_decomposerEEEEEvT0_T1_T2_T3_T4_SL_jT5_PKSL_NS1_7vsmem_tE,"axG",@progbits,_ZN7rocprim17ROCPRIM_304000_NS6detail35device_block_merge_mergepath_kernelINS1_37wrapped_merge_sort_block_merge_configINS0_14default_configEbN2at4cuda3cub6detail10OpaqueTypeILi8EEEEEPbSC_PSA_SD_jNS1_19radix_merge_compareILb1ELb0EbNS0_19identity_decomposerEEEEEvT0_T1_T2_T3_T4_SL_jT5_PKSL_NS1_7vsmem_tE,comdat
.Lfunc_end161:
	.size	_ZN7rocprim17ROCPRIM_304000_NS6detail35device_block_merge_mergepath_kernelINS1_37wrapped_merge_sort_block_merge_configINS0_14default_configEbN2at4cuda3cub6detail10OpaqueTypeILi8EEEEEPbSC_PSA_SD_jNS1_19radix_merge_compareILb1ELb0EbNS0_19identity_decomposerEEEEEvT0_T1_T2_T3_T4_SL_jT5_PKSL_NS1_7vsmem_tE, .Lfunc_end161-_ZN7rocprim17ROCPRIM_304000_NS6detail35device_block_merge_mergepath_kernelINS1_37wrapped_merge_sort_block_merge_configINS0_14default_configEbN2at4cuda3cub6detail10OpaqueTypeILi8EEEEEPbSC_PSA_SD_jNS1_19radix_merge_compareILb1ELb0EbNS0_19identity_decomposerEEEEEvT0_T1_T2_T3_T4_SL_jT5_PKSL_NS1_7vsmem_tE
                                        ; -- End function
	.set _ZN7rocprim17ROCPRIM_304000_NS6detail35device_block_merge_mergepath_kernelINS1_37wrapped_merge_sort_block_merge_configINS0_14default_configEbN2at4cuda3cub6detail10OpaqueTypeILi8EEEEEPbSC_PSA_SD_jNS1_19radix_merge_compareILb1ELb0EbNS0_19identity_decomposerEEEEEvT0_T1_T2_T3_T4_SL_jT5_PKSL_NS1_7vsmem_tE.num_vgpr, 16
	.set _ZN7rocprim17ROCPRIM_304000_NS6detail35device_block_merge_mergepath_kernelINS1_37wrapped_merge_sort_block_merge_configINS0_14default_configEbN2at4cuda3cub6detail10OpaqueTypeILi8EEEEEPbSC_PSA_SD_jNS1_19radix_merge_compareILb1ELb0EbNS0_19identity_decomposerEEEEEvT0_T1_T2_T3_T4_SL_jT5_PKSL_NS1_7vsmem_tE.num_agpr, 0
	.set _ZN7rocprim17ROCPRIM_304000_NS6detail35device_block_merge_mergepath_kernelINS1_37wrapped_merge_sort_block_merge_configINS0_14default_configEbN2at4cuda3cub6detail10OpaqueTypeILi8EEEEEPbSC_PSA_SD_jNS1_19radix_merge_compareILb1ELb0EbNS0_19identity_decomposerEEEEEvT0_T1_T2_T3_T4_SL_jT5_PKSL_NS1_7vsmem_tE.numbered_sgpr, 29
	.set _ZN7rocprim17ROCPRIM_304000_NS6detail35device_block_merge_mergepath_kernelINS1_37wrapped_merge_sort_block_merge_configINS0_14default_configEbN2at4cuda3cub6detail10OpaqueTypeILi8EEEEEPbSC_PSA_SD_jNS1_19radix_merge_compareILb1ELb0EbNS0_19identity_decomposerEEEEEvT0_T1_T2_T3_T4_SL_jT5_PKSL_NS1_7vsmem_tE.num_named_barrier, 0
	.set _ZN7rocprim17ROCPRIM_304000_NS6detail35device_block_merge_mergepath_kernelINS1_37wrapped_merge_sort_block_merge_configINS0_14default_configEbN2at4cuda3cub6detail10OpaqueTypeILi8EEEEEPbSC_PSA_SD_jNS1_19radix_merge_compareILb1ELb0EbNS0_19identity_decomposerEEEEEvT0_T1_T2_T3_T4_SL_jT5_PKSL_NS1_7vsmem_tE.private_seg_size, 0
	.set _ZN7rocprim17ROCPRIM_304000_NS6detail35device_block_merge_mergepath_kernelINS1_37wrapped_merge_sort_block_merge_configINS0_14default_configEbN2at4cuda3cub6detail10OpaqueTypeILi8EEEEEPbSC_PSA_SD_jNS1_19radix_merge_compareILb1ELb0EbNS0_19identity_decomposerEEEEEvT0_T1_T2_T3_T4_SL_jT5_PKSL_NS1_7vsmem_tE.uses_vcc, 1
	.set _ZN7rocprim17ROCPRIM_304000_NS6detail35device_block_merge_mergepath_kernelINS1_37wrapped_merge_sort_block_merge_configINS0_14default_configEbN2at4cuda3cub6detail10OpaqueTypeILi8EEEEEPbSC_PSA_SD_jNS1_19radix_merge_compareILb1ELb0EbNS0_19identity_decomposerEEEEEvT0_T1_T2_T3_T4_SL_jT5_PKSL_NS1_7vsmem_tE.uses_flat_scratch, 0
	.set _ZN7rocprim17ROCPRIM_304000_NS6detail35device_block_merge_mergepath_kernelINS1_37wrapped_merge_sort_block_merge_configINS0_14default_configEbN2at4cuda3cub6detail10OpaqueTypeILi8EEEEEPbSC_PSA_SD_jNS1_19radix_merge_compareILb1ELb0EbNS0_19identity_decomposerEEEEEvT0_T1_T2_T3_T4_SL_jT5_PKSL_NS1_7vsmem_tE.has_dyn_sized_stack, 0
	.set _ZN7rocprim17ROCPRIM_304000_NS6detail35device_block_merge_mergepath_kernelINS1_37wrapped_merge_sort_block_merge_configINS0_14default_configEbN2at4cuda3cub6detail10OpaqueTypeILi8EEEEEPbSC_PSA_SD_jNS1_19radix_merge_compareILb1ELb0EbNS0_19identity_decomposerEEEEEvT0_T1_T2_T3_T4_SL_jT5_PKSL_NS1_7vsmem_tE.has_recursion, 0
	.set _ZN7rocprim17ROCPRIM_304000_NS6detail35device_block_merge_mergepath_kernelINS1_37wrapped_merge_sort_block_merge_configINS0_14default_configEbN2at4cuda3cub6detail10OpaqueTypeILi8EEEEEPbSC_PSA_SD_jNS1_19radix_merge_compareILb1ELb0EbNS0_19identity_decomposerEEEEEvT0_T1_T2_T3_T4_SL_jT5_PKSL_NS1_7vsmem_tE.has_indirect_call, 0
	.section	.AMDGPU.csdata,"",@progbits
; Kernel info:
; codeLenInByte = 1816
; TotalNumSgprs: 35
; NumVgprs: 16
; NumAgprs: 0
; TotalNumVgprs: 16
; ScratchSize: 0
; MemoryBound: 0
; FloatMode: 240
; IeeeMode: 1
; LDSByteSize: 8208 bytes/workgroup (compile time only)
; SGPRBlocks: 4
; VGPRBlocks: 1
; NumSGPRsForWavesPerEU: 35
; NumVGPRsForWavesPerEU: 16
; AccumOffset: 16
; Occupancy: 8
; WaveLimiterHint : 1
; COMPUTE_PGM_RSRC2:SCRATCH_EN: 0
; COMPUTE_PGM_RSRC2:USER_SGPR: 2
; COMPUTE_PGM_RSRC2:TRAP_HANDLER: 0
; COMPUTE_PGM_RSRC2:TGID_X_EN: 1
; COMPUTE_PGM_RSRC2:TGID_Y_EN: 1
; COMPUTE_PGM_RSRC2:TGID_Z_EN: 1
; COMPUTE_PGM_RSRC2:TIDIG_COMP_CNT: 0
; COMPUTE_PGM_RSRC3_GFX90A:ACCUM_OFFSET: 3
; COMPUTE_PGM_RSRC3_GFX90A:TG_SPLIT: 0
	.section	.text._ZN7rocprim17ROCPRIM_304000_NS6detail33device_block_merge_oddeven_kernelINS1_37wrapped_merge_sort_block_merge_configINS0_14default_configEbN2at4cuda3cub6detail10OpaqueTypeILi8EEEEEPbSC_PSA_SD_jNS1_19radix_merge_compareILb1ELb0EbNS0_19identity_decomposerEEEEEvT0_T1_T2_T3_T4_SL_T5_,"axG",@progbits,_ZN7rocprim17ROCPRIM_304000_NS6detail33device_block_merge_oddeven_kernelINS1_37wrapped_merge_sort_block_merge_configINS0_14default_configEbN2at4cuda3cub6detail10OpaqueTypeILi8EEEEEPbSC_PSA_SD_jNS1_19radix_merge_compareILb1ELb0EbNS0_19identity_decomposerEEEEEvT0_T1_T2_T3_T4_SL_T5_,comdat
	.protected	_ZN7rocprim17ROCPRIM_304000_NS6detail33device_block_merge_oddeven_kernelINS1_37wrapped_merge_sort_block_merge_configINS0_14default_configEbN2at4cuda3cub6detail10OpaqueTypeILi8EEEEEPbSC_PSA_SD_jNS1_19radix_merge_compareILb1ELb0EbNS0_19identity_decomposerEEEEEvT0_T1_T2_T3_T4_SL_T5_ ; -- Begin function _ZN7rocprim17ROCPRIM_304000_NS6detail33device_block_merge_oddeven_kernelINS1_37wrapped_merge_sort_block_merge_configINS0_14default_configEbN2at4cuda3cub6detail10OpaqueTypeILi8EEEEEPbSC_PSA_SD_jNS1_19radix_merge_compareILb1ELb0EbNS0_19identity_decomposerEEEEEvT0_T1_T2_T3_T4_SL_T5_
	.globl	_ZN7rocprim17ROCPRIM_304000_NS6detail33device_block_merge_oddeven_kernelINS1_37wrapped_merge_sort_block_merge_configINS0_14default_configEbN2at4cuda3cub6detail10OpaqueTypeILi8EEEEEPbSC_PSA_SD_jNS1_19radix_merge_compareILb1ELb0EbNS0_19identity_decomposerEEEEEvT0_T1_T2_T3_T4_SL_T5_
	.p2align	8
	.type	_ZN7rocprim17ROCPRIM_304000_NS6detail33device_block_merge_oddeven_kernelINS1_37wrapped_merge_sort_block_merge_configINS0_14default_configEbN2at4cuda3cub6detail10OpaqueTypeILi8EEEEEPbSC_PSA_SD_jNS1_19radix_merge_compareILb1ELb0EbNS0_19identity_decomposerEEEEEvT0_T1_T2_T3_T4_SL_T5_,@function
_ZN7rocprim17ROCPRIM_304000_NS6detail33device_block_merge_oddeven_kernelINS1_37wrapped_merge_sort_block_merge_configINS0_14default_configEbN2at4cuda3cub6detail10OpaqueTypeILi8EEEEEPbSC_PSA_SD_jNS1_19radix_merge_compareILb1ELb0EbNS0_19identity_decomposerEEEEEvT0_T1_T2_T3_T4_SL_T5_: ; @_ZN7rocprim17ROCPRIM_304000_NS6detail33device_block_merge_oddeven_kernelINS1_37wrapped_merge_sort_block_merge_configINS0_14default_configEbN2at4cuda3cub6detail10OpaqueTypeILi8EEEEEPbSC_PSA_SD_jNS1_19radix_merge_compareILb1ELb0EbNS0_19identity_decomposerEEEEEvT0_T1_T2_T3_T4_SL_T5_
; %bb.0:
	s_load_dwordx2 s[16:17], s[0:1], 0x20
	s_waitcnt lgkmcnt(0)
	s_lshr_b32 s3, s16, 8
	s_cmp_eq_u32 s2, s3
	s_cselect_b64 s[6:7], -1, 0
	s_cmp_lg_u32 s2, s3
	s_cselect_b64 s[8:9], -1, 0
	s_lshl_b32 s18, s2, 8
	s_sub_i32 s3, s16, s18
	v_cmp_gt_u32_e64 s[4:5], s3, v0
	s_or_b64 s[8:9], s[8:9], s[4:5]
	s_and_saveexec_b64 s[10:11], s[8:9]
	s_cbranch_execz .LBB162_24
; %bb.1:
	s_load_dwordx8 s[8:15], s[0:1], 0x0
	s_mov_b32 s19, 0
	v_lshlrev_b32_e32 v1, 3, v0
	s_waitcnt lgkmcnt(0)
	s_add_u32 s0, s8, s18
	s_addc_u32 s1, s9, 0
	s_lshl_b64 s[20:21], s[18:19], 3
	s_add_u32 s12, s12, s20
	s_addc_u32 s13, s13, s21
	global_load_dwordx2 v[2:3], v1, s[12:13]
	global_load_ubyte v4, v0, s[0:1]
	s_lshr_b32 s0, s17, 8
	s_sub_i32 s1, 0, s0
	s_and_b32 s1, s2, s1
	s_and_b32 s0, s1, s0
	s_lshl_b32 s19, s1, 8
	s_sub_i32 s12, 0, s17
	s_cmp_eq_u32 s0, 0
	s_cselect_b64 s[0:1], -1, 0
	s_and_b64 s[2:3], s[0:1], exec
	s_cselect_b32 s12, s17, s12
	s_add_i32 s12, s12, s19
	s_mov_b64 s[2:3], -1
	s_cmp_gt_u32 s16, s12
	v_add_u32_e32 v0, s18, v0
	s_cbranch_scc1 .LBB162_9
; %bb.2:
	s_and_b64 vcc, exec, s[6:7]
	s_cbranch_vccz .LBB162_6
; %bb.3:
	v_cmp_gt_u32_e32 vcc, s16, v0
	s_and_saveexec_b64 s[2:3], vcc
	s_cbranch_execz .LBB162_5
; %bb.4:
	v_mov_b32_e32 v1, 0
	v_lshl_add_u64 v[6:7], v[0:1], 3, s[14:15]
	s_waitcnt vmcnt(0)
	global_store_byte v0, v4, s[10:11]
	global_store_dwordx2 v[6:7], v[2:3], off
.LBB162_5:
	s_or_b64 exec, exec, s[2:3]
	s_mov_b64 s[2:3], 0
.LBB162_6:
	s_andn2_b64 vcc, exec, s[2:3]
	s_cbranch_vccnz .LBB162_8
; %bb.7:
	v_mov_b32_e32 v1, 0
	v_lshl_add_u64 v[6:7], v[0:1], 3, s[14:15]
	s_waitcnt vmcnt(0)
	global_store_byte v0, v4, s[10:11]
	global_store_dwordx2 v[6:7], v[2:3], off
.LBB162_8:
	s_mov_b64 s[2:3], 0
.LBB162_9:
	s_andn2_b64 vcc, exec, s[2:3]
	s_cbranch_vccnz .LBB162_24
; %bb.10:
	s_min_u32 s13, s12, s16
	s_add_i32 s2, s13, s17
	s_min_u32 s16, s2, s16
	s_min_u32 s2, s19, s13
	s_add_i32 s19, s19, s13
	v_subrev_u32_e32 v0, s19, v0
	v_add_u32_e32 v0, s2, v0
	s_andn2_b64 vcc, exec, s[6:7]
	s_mov_b64 s[2:3], -1
	s_cbranch_vccnz .LBB162_18
; %bb.11:
	s_and_saveexec_b64 s[2:3], s[4:5]
	s_cbranch_execz .LBB162_17
; %bb.12:
	s_cmp_ge_u32 s12, s16
	v_mov_b32_e32 v1, s13
	s_cbranch_scc1 .LBB162_16
; %bb.13:
	s_mov_b64 s[4:5], 0
	v_mov_b32_e32 v5, s16
	v_mov_b32_e32 v1, s13
.LBB162_14:                             ; =>This Inner Loop Header: Depth=1
	v_add_u32_e32 v6, v1, v5
	v_lshrrev_b32_e32 v6, 1, v6
	global_load_ubyte v7, v6, s[8:9]
	v_add_u32_e32 v8, 1, v6
	s_waitcnt vmcnt(0)
	v_cmp_gt_u16_sdwa s[6:7], v7, v4 src0_sel:DWORD src1_sel:BYTE_0
	s_nop 1
	v_cndmask_b32_e64 v9, 0, 1, s[6:7]
	v_cmp_le_u16_sdwa s[6:7], v4, v7 src0_sel:BYTE_0 src1_sel:DWORD
	s_nop 1
	v_cndmask_b32_e64 v7, 0, 1, s[6:7]
	v_cndmask_b32_e64 v7, v7, v9, s[0:1]
	v_and_b32_e32 v7, 1, v7
	v_cmp_eq_u32_e32 vcc, 1, v7
	s_nop 1
	v_cndmask_b32_e32 v5, v6, v5, vcc
	v_cndmask_b32_e32 v1, v1, v8, vcc
	v_cmp_ge_u32_e32 vcc, v1, v5
	s_or_b64 s[4:5], vcc, s[4:5]
	s_andn2_b64 exec, exec, s[4:5]
	s_cbranch_execnz .LBB162_14
; %bb.15:
	s_or_b64 exec, exec, s[4:5]
.LBB162_16:
	v_add_u32_e32 v6, v1, v0
	v_mov_b32_e32 v7, 0
	s_waitcnt vmcnt(0)
	global_store_byte v6, v4, s[10:11]
	v_lshl_add_u64 v[6:7], v[6:7], 3, s[14:15]
	global_store_dwordx2 v[6:7], v[2:3], off
.LBB162_17:
	s_or_b64 exec, exec, s[2:3]
	s_mov_b64 s[2:3], 0
.LBB162_18:
	s_andn2_b64 vcc, exec, s[2:3]
	s_cbranch_vccnz .LBB162_24
; %bb.19:
	s_cmp_ge_u32 s12, s16
	v_mov_b32_e32 v1, s13
	s_cbranch_scc1 .LBB162_23
; %bb.20:
	s_mov_b64 s[2:3], 0
	v_mov_b32_e32 v5, s16
	v_mov_b32_e32 v1, s13
.LBB162_21:                             ; =>This Inner Loop Header: Depth=1
	v_add_u32_e32 v6, v1, v5
	v_lshrrev_b32_e32 v6, 1, v6
	global_load_ubyte v7, v6, s[8:9]
	v_add_u32_e32 v8, 1, v6
	s_waitcnt vmcnt(0)
	v_cmp_gt_u16_sdwa s[4:5], v7, v4 src0_sel:DWORD src1_sel:BYTE_0
	s_nop 1
	v_cndmask_b32_e64 v9, 0, 1, s[4:5]
	v_cmp_le_u16_sdwa s[4:5], v4, v7 src0_sel:BYTE_0 src1_sel:DWORD
	s_nop 1
	v_cndmask_b32_e64 v7, 0, 1, s[4:5]
	v_cndmask_b32_e64 v7, v7, v9, s[0:1]
	v_and_b32_e32 v7, 1, v7
	v_cmp_eq_u32_e32 vcc, 1, v7
	s_nop 1
	v_cndmask_b32_e32 v5, v6, v5, vcc
	v_cndmask_b32_e32 v1, v1, v8, vcc
	v_cmp_ge_u32_e32 vcc, v1, v5
	s_or_b64 s[2:3], vcc, s[2:3]
	s_andn2_b64 exec, exec, s[2:3]
	s_cbranch_execnz .LBB162_21
; %bb.22:
	s_or_b64 exec, exec, s[2:3]
.LBB162_23:
	v_add_u32_e32 v0, v1, v0
	v_mov_b32_e32 v1, 0
	s_waitcnt vmcnt(0)
	global_store_byte v0, v4, s[10:11]
	v_lshl_add_u64 v[0:1], v[0:1], 3, s[14:15]
	global_store_dwordx2 v[0:1], v[2:3], off
.LBB162_24:
	s_endpgm
	.section	.rodata,"a",@progbits
	.p2align	6, 0x0
	.amdhsa_kernel _ZN7rocprim17ROCPRIM_304000_NS6detail33device_block_merge_oddeven_kernelINS1_37wrapped_merge_sort_block_merge_configINS0_14default_configEbN2at4cuda3cub6detail10OpaqueTypeILi8EEEEEPbSC_PSA_SD_jNS1_19radix_merge_compareILb1ELb0EbNS0_19identity_decomposerEEEEEvT0_T1_T2_T3_T4_SL_T5_
		.amdhsa_group_segment_fixed_size 0
		.amdhsa_private_segment_fixed_size 0
		.amdhsa_kernarg_size 44
		.amdhsa_user_sgpr_count 2
		.amdhsa_user_sgpr_dispatch_ptr 0
		.amdhsa_user_sgpr_queue_ptr 0
		.amdhsa_user_sgpr_kernarg_segment_ptr 1
		.amdhsa_user_sgpr_dispatch_id 0
		.amdhsa_user_sgpr_kernarg_preload_length 0
		.amdhsa_user_sgpr_kernarg_preload_offset 0
		.amdhsa_user_sgpr_private_segment_size 0
		.amdhsa_uses_dynamic_stack 0
		.amdhsa_enable_private_segment 0
		.amdhsa_system_sgpr_workgroup_id_x 1
		.amdhsa_system_sgpr_workgroup_id_y 0
		.amdhsa_system_sgpr_workgroup_id_z 0
		.amdhsa_system_sgpr_workgroup_info 0
		.amdhsa_system_vgpr_workitem_id 0
		.amdhsa_next_free_vgpr 10
		.amdhsa_next_free_sgpr 22
		.amdhsa_accum_offset 12
		.amdhsa_reserve_vcc 1
		.amdhsa_float_round_mode_32 0
		.amdhsa_float_round_mode_16_64 0
		.amdhsa_float_denorm_mode_32 3
		.amdhsa_float_denorm_mode_16_64 3
		.amdhsa_dx10_clamp 1
		.amdhsa_ieee_mode 1
		.amdhsa_fp16_overflow 0
		.amdhsa_tg_split 0
		.amdhsa_exception_fp_ieee_invalid_op 0
		.amdhsa_exception_fp_denorm_src 0
		.amdhsa_exception_fp_ieee_div_zero 0
		.amdhsa_exception_fp_ieee_overflow 0
		.amdhsa_exception_fp_ieee_underflow 0
		.amdhsa_exception_fp_ieee_inexact 0
		.amdhsa_exception_int_div_zero 0
	.end_amdhsa_kernel
	.section	.text._ZN7rocprim17ROCPRIM_304000_NS6detail33device_block_merge_oddeven_kernelINS1_37wrapped_merge_sort_block_merge_configINS0_14default_configEbN2at4cuda3cub6detail10OpaqueTypeILi8EEEEEPbSC_PSA_SD_jNS1_19radix_merge_compareILb1ELb0EbNS0_19identity_decomposerEEEEEvT0_T1_T2_T3_T4_SL_T5_,"axG",@progbits,_ZN7rocprim17ROCPRIM_304000_NS6detail33device_block_merge_oddeven_kernelINS1_37wrapped_merge_sort_block_merge_configINS0_14default_configEbN2at4cuda3cub6detail10OpaqueTypeILi8EEEEEPbSC_PSA_SD_jNS1_19radix_merge_compareILb1ELb0EbNS0_19identity_decomposerEEEEEvT0_T1_T2_T3_T4_SL_T5_,comdat
.Lfunc_end162:
	.size	_ZN7rocprim17ROCPRIM_304000_NS6detail33device_block_merge_oddeven_kernelINS1_37wrapped_merge_sort_block_merge_configINS0_14default_configEbN2at4cuda3cub6detail10OpaqueTypeILi8EEEEEPbSC_PSA_SD_jNS1_19radix_merge_compareILb1ELb0EbNS0_19identity_decomposerEEEEEvT0_T1_T2_T3_T4_SL_T5_, .Lfunc_end162-_ZN7rocprim17ROCPRIM_304000_NS6detail33device_block_merge_oddeven_kernelINS1_37wrapped_merge_sort_block_merge_configINS0_14default_configEbN2at4cuda3cub6detail10OpaqueTypeILi8EEEEEPbSC_PSA_SD_jNS1_19radix_merge_compareILb1ELb0EbNS0_19identity_decomposerEEEEEvT0_T1_T2_T3_T4_SL_T5_
                                        ; -- End function
	.set _ZN7rocprim17ROCPRIM_304000_NS6detail33device_block_merge_oddeven_kernelINS1_37wrapped_merge_sort_block_merge_configINS0_14default_configEbN2at4cuda3cub6detail10OpaqueTypeILi8EEEEEPbSC_PSA_SD_jNS1_19radix_merge_compareILb1ELb0EbNS0_19identity_decomposerEEEEEvT0_T1_T2_T3_T4_SL_T5_.num_vgpr, 10
	.set _ZN7rocprim17ROCPRIM_304000_NS6detail33device_block_merge_oddeven_kernelINS1_37wrapped_merge_sort_block_merge_configINS0_14default_configEbN2at4cuda3cub6detail10OpaqueTypeILi8EEEEEPbSC_PSA_SD_jNS1_19radix_merge_compareILb1ELb0EbNS0_19identity_decomposerEEEEEvT0_T1_T2_T3_T4_SL_T5_.num_agpr, 0
	.set _ZN7rocprim17ROCPRIM_304000_NS6detail33device_block_merge_oddeven_kernelINS1_37wrapped_merge_sort_block_merge_configINS0_14default_configEbN2at4cuda3cub6detail10OpaqueTypeILi8EEEEEPbSC_PSA_SD_jNS1_19radix_merge_compareILb1ELb0EbNS0_19identity_decomposerEEEEEvT0_T1_T2_T3_T4_SL_T5_.numbered_sgpr, 22
	.set _ZN7rocprim17ROCPRIM_304000_NS6detail33device_block_merge_oddeven_kernelINS1_37wrapped_merge_sort_block_merge_configINS0_14default_configEbN2at4cuda3cub6detail10OpaqueTypeILi8EEEEEPbSC_PSA_SD_jNS1_19radix_merge_compareILb1ELb0EbNS0_19identity_decomposerEEEEEvT0_T1_T2_T3_T4_SL_T5_.num_named_barrier, 0
	.set _ZN7rocprim17ROCPRIM_304000_NS6detail33device_block_merge_oddeven_kernelINS1_37wrapped_merge_sort_block_merge_configINS0_14default_configEbN2at4cuda3cub6detail10OpaqueTypeILi8EEEEEPbSC_PSA_SD_jNS1_19radix_merge_compareILb1ELb0EbNS0_19identity_decomposerEEEEEvT0_T1_T2_T3_T4_SL_T5_.private_seg_size, 0
	.set _ZN7rocprim17ROCPRIM_304000_NS6detail33device_block_merge_oddeven_kernelINS1_37wrapped_merge_sort_block_merge_configINS0_14default_configEbN2at4cuda3cub6detail10OpaqueTypeILi8EEEEEPbSC_PSA_SD_jNS1_19radix_merge_compareILb1ELb0EbNS0_19identity_decomposerEEEEEvT0_T1_T2_T3_T4_SL_T5_.uses_vcc, 1
	.set _ZN7rocprim17ROCPRIM_304000_NS6detail33device_block_merge_oddeven_kernelINS1_37wrapped_merge_sort_block_merge_configINS0_14default_configEbN2at4cuda3cub6detail10OpaqueTypeILi8EEEEEPbSC_PSA_SD_jNS1_19radix_merge_compareILb1ELb0EbNS0_19identity_decomposerEEEEEvT0_T1_T2_T3_T4_SL_T5_.uses_flat_scratch, 0
	.set _ZN7rocprim17ROCPRIM_304000_NS6detail33device_block_merge_oddeven_kernelINS1_37wrapped_merge_sort_block_merge_configINS0_14default_configEbN2at4cuda3cub6detail10OpaqueTypeILi8EEEEEPbSC_PSA_SD_jNS1_19radix_merge_compareILb1ELb0EbNS0_19identity_decomposerEEEEEvT0_T1_T2_T3_T4_SL_T5_.has_dyn_sized_stack, 0
	.set _ZN7rocprim17ROCPRIM_304000_NS6detail33device_block_merge_oddeven_kernelINS1_37wrapped_merge_sort_block_merge_configINS0_14default_configEbN2at4cuda3cub6detail10OpaqueTypeILi8EEEEEPbSC_PSA_SD_jNS1_19radix_merge_compareILb1ELb0EbNS0_19identity_decomposerEEEEEvT0_T1_T2_T3_T4_SL_T5_.has_recursion, 0
	.set _ZN7rocprim17ROCPRIM_304000_NS6detail33device_block_merge_oddeven_kernelINS1_37wrapped_merge_sort_block_merge_configINS0_14default_configEbN2at4cuda3cub6detail10OpaqueTypeILi8EEEEEPbSC_PSA_SD_jNS1_19radix_merge_compareILb1ELb0EbNS0_19identity_decomposerEEEEEvT0_T1_T2_T3_T4_SL_T5_.has_indirect_call, 0
	.section	.AMDGPU.csdata,"",@progbits
; Kernel info:
; codeLenInByte = 700
; TotalNumSgprs: 28
; NumVgprs: 10
; NumAgprs: 0
; TotalNumVgprs: 10
; ScratchSize: 0
; MemoryBound: 0
; FloatMode: 240
; IeeeMode: 1
; LDSByteSize: 0 bytes/workgroup (compile time only)
; SGPRBlocks: 3
; VGPRBlocks: 1
; NumSGPRsForWavesPerEU: 28
; NumVGPRsForWavesPerEU: 10
; AccumOffset: 12
; Occupancy: 8
; WaveLimiterHint : 0
; COMPUTE_PGM_RSRC2:SCRATCH_EN: 0
; COMPUTE_PGM_RSRC2:USER_SGPR: 2
; COMPUTE_PGM_RSRC2:TRAP_HANDLER: 0
; COMPUTE_PGM_RSRC2:TGID_X_EN: 1
; COMPUTE_PGM_RSRC2:TGID_Y_EN: 0
; COMPUTE_PGM_RSRC2:TGID_Z_EN: 0
; COMPUTE_PGM_RSRC2:TIDIG_COMP_CNT: 0
; COMPUTE_PGM_RSRC3_GFX90A:ACCUM_OFFSET: 2
; COMPUTE_PGM_RSRC3_GFX90A:TG_SPLIT: 0
	.section	.text._ZN7rocprim17ROCPRIM_304000_NS6detail16transform_kernelINS1_24wrapped_transform_configINS0_14default_configEbEEbPbS6_NS0_8identityIbEEEEvT1_mT2_T3_,"axG",@progbits,_ZN7rocprim17ROCPRIM_304000_NS6detail16transform_kernelINS1_24wrapped_transform_configINS0_14default_configEbEEbPbS6_NS0_8identityIbEEEEvT1_mT2_T3_,comdat
	.protected	_ZN7rocprim17ROCPRIM_304000_NS6detail16transform_kernelINS1_24wrapped_transform_configINS0_14default_configEbEEbPbS6_NS0_8identityIbEEEEvT1_mT2_T3_ ; -- Begin function _ZN7rocprim17ROCPRIM_304000_NS6detail16transform_kernelINS1_24wrapped_transform_configINS0_14default_configEbEEbPbS6_NS0_8identityIbEEEEvT1_mT2_T3_
	.globl	_ZN7rocprim17ROCPRIM_304000_NS6detail16transform_kernelINS1_24wrapped_transform_configINS0_14default_configEbEEbPbS6_NS0_8identityIbEEEEvT1_mT2_T3_
	.p2align	8
	.type	_ZN7rocprim17ROCPRIM_304000_NS6detail16transform_kernelINS1_24wrapped_transform_configINS0_14default_configEbEEbPbS6_NS0_8identityIbEEEEvT1_mT2_T3_,@function
_ZN7rocprim17ROCPRIM_304000_NS6detail16transform_kernelINS1_24wrapped_transform_configINS0_14default_configEbEEbPbS6_NS0_8identityIbEEEEvT1_mT2_T3_: ; @_ZN7rocprim17ROCPRIM_304000_NS6detail16transform_kernelINS1_24wrapped_transform_configINS0_14default_configEbEEbPbS6_NS0_8identityIbEEEEvT1_mT2_T3_
; %bb.0:
	s_load_dword s3, s[0:1], 0x20
	s_load_dwordx4 s[4:7], s[0:1], 0x0
	s_load_dwordx2 s[14:15], s[0:1], 0x10
	s_lshl_b32 s20, s2, 10
	v_mov_b32_e32 v1, 0
	s_waitcnt lgkmcnt(0)
	s_add_i32 s3, s3, -1
	s_add_u32 s0, s4, s20
	s_addc_u32 s1, s5, 0
	s_cmp_lg_u32 s2, s3
	v_lshl_add_u64 v[2:3], s[0:1], 0, v[0:1]
	s_cbranch_scc0 .LBB163_2
; %bb.1:
	global_load_ubyte v4, v[2:3], off
	global_load_ubyte v8, v[2:3], off offset:128
	global_load_ubyte v9, v[2:3], off offset:256
	;; [unrolled: 1-line block ×7, first 2 shown]
	s_add_u32 s2, s14, s20
	s_addc_u32 s3, s15, 0
	v_lshl_add_u64 v[6:7], s[2:3], 0, v[0:1]
	s_mov_b64 s[16:17], -1
	s_waitcnt vmcnt(7)
	global_store_byte v[6:7], v4, off
	s_waitcnt vmcnt(7)
	global_store_byte v[6:7], v8, off offset:128
	s_waitcnt vmcnt(7)
	global_store_byte v[6:7], v9, off offset:256
	;; [unrolled: 2-line block ×6, first 2 shown]
	s_cbranch_execz .LBB163_3
	s_branch .LBB163_29
.LBB163_2:
	s_mov_b64 s[16:17], 0
                                        ; implicit-def: $vgpr5
.LBB163_3:
	s_sub_i32 s18, s6, s20
	v_cmp_gt_u32_e32 vcc, s18, v0
	v_mov_b32_e32 v7, 0
	v_mov_b32_e32 v10, 0
	;; [unrolled: 1-line block ×5, first 2 shown]
	s_waitcnt vmcnt(7)
	v_mov_b32_e32 v5, 0
	v_mov_b32_e32 v4, 0
	s_and_saveexec_b64 s[0:1], vcc
	s_cbranch_execz .LBB163_5
; %bb.4:
	global_load_ubyte v10, v[2:3], off
	v_mov_b32_e32 v9, 0
	v_mov_b32_e32 v8, 0
	;; [unrolled: 1-line block ×5, first 2 shown]
.LBB163_5:
	s_or_b64 exec, exec, s[0:1]
	v_or_b32_e32 v11, 0x80, v0
	v_cmp_gt_u32_e64 s[0:1], s18, v11
	v_mov_b32_e32 v11, v7
	s_and_saveexec_b64 s[2:3], s[0:1]
	s_cbranch_execz .LBB163_7
; %bb.6:
	global_load_ubyte v11, v[2:3], off offset:128
.LBB163_7:
	s_or_b64 exec, exec, s[2:3]
	v_or_b32_e32 v12, 0x100, v0
	v_cmp_gt_u32_e64 s[2:3], s18, v12
	s_and_saveexec_b64 s[4:5], s[2:3]
	s_cbranch_execz .LBB163_9
; %bb.8:
	global_load_ubyte v7, v[2:3], off offset:256
.LBB163_9:
	s_or_b64 exec, exec, s[4:5]
	v_or_b32_e32 v12, 0x180, v0
	v_cmp_gt_u32_e64 s[4:5], s18, v12
	;; [unrolled: 8-line block ×6, first 2 shown]
	s_and_saveexec_b64 s[18:19], s[12:13]
	s_cbranch_execz .LBB163_19
; %bb.18:
	global_load_ubyte v4, v[2:3], off offset:896
.LBB163_19:
	s_or_b64 exec, exec, s[18:19]
	s_waitcnt vmcnt(0)
	v_and_b32_e32 v2, 1, v10
	v_and_b32_e32 v2, 0xffff, v2
	v_mov_b32_e32 v3, 1
	v_cndmask_b32_e32 v2, 0, v2, vcc
	v_and_b32_sdwa v10, v11, v3 dst_sel:BYTE_1 dst_unused:UNUSED_PAD src0_sel:DWORD src1_sel:DWORD
	v_and_b32_sdwa v7, v7, v3 dst_sel:WORD_1 dst_unused:UNUSED_PAD src0_sel:DWORD src1_sel:DWORD
	v_or_b32_e32 v10, v2, v10
	v_and_b32_e32 v10, 0xffff, v10
	v_cndmask_b32_e64 v2, v2, v10, s[0:1]
	s_movk_i32 s19, 0x1ff
	v_and_or_b32 v7, v2, s19, v7
	v_cndmask_b32_e64 v2, v2, v7, s[2:3]
	v_lshrrev_b32_e32 v7, 16, v2
	v_and_b32_sdwa v9, v9, v3 dst_sel:BYTE_1 dst_unused:UNUSED_PAD src0_sel:DWORD src1_sel:DWORD
	s_movk_i32 s19, 0xff
	v_bitop3_b16 v7, v7, v9, s19 bitop3:0xec
	s_mov_b32 s18, 0xffff
	v_lshlrev_b32_e32 v7, 16, v7
	v_and_or_b32 v7, v2, s18, v7
	v_cndmask_b32_e64 v7, v2, v7, s[4:5]
	v_and_b32_e32 v2, 1, v8
	v_and_b32_e32 v2, 0xffff, v2
	v_cndmask_b32_e64 v2, 0, v2, s[6:7]
	v_and_b32_sdwa v6, v6, v3 dst_sel:BYTE_1 dst_unused:UNUSED_PAD src0_sel:DWORD src1_sel:DWORD
	s_movk_i32 s21, 0xff00
	v_bitop3_b16 v6, v2, v6, s19 bitop3:0xec
	v_and_b32_e32 v6, 0xffff, v6
	v_cndmask_b32_e64 v2, v2, v6, s[8:9]
	v_and_b32_sdwa v6, v2, s21 dst_sel:DWORD dst_unused:UNUSED_PAD src0_sel:WORD_1 src1_sel:DWORD
	v_bitop3_b16 v5, v5, v6, 1 bitop3:0xec
	v_lshlrev_b32_e32 v5, 16, v5
	v_and_or_b32 v5, v2, s18, v5
	v_cndmask_b32_e64 v2, v2, v5, s[10:11]
	v_lshrrev_b32_e32 v5, 16, v2
	v_and_b32_sdwa v3, v4, v3 dst_sel:BYTE_1 dst_unused:UNUSED_PAD src0_sel:DWORD src1_sel:DWORD
	s_nop 0
	v_bitop3_b16 v3, v5, v3, s19 bitop3:0xec
	v_lshlrev_b32_e32 v3, 16, v3
	v_and_or_b32 v3, v2, s18, v3
	s_add_u32 s18, s14, s20
	s_addc_u32 s19, s15, 0
	v_cndmask_b32_e64 v4, v2, v3, s[12:13]
	v_lshl_add_u64 v[2:3], s[18:19], 0, v[0:1]
	s_and_saveexec_b64 s[18:19], vcc
	s_cbranch_execnz .LBB163_32
; %bb.20:
	s_or_b64 exec, exec, s[18:19]
	s_and_saveexec_b64 s[18:19], s[0:1]
	s_cbranch_execnz .LBB163_33
.LBB163_21:
	s_or_b64 exec, exec, s[18:19]
	s_and_saveexec_b64 s[0:1], s[2:3]
	s_cbranch_execnz .LBB163_34
.LBB163_22:
	s_or_b64 exec, exec, s[0:1]
	s_and_saveexec_b64 s[0:1], s[4:5]
	s_cbranch_execnz .LBB163_35
.LBB163_23:
	s_or_b64 exec, exec, s[0:1]
	s_and_saveexec_b64 s[0:1], s[6:7]
	s_cbranch_execnz .LBB163_36
.LBB163_24:
	s_or_b64 exec, exec, s[0:1]
	s_and_saveexec_b64 s[0:1], s[8:9]
	s_cbranch_execnz .LBB163_37
.LBB163_25:
	s_or_b64 exec, exec, s[0:1]
	s_and_saveexec_b64 s[0:1], s[10:11]
	s_cbranch_execnz .LBB163_38
.LBB163_26:
	s_or_b64 exec, exec, s[0:1]
                                        ; implicit-def: $vgpr5
	s_and_saveexec_b64 s[0:1], s[12:13]
.LBB163_27:
	v_lshrrev_b32_e32 v5, 24, v4
	s_or_b64 s[16:17], s[16:17], exec
.LBB163_28:
	s_or_b64 exec, exec, s[0:1]
.LBB163_29:
	s_and_saveexec_b64 s[0:1], s[16:17]
	s_cbranch_execnz .LBB163_31
; %bb.30:
	s_endpgm
.LBB163_31:
	s_add_u32 s0, s14, s20
	s_addc_u32 s1, s15, 0
	v_lshl_add_u64 v[0:1], s[0:1], 0, v[0:1]
	s_waitcnt vmcnt(7)
	global_store_byte v[0:1], v5, off offset:896
	s_endpgm
.LBB163_32:
	global_store_byte v[2:3], v7, off
	s_or_b64 exec, exec, s[18:19]
	s_and_saveexec_b64 s[18:19], s[0:1]
	s_cbranch_execz .LBB163_21
.LBB163_33:
	v_lshrrev_b32_e32 v5, 8, v7
	global_store_byte v[2:3], v5, off offset:128
	s_or_b64 exec, exec, s[18:19]
	s_and_saveexec_b64 s[0:1], s[2:3]
	s_cbranch_execz .LBB163_22
.LBB163_34:
	global_store_byte_d16_hi v[2:3], v7, off offset:256
	s_or_b64 exec, exec, s[0:1]
	s_and_saveexec_b64 s[0:1], s[4:5]
	s_cbranch_execz .LBB163_23
.LBB163_35:
	v_lshrrev_b32_e32 v5, 24, v7
	global_store_byte v[2:3], v5, off offset:384
	s_or_b64 exec, exec, s[0:1]
	s_and_saveexec_b64 s[0:1], s[6:7]
	s_cbranch_execz .LBB163_24
.LBB163_36:
	global_store_byte v[2:3], v4, off offset:512
	s_or_b64 exec, exec, s[0:1]
	s_and_saveexec_b64 s[0:1], s[8:9]
	s_cbranch_execz .LBB163_25
.LBB163_37:
	v_lshrrev_b32_e32 v5, 8, v4
	global_store_byte v[2:3], v5, off offset:640
	s_or_b64 exec, exec, s[0:1]
	s_and_saveexec_b64 s[0:1], s[10:11]
	s_cbranch_execz .LBB163_26
.LBB163_38:
	global_store_byte_d16_hi v[2:3], v4, off offset:768
	s_or_b64 exec, exec, s[0:1]
                                        ; implicit-def: $vgpr5
	s_and_saveexec_b64 s[0:1], s[12:13]
	s_cbranch_execnz .LBB163_27
	s_branch .LBB163_28
	.section	.rodata,"a",@progbits
	.p2align	6, 0x0
	.amdhsa_kernel _ZN7rocprim17ROCPRIM_304000_NS6detail16transform_kernelINS1_24wrapped_transform_configINS0_14default_configEbEEbPbS6_NS0_8identityIbEEEEvT1_mT2_T3_
		.amdhsa_group_segment_fixed_size 0
		.amdhsa_private_segment_fixed_size 0
		.amdhsa_kernarg_size 288
		.amdhsa_user_sgpr_count 2
		.amdhsa_user_sgpr_dispatch_ptr 0
		.amdhsa_user_sgpr_queue_ptr 0
		.amdhsa_user_sgpr_kernarg_segment_ptr 1
		.amdhsa_user_sgpr_dispatch_id 0
		.amdhsa_user_sgpr_kernarg_preload_length 0
		.amdhsa_user_sgpr_kernarg_preload_offset 0
		.amdhsa_user_sgpr_private_segment_size 0
		.amdhsa_uses_dynamic_stack 0
		.amdhsa_enable_private_segment 0
		.amdhsa_system_sgpr_workgroup_id_x 1
		.amdhsa_system_sgpr_workgroup_id_y 0
		.amdhsa_system_sgpr_workgroup_id_z 0
		.amdhsa_system_sgpr_workgroup_info 0
		.amdhsa_system_vgpr_workitem_id 0
		.amdhsa_next_free_vgpr 14
		.amdhsa_next_free_sgpr 22
		.amdhsa_accum_offset 16
		.amdhsa_reserve_vcc 1
		.amdhsa_float_round_mode_32 0
		.amdhsa_float_round_mode_16_64 0
		.amdhsa_float_denorm_mode_32 3
		.amdhsa_float_denorm_mode_16_64 3
		.amdhsa_dx10_clamp 1
		.amdhsa_ieee_mode 1
		.amdhsa_fp16_overflow 0
		.amdhsa_tg_split 0
		.amdhsa_exception_fp_ieee_invalid_op 0
		.amdhsa_exception_fp_denorm_src 0
		.amdhsa_exception_fp_ieee_div_zero 0
		.amdhsa_exception_fp_ieee_overflow 0
		.amdhsa_exception_fp_ieee_underflow 0
		.amdhsa_exception_fp_ieee_inexact 0
		.amdhsa_exception_int_div_zero 0
	.end_amdhsa_kernel
	.section	.text._ZN7rocprim17ROCPRIM_304000_NS6detail16transform_kernelINS1_24wrapped_transform_configINS0_14default_configEbEEbPbS6_NS0_8identityIbEEEEvT1_mT2_T3_,"axG",@progbits,_ZN7rocprim17ROCPRIM_304000_NS6detail16transform_kernelINS1_24wrapped_transform_configINS0_14default_configEbEEbPbS6_NS0_8identityIbEEEEvT1_mT2_T3_,comdat
.Lfunc_end163:
	.size	_ZN7rocprim17ROCPRIM_304000_NS6detail16transform_kernelINS1_24wrapped_transform_configINS0_14default_configEbEEbPbS6_NS0_8identityIbEEEEvT1_mT2_T3_, .Lfunc_end163-_ZN7rocprim17ROCPRIM_304000_NS6detail16transform_kernelINS1_24wrapped_transform_configINS0_14default_configEbEEbPbS6_NS0_8identityIbEEEEvT1_mT2_T3_
                                        ; -- End function
	.set _ZN7rocprim17ROCPRIM_304000_NS6detail16transform_kernelINS1_24wrapped_transform_configINS0_14default_configEbEEbPbS6_NS0_8identityIbEEEEvT1_mT2_T3_.num_vgpr, 14
	.set _ZN7rocprim17ROCPRIM_304000_NS6detail16transform_kernelINS1_24wrapped_transform_configINS0_14default_configEbEEbPbS6_NS0_8identityIbEEEEvT1_mT2_T3_.num_agpr, 0
	.set _ZN7rocprim17ROCPRIM_304000_NS6detail16transform_kernelINS1_24wrapped_transform_configINS0_14default_configEbEEbPbS6_NS0_8identityIbEEEEvT1_mT2_T3_.numbered_sgpr, 22
	.set _ZN7rocprim17ROCPRIM_304000_NS6detail16transform_kernelINS1_24wrapped_transform_configINS0_14default_configEbEEbPbS6_NS0_8identityIbEEEEvT1_mT2_T3_.num_named_barrier, 0
	.set _ZN7rocprim17ROCPRIM_304000_NS6detail16transform_kernelINS1_24wrapped_transform_configINS0_14default_configEbEEbPbS6_NS0_8identityIbEEEEvT1_mT2_T3_.private_seg_size, 0
	.set _ZN7rocprim17ROCPRIM_304000_NS6detail16transform_kernelINS1_24wrapped_transform_configINS0_14default_configEbEEbPbS6_NS0_8identityIbEEEEvT1_mT2_T3_.uses_vcc, 1
	.set _ZN7rocprim17ROCPRIM_304000_NS6detail16transform_kernelINS1_24wrapped_transform_configINS0_14default_configEbEEbPbS6_NS0_8identityIbEEEEvT1_mT2_T3_.uses_flat_scratch, 0
	.set _ZN7rocprim17ROCPRIM_304000_NS6detail16transform_kernelINS1_24wrapped_transform_configINS0_14default_configEbEEbPbS6_NS0_8identityIbEEEEvT1_mT2_T3_.has_dyn_sized_stack, 0
	.set _ZN7rocprim17ROCPRIM_304000_NS6detail16transform_kernelINS1_24wrapped_transform_configINS0_14default_configEbEEbPbS6_NS0_8identityIbEEEEvT1_mT2_T3_.has_recursion, 0
	.set _ZN7rocprim17ROCPRIM_304000_NS6detail16transform_kernelINS1_24wrapped_transform_configINS0_14default_configEbEEbPbS6_NS0_8identityIbEEEEvT1_mT2_T3_.has_indirect_call, 0
	.section	.AMDGPU.csdata,"",@progbits
; Kernel info:
; codeLenInByte = 1164
; TotalNumSgprs: 28
; NumVgprs: 14
; NumAgprs: 0
; TotalNumVgprs: 14
; ScratchSize: 0
; MemoryBound: 0
; FloatMode: 240
; IeeeMode: 1
; LDSByteSize: 0 bytes/workgroup (compile time only)
; SGPRBlocks: 3
; VGPRBlocks: 1
; NumSGPRsForWavesPerEU: 28
; NumVGPRsForWavesPerEU: 14
; AccumOffset: 16
; Occupancy: 8
; WaveLimiterHint : 1
; COMPUTE_PGM_RSRC2:SCRATCH_EN: 0
; COMPUTE_PGM_RSRC2:USER_SGPR: 2
; COMPUTE_PGM_RSRC2:TRAP_HANDLER: 0
; COMPUTE_PGM_RSRC2:TGID_X_EN: 1
; COMPUTE_PGM_RSRC2:TGID_Y_EN: 0
; COMPUTE_PGM_RSRC2:TGID_Z_EN: 0
; COMPUTE_PGM_RSRC2:TIDIG_COMP_CNT: 0
; COMPUTE_PGM_RSRC3_GFX90A:ACCUM_OFFSET: 3
; COMPUTE_PGM_RSRC3_GFX90A:TG_SPLIT: 0
	.section	.text._ZN7rocprim17ROCPRIM_304000_NS6detail45device_block_merge_mergepath_partition_kernelINS1_37wrapped_merge_sort_block_merge_configINS0_14default_configEbN2at4cuda3cub6detail10OpaqueTypeILi8EEEEEPbjNS1_19radix_merge_compareILb1ELb1EbNS0_19identity_decomposerEEEEEvT0_T1_jPSH_T2_SH_,"axG",@progbits,_ZN7rocprim17ROCPRIM_304000_NS6detail45device_block_merge_mergepath_partition_kernelINS1_37wrapped_merge_sort_block_merge_configINS0_14default_configEbN2at4cuda3cub6detail10OpaqueTypeILi8EEEEEPbjNS1_19radix_merge_compareILb1ELb1EbNS0_19identity_decomposerEEEEEvT0_T1_jPSH_T2_SH_,comdat
	.protected	_ZN7rocprim17ROCPRIM_304000_NS6detail45device_block_merge_mergepath_partition_kernelINS1_37wrapped_merge_sort_block_merge_configINS0_14default_configEbN2at4cuda3cub6detail10OpaqueTypeILi8EEEEEPbjNS1_19radix_merge_compareILb1ELb1EbNS0_19identity_decomposerEEEEEvT0_T1_jPSH_T2_SH_ ; -- Begin function _ZN7rocprim17ROCPRIM_304000_NS6detail45device_block_merge_mergepath_partition_kernelINS1_37wrapped_merge_sort_block_merge_configINS0_14default_configEbN2at4cuda3cub6detail10OpaqueTypeILi8EEEEEPbjNS1_19radix_merge_compareILb1ELb1EbNS0_19identity_decomposerEEEEEvT0_T1_jPSH_T2_SH_
	.globl	_ZN7rocprim17ROCPRIM_304000_NS6detail45device_block_merge_mergepath_partition_kernelINS1_37wrapped_merge_sort_block_merge_configINS0_14default_configEbN2at4cuda3cub6detail10OpaqueTypeILi8EEEEEPbjNS1_19radix_merge_compareILb1ELb1EbNS0_19identity_decomposerEEEEEvT0_T1_jPSH_T2_SH_
	.p2align	8
	.type	_ZN7rocprim17ROCPRIM_304000_NS6detail45device_block_merge_mergepath_partition_kernelINS1_37wrapped_merge_sort_block_merge_configINS0_14default_configEbN2at4cuda3cub6detail10OpaqueTypeILi8EEEEEPbjNS1_19radix_merge_compareILb1ELb1EbNS0_19identity_decomposerEEEEEvT0_T1_jPSH_T2_SH_,@function
_ZN7rocprim17ROCPRIM_304000_NS6detail45device_block_merge_mergepath_partition_kernelINS1_37wrapped_merge_sort_block_merge_configINS0_14default_configEbN2at4cuda3cub6detail10OpaqueTypeILi8EEEEEPbjNS1_19radix_merge_compareILb1ELb1EbNS0_19identity_decomposerEEEEEvT0_T1_jPSH_T2_SH_: ; @_ZN7rocprim17ROCPRIM_304000_NS6detail45device_block_merge_mergepath_partition_kernelINS1_37wrapped_merge_sort_block_merge_configINS0_14default_configEbN2at4cuda3cub6detail10OpaqueTypeILi8EEEEEPbjNS1_19radix_merge_compareILb1ELb1EbNS0_19identity_decomposerEEEEEvT0_T1_jPSH_T2_SH_
; %bb.0:
	s_load_dwordx2 s[10:11], s[0:1], 0x4
	s_load_dwordx2 s[6:7], s[2:3], 0x8
	;; [unrolled: 1-line block ×3, first 2 shown]
	v_and_b32_e32 v1, 0x3ff, v0
	v_bfe_u32 v3, v0, 10, 10
	s_waitcnt lgkmcnt(0)
	s_lshr_b32 s0, s10, 16
	s_mul_i32 s0, s0, s11
	v_mul_u32_u24_e32 v2, s0, v1
	v_mul_u32_u24_e32 v3, s11, v3
	v_bfe_u32 v0, v0, 20, 10
	s_and_b32 s0, s8, 1
	v_add3_u32 v3, v2, v3, v0
	v_mov_b32_e32 v0, s0
	ds_write_b8 v3, v0
	v_lshl_or_b32 v0, s4, 7, v1
	v_cmp_gt_u32_e32 vcc, s7, v0
	s_and_saveexec_b64 s[0:1], vcc
	s_cbranch_execz .LBB164_6
; %bb.1:
	s_lshr_b32 s0, s9, 9
	s_and_b32 s0, s0, 0x7ffffe
	s_add_i32 s1, s0, -1
	s_sub_i32 s0, 0, s0
	v_and_b32_e32 v1, s0, v0
	v_lshlrev_b32_e32 v1, 10, v1
	v_min_u32_e32 v2, s6, v1
	v_add_u32_e32 v1, s9, v1
	v_min_u32_e32 v4, s6, v1
	v_add_u32_e32 v1, s9, v4
	ds_read_u8 v7, v3
	v_and_b32_e32 v5, s1, v0
	v_min_u32_e32 v1, s6, v1
	v_sub_u32_e32 v6, v1, v2
	v_lshlrev_b32_e32 v5, 10, v5
	v_min_u32_e32 v10, v6, v5
	v_sub_u32_e32 v5, v4, v2
	v_sub_u32_e32 v1, v1, v4
	v_sub_u32_e64 v1, v10, v1 clamp
	v_min_u32_e32 v11, v10, v5
	s_waitcnt lgkmcnt(0)
	v_and_b32_e32 v6, 1, v7
	v_cmp_lt_u32_e32 vcc, v1, v11
	ds_write_b8 v3, v6 offset:128
	s_and_saveexec_b64 s[0:1], vcc
	s_cbranch_execz .LBB164_5
; %bb.2:
	s_load_dwordx2 s[4:5], s[2:3], 0x0
	ds_read_u8 v12, v3 offset:128
	v_mov_b32_e32 v5, 0
	v_mov_b32_e32 v3, v5
	s_waitcnt lgkmcnt(0)
	v_lshl_add_u64 v[6:7], s[4:5], 0, v[2:3]
	v_lshl_add_u64 v[8:9], s[4:5], 0, v[4:5]
	s_mov_b64 s[4:5], 0
.LBB164_3:                              ; =>This Inner Loop Header: Depth=1
	v_add_u32_e32 v3, v11, v1
	v_lshrrev_b32_e32 v4, 1, v3
	v_mov_b32_e32 v15, v5
	v_xad_u32 v14, v4, -1, v10
	v_lshl_add_u64 v[16:17], v[6:7], 0, v[4:5]
	v_lshl_add_u64 v[14:15], v[8:9], 0, v[14:15]
	global_load_ubyte v3, v[16:17], off
	global_load_ubyte v13, v[14:15], off
	v_add_u32_e32 v14, 1, v4
	s_waitcnt vmcnt(1)
	v_bitop3_b16 v3, v3, 1, v12 bitop3:0x80
	s_waitcnt vmcnt(0)
	v_bitop3_b16 v13, v13, 1, v12 bitop3:0x80
	v_cmp_gt_u16_e32 vcc, v13, v3
	s_nop 1
	v_cndmask_b32_e32 v11, v11, v4, vcc
	v_cndmask_b32_e32 v1, v14, v1, vcc
	v_cmp_ge_u32_e32 vcc, v1, v11
	s_or_b64 s[4:5], vcc, s[4:5]
	s_andn2_b64 exec, exec, s[4:5]
	s_cbranch_execnz .LBB164_3
; %bb.4:
	s_or_b64 exec, exec, s[4:5]
.LBB164_5:
	s_or_b64 exec, exec, s[0:1]
	s_load_dwordx2 s[0:1], s[2:3], 0x10
	v_add_u32_e32 v2, v1, v2
	v_mov_b32_e32 v1, 0
	s_waitcnt lgkmcnt(0)
	v_lshl_add_u64 v[0:1], v[0:1], 2, s[0:1]
	global_store_dword v[0:1], v2, off
.LBB164_6:
	s_endpgm
	.section	.rodata,"a",@progbits
	.p2align	6, 0x0
	.amdhsa_kernel _ZN7rocprim17ROCPRIM_304000_NS6detail45device_block_merge_mergepath_partition_kernelINS1_37wrapped_merge_sort_block_merge_configINS0_14default_configEbN2at4cuda3cub6detail10OpaqueTypeILi8EEEEEPbjNS1_19radix_merge_compareILb1ELb1EbNS0_19identity_decomposerEEEEEvT0_T1_jPSH_T2_SH_
		.amdhsa_group_segment_fixed_size 256
		.amdhsa_private_segment_fixed_size 0
		.amdhsa_kernarg_size 32
		.amdhsa_user_sgpr_count 4
		.amdhsa_user_sgpr_dispatch_ptr 1
		.amdhsa_user_sgpr_queue_ptr 0
		.amdhsa_user_sgpr_kernarg_segment_ptr 1
		.amdhsa_user_sgpr_dispatch_id 0
		.amdhsa_user_sgpr_kernarg_preload_length 0
		.amdhsa_user_sgpr_kernarg_preload_offset 0
		.amdhsa_user_sgpr_private_segment_size 0
		.amdhsa_uses_dynamic_stack 0
		.amdhsa_enable_private_segment 0
		.amdhsa_system_sgpr_workgroup_id_x 1
		.amdhsa_system_sgpr_workgroup_id_y 0
		.amdhsa_system_sgpr_workgroup_id_z 0
		.amdhsa_system_sgpr_workgroup_info 0
		.amdhsa_system_vgpr_workitem_id 2
		.amdhsa_next_free_vgpr 18
		.amdhsa_next_free_sgpr 12
		.amdhsa_accum_offset 20
		.amdhsa_reserve_vcc 1
		.amdhsa_float_round_mode_32 0
		.amdhsa_float_round_mode_16_64 0
		.amdhsa_float_denorm_mode_32 3
		.amdhsa_float_denorm_mode_16_64 3
		.amdhsa_dx10_clamp 1
		.amdhsa_ieee_mode 1
		.amdhsa_fp16_overflow 0
		.amdhsa_tg_split 0
		.amdhsa_exception_fp_ieee_invalid_op 0
		.amdhsa_exception_fp_denorm_src 0
		.amdhsa_exception_fp_ieee_div_zero 0
		.amdhsa_exception_fp_ieee_overflow 0
		.amdhsa_exception_fp_ieee_underflow 0
		.amdhsa_exception_fp_ieee_inexact 0
		.amdhsa_exception_int_div_zero 0
	.end_amdhsa_kernel
	.section	.text._ZN7rocprim17ROCPRIM_304000_NS6detail45device_block_merge_mergepath_partition_kernelINS1_37wrapped_merge_sort_block_merge_configINS0_14default_configEbN2at4cuda3cub6detail10OpaqueTypeILi8EEEEEPbjNS1_19radix_merge_compareILb1ELb1EbNS0_19identity_decomposerEEEEEvT0_T1_jPSH_T2_SH_,"axG",@progbits,_ZN7rocprim17ROCPRIM_304000_NS6detail45device_block_merge_mergepath_partition_kernelINS1_37wrapped_merge_sort_block_merge_configINS0_14default_configEbN2at4cuda3cub6detail10OpaqueTypeILi8EEEEEPbjNS1_19radix_merge_compareILb1ELb1EbNS0_19identity_decomposerEEEEEvT0_T1_jPSH_T2_SH_,comdat
.Lfunc_end164:
	.size	_ZN7rocprim17ROCPRIM_304000_NS6detail45device_block_merge_mergepath_partition_kernelINS1_37wrapped_merge_sort_block_merge_configINS0_14default_configEbN2at4cuda3cub6detail10OpaqueTypeILi8EEEEEPbjNS1_19radix_merge_compareILb1ELb1EbNS0_19identity_decomposerEEEEEvT0_T1_jPSH_T2_SH_, .Lfunc_end164-_ZN7rocprim17ROCPRIM_304000_NS6detail45device_block_merge_mergepath_partition_kernelINS1_37wrapped_merge_sort_block_merge_configINS0_14default_configEbN2at4cuda3cub6detail10OpaqueTypeILi8EEEEEPbjNS1_19radix_merge_compareILb1ELb1EbNS0_19identity_decomposerEEEEEvT0_T1_jPSH_T2_SH_
                                        ; -- End function
	.set _ZN7rocprim17ROCPRIM_304000_NS6detail45device_block_merge_mergepath_partition_kernelINS1_37wrapped_merge_sort_block_merge_configINS0_14default_configEbN2at4cuda3cub6detail10OpaqueTypeILi8EEEEEPbjNS1_19radix_merge_compareILb1ELb1EbNS0_19identity_decomposerEEEEEvT0_T1_jPSH_T2_SH_.num_vgpr, 18
	.set _ZN7rocprim17ROCPRIM_304000_NS6detail45device_block_merge_mergepath_partition_kernelINS1_37wrapped_merge_sort_block_merge_configINS0_14default_configEbN2at4cuda3cub6detail10OpaqueTypeILi8EEEEEPbjNS1_19radix_merge_compareILb1ELb1EbNS0_19identity_decomposerEEEEEvT0_T1_jPSH_T2_SH_.num_agpr, 0
	.set _ZN7rocprim17ROCPRIM_304000_NS6detail45device_block_merge_mergepath_partition_kernelINS1_37wrapped_merge_sort_block_merge_configINS0_14default_configEbN2at4cuda3cub6detail10OpaqueTypeILi8EEEEEPbjNS1_19radix_merge_compareILb1ELb1EbNS0_19identity_decomposerEEEEEvT0_T1_jPSH_T2_SH_.numbered_sgpr, 12
	.set _ZN7rocprim17ROCPRIM_304000_NS6detail45device_block_merge_mergepath_partition_kernelINS1_37wrapped_merge_sort_block_merge_configINS0_14default_configEbN2at4cuda3cub6detail10OpaqueTypeILi8EEEEEPbjNS1_19radix_merge_compareILb1ELb1EbNS0_19identity_decomposerEEEEEvT0_T1_jPSH_T2_SH_.num_named_barrier, 0
	.set _ZN7rocprim17ROCPRIM_304000_NS6detail45device_block_merge_mergepath_partition_kernelINS1_37wrapped_merge_sort_block_merge_configINS0_14default_configEbN2at4cuda3cub6detail10OpaqueTypeILi8EEEEEPbjNS1_19radix_merge_compareILb1ELb1EbNS0_19identity_decomposerEEEEEvT0_T1_jPSH_T2_SH_.private_seg_size, 0
	.set _ZN7rocprim17ROCPRIM_304000_NS6detail45device_block_merge_mergepath_partition_kernelINS1_37wrapped_merge_sort_block_merge_configINS0_14default_configEbN2at4cuda3cub6detail10OpaqueTypeILi8EEEEEPbjNS1_19radix_merge_compareILb1ELb1EbNS0_19identity_decomposerEEEEEvT0_T1_jPSH_T2_SH_.uses_vcc, 1
	.set _ZN7rocprim17ROCPRIM_304000_NS6detail45device_block_merge_mergepath_partition_kernelINS1_37wrapped_merge_sort_block_merge_configINS0_14default_configEbN2at4cuda3cub6detail10OpaqueTypeILi8EEEEEPbjNS1_19radix_merge_compareILb1ELb1EbNS0_19identity_decomposerEEEEEvT0_T1_jPSH_T2_SH_.uses_flat_scratch, 0
	.set _ZN7rocprim17ROCPRIM_304000_NS6detail45device_block_merge_mergepath_partition_kernelINS1_37wrapped_merge_sort_block_merge_configINS0_14default_configEbN2at4cuda3cub6detail10OpaqueTypeILi8EEEEEPbjNS1_19radix_merge_compareILb1ELb1EbNS0_19identity_decomposerEEEEEvT0_T1_jPSH_T2_SH_.has_dyn_sized_stack, 0
	.set _ZN7rocprim17ROCPRIM_304000_NS6detail45device_block_merge_mergepath_partition_kernelINS1_37wrapped_merge_sort_block_merge_configINS0_14default_configEbN2at4cuda3cub6detail10OpaqueTypeILi8EEEEEPbjNS1_19radix_merge_compareILb1ELb1EbNS0_19identity_decomposerEEEEEvT0_T1_jPSH_T2_SH_.has_recursion, 0
	.set _ZN7rocprim17ROCPRIM_304000_NS6detail45device_block_merge_mergepath_partition_kernelINS1_37wrapped_merge_sort_block_merge_configINS0_14default_configEbN2at4cuda3cub6detail10OpaqueTypeILi8EEEEEPbjNS1_19radix_merge_compareILb1ELb1EbNS0_19identity_decomposerEEEEEvT0_T1_jPSH_T2_SH_.has_indirect_call, 0
	.section	.AMDGPU.csdata,"",@progbits
; Kernel info:
; codeLenInByte = 440
; TotalNumSgprs: 18
; NumVgprs: 18
; NumAgprs: 0
; TotalNumVgprs: 18
; ScratchSize: 0
; MemoryBound: 0
; FloatMode: 240
; IeeeMode: 1
; LDSByteSize: 256 bytes/workgroup (compile time only)
; SGPRBlocks: 2
; VGPRBlocks: 2
; NumSGPRsForWavesPerEU: 18
; NumVGPRsForWavesPerEU: 18
; AccumOffset: 20
; Occupancy: 8
; WaveLimiterHint : 0
; COMPUTE_PGM_RSRC2:SCRATCH_EN: 0
; COMPUTE_PGM_RSRC2:USER_SGPR: 4
; COMPUTE_PGM_RSRC2:TRAP_HANDLER: 0
; COMPUTE_PGM_RSRC2:TGID_X_EN: 1
; COMPUTE_PGM_RSRC2:TGID_Y_EN: 0
; COMPUTE_PGM_RSRC2:TGID_Z_EN: 0
; COMPUTE_PGM_RSRC2:TIDIG_COMP_CNT: 2
; COMPUTE_PGM_RSRC3_GFX90A:ACCUM_OFFSET: 4
; COMPUTE_PGM_RSRC3_GFX90A:TG_SPLIT: 0
	.section	.text._ZN7rocprim17ROCPRIM_304000_NS6detail35device_block_merge_mergepath_kernelINS1_37wrapped_merge_sort_block_merge_configINS0_14default_configEbN2at4cuda3cub6detail10OpaqueTypeILi8EEEEEPbSC_PSA_SD_jNS1_19radix_merge_compareILb1ELb1EbNS0_19identity_decomposerEEEEEvT0_T1_T2_T3_T4_SL_jT5_PKSL_NS1_7vsmem_tE,"axG",@progbits,_ZN7rocprim17ROCPRIM_304000_NS6detail35device_block_merge_mergepath_kernelINS1_37wrapped_merge_sort_block_merge_configINS0_14default_configEbN2at4cuda3cub6detail10OpaqueTypeILi8EEEEEPbSC_PSA_SD_jNS1_19radix_merge_compareILb1ELb1EbNS0_19identity_decomposerEEEEEvT0_T1_T2_T3_T4_SL_jT5_PKSL_NS1_7vsmem_tE,comdat
	.protected	_ZN7rocprim17ROCPRIM_304000_NS6detail35device_block_merge_mergepath_kernelINS1_37wrapped_merge_sort_block_merge_configINS0_14default_configEbN2at4cuda3cub6detail10OpaqueTypeILi8EEEEEPbSC_PSA_SD_jNS1_19radix_merge_compareILb1ELb1EbNS0_19identity_decomposerEEEEEvT0_T1_T2_T3_T4_SL_jT5_PKSL_NS1_7vsmem_tE ; -- Begin function _ZN7rocprim17ROCPRIM_304000_NS6detail35device_block_merge_mergepath_kernelINS1_37wrapped_merge_sort_block_merge_configINS0_14default_configEbN2at4cuda3cub6detail10OpaqueTypeILi8EEEEEPbSC_PSA_SD_jNS1_19radix_merge_compareILb1ELb1EbNS0_19identity_decomposerEEEEEvT0_T1_T2_T3_T4_SL_jT5_PKSL_NS1_7vsmem_tE
	.globl	_ZN7rocprim17ROCPRIM_304000_NS6detail35device_block_merge_mergepath_kernelINS1_37wrapped_merge_sort_block_merge_configINS0_14default_configEbN2at4cuda3cub6detail10OpaqueTypeILi8EEEEEPbSC_PSA_SD_jNS1_19radix_merge_compareILb1ELb1EbNS0_19identity_decomposerEEEEEvT0_T1_T2_T3_T4_SL_jT5_PKSL_NS1_7vsmem_tE
	.p2align	8
	.type	_ZN7rocprim17ROCPRIM_304000_NS6detail35device_block_merge_mergepath_kernelINS1_37wrapped_merge_sort_block_merge_configINS0_14default_configEbN2at4cuda3cub6detail10OpaqueTypeILi8EEEEEPbSC_PSA_SD_jNS1_19radix_merge_compareILb1ELb1EbNS0_19identity_decomposerEEEEEvT0_T1_T2_T3_T4_SL_jT5_PKSL_NS1_7vsmem_tE,@function
_ZN7rocprim17ROCPRIM_304000_NS6detail35device_block_merge_mergepath_kernelINS1_37wrapped_merge_sort_block_merge_configINS0_14default_configEbN2at4cuda3cub6detail10OpaqueTypeILi8EEEEEPbSC_PSA_SD_jNS1_19radix_merge_compareILb1ELb1EbNS0_19identity_decomposerEEEEEvT0_T1_T2_T3_T4_SL_jT5_PKSL_NS1_7vsmem_tE: ; @_ZN7rocprim17ROCPRIM_304000_NS6detail35device_block_merge_mergepath_kernelINS1_37wrapped_merge_sort_block_merge_configINS0_14default_configEbN2at4cuda3cub6detail10OpaqueTypeILi8EEEEEPbSC_PSA_SD_jNS1_19radix_merge_compareILb1ELb1EbNS0_19identity_decomposerEEEEEvT0_T1_T2_T3_T4_SL_jT5_PKSL_NS1_7vsmem_tE
; %bb.0:
	s_load_dwordx2 s[8:9], s[0:1], 0x4
	s_load_dwordx4 s[16:19], s[2:3], 0x20
	s_load_dwordx2 s[22:23], s[2:3], 0x40
	v_and_b32_e32 v2, 0x3ff, v0
	v_bfe_u32 v3, v0, 10, 10
	s_waitcnt lgkmcnt(0)
	s_lshr_b32 s0, s8, 16
	s_mul_i32 s0, s0, s9
	v_mul_lo_u32 v1, s0, v2
	v_mul_u32_u24_e32 v3, s9, v3
	v_bfe_u32 v0, v0, 20, 10
	s_and_b32 s0, s19, 1
	v_add3_u32 v3, v1, v3, v0
	v_mov_b32_e32 v0, s0
	ds_write_b8 v3, v0 offset:8208
	ds_read_u8 v0, v3 offset:8208
	s_add_u32 s24, s2, 64
	s_mul_i32 s0, s23, s6
	s_addc_u32 s25, s3, 0
	s_add_i32 s0, s0, s5
	s_mul_i32 s0, s0, s22
	s_add_i32 s0, s0, s4
	s_waitcnt lgkmcnt(0)
	v_and_b32_e32 v0, 1, v0
	s_cmp_ge_u32 s0, s18
	ds_write_b8 v3, v0 offset:8720
	s_cbranch_scc1 .LBB165_51
; %bb.1:
	s_load_dwordx8 s[8:15], s[2:3], 0x0
	s_load_dwordx2 s[18:19], s[2:3], 0x30
	s_lshr_b32 s28, s16, 10
	s_cmp_lg_u32 s0, s28
	s_mov_b32 s1, 0
	s_cselect_b64 s[6:7], -1, 0
	s_lshl_b64 s[2:3], s[0:1], 2
	s_waitcnt lgkmcnt(0)
	s_add_u32 s2, s18, s2
	s_addc_u32 s3, s19, s3
	s_load_dwordx2 s[18:19], s[2:3], 0x0
	s_lshr_b32 s2, s17, 9
	s_and_b32 s2, s2, 0x7ffffe
	s_sub_i32 s2, 0, s2
	s_and_b32 s3, s0, s2
	s_lshl_b32 s5, s3, 10
	s_lshl_b32 s23, s0, 10
	s_lshl_b32 s3, s3, 11
	s_sub_i32 s20, s23, s5
	s_add_i32 s3, s3, s17
	s_add_i32 s21, s3, s20
	s_waitcnt lgkmcnt(0)
	s_sub_i32 s20, s21, s18
	s_sub_i32 s21, s21, s19
	;; [unrolled: 1-line block ×3, first 2 shown]
	s_min_u32 s20, s16, s20
	s_addk_i32 s21, 0x400
	s_or_b32 s2, s0, s2
	s_min_u32 s5, s16, s3
	s_add_i32 s3, s3, s17
	s_cmp_eq_u32 s2, -1
	s_cselect_b32 s2, s3, s21
	s_cselect_b32 s3, s5, s19
	s_min_u32 s2, s2, s16
	s_sub_i32 s17, s3, s18
	s_sub_i32 s26, s2, s20
	s_add_u32 s5, s8, s18
	s_addc_u32 s27, s9, 0
	s_add_u32 s8, s8, s20
	s_addc_u32 s9, s9, 0
	s_cmp_lt_u32 s4, s22
	v_mov_b32_e32 v1, 0
	s_cselect_b32 s2, 12, 18
	global_load_dword v0, v1, s[24:25] offset:14
	s_add_u32 s2, s24, s2
	s_addc_u32 s3, s25, 0
	global_load_ushort v4, v1, s[2:3]
	s_mov_b32 s21, s1
	s_mov_b32 s19, s1
	s_cmp_eq_u32 s0, s28
	v_cmp_gt_u32_e32 vcc, s17, v2
	s_waitcnt vmcnt(1)
	v_lshrrev_b32_e32 v5, 16, v0
	v_and_b32_e32 v0, 0xffff, v0
	v_mul_lo_u32 v0, v0, v5
	s_waitcnt vmcnt(0)
	v_mul_lo_u32 v5, v0, v4
	v_add_u32_e32 v4, v5, v2
	s_cbranch_scc1 .LBB165_3
; %bb.2:
	v_mov_b32_e32 v6, s9
	v_mov_b32_e32 v7, s27
	v_subrev_u32_e32 v0, s17, v2
	v_cndmask_b32_e32 v7, v6, v7, vcc
	v_mov_b32_e32 v6, s8
	v_mov_b32_e32 v8, s5
	v_min_u32_e32 v0, v2, v0
	v_cndmask_b32_e32 v6, v6, v8, vcc
	v_lshl_add_u64 v[0:1], v[6:7], 0, v[0:1]
	global_load_ubyte v6, v[0:1], off
	s_add_i32 s4, s26, s17
	v_add_u32_e32 v0, v5, v2
	s_mov_b64 s[0:1], -1
	v_mov_b32_e32 v7, s4
	s_cbranch_execz .LBB165_4
	s_branch .LBB165_7
.LBB165_3:
	s_mov_b64 s[0:1], 0
                                        ; implicit-def: $vgpr0
                                        ; implicit-def: $vgpr6
                                        ; implicit-def: $vgpr7
.LBB165_4:
	s_add_i32 s2, s26, s17
	v_cmp_gt_u32_e32 vcc, s2, v2
	s_waitcnt vmcnt(0)
	v_mov_b32_e32 v6, 0
	s_and_saveexec_b64 s[0:1], vcc
	s_cbranch_execz .LBB165_6
; %bb.5:
	v_mov_b32_e32 v0, s9
	v_mov_b32_e32 v1, s27
	v_cmp_gt_u32_e32 vcc, s17, v2
	v_mov_b32_e32 v5, s5
	v_mov_b32_e32 v7, 0
	v_cndmask_b32_e32 v1, v0, v1, vcc
	v_mov_b32_e32 v0, s8
	v_cndmask_b32_e32 v0, v0, v5, vcc
	v_subrev_u32_e32 v5, s17, v2
	v_min_u32_e32 v6, v2, v5
	v_lshl_add_u64 v[0:1], v[0:1], 0, v[6:7]
	global_load_ubyte v6, v[0:1], off
.LBB165_6:
	s_or_b64 exec, exec, s[0:1]
	v_cmp_gt_u32_e64 s[0:1], s2, v4
	v_mov_b32_e32 v7, s2
	v_mov_b32_e32 v0, v4
.LBB165_7:
	s_and_saveexec_b64 s[2:3], s[0:1]
	s_cbranch_execz .LBB165_9
; %bb.8:
	v_subrev_u32_e32 v1, s17, v0
	v_min_u32_e32 v4, v0, v1
	v_mov_b32_e32 v1, s9
	v_mov_b32_e32 v5, s27
	v_cmp_gt_u32_e32 vcc, s17, v0
	v_mov_b32_e32 v0, s8
	s_mov_b32 s0, 0xc0c0004
	v_cndmask_b32_e32 v1, v1, v5, vcc
	v_mov_b32_e32 v5, s5
	v_cndmask_b32_e32 v0, v0, v5, vcc
	v_mov_b32_e32 v5, 0
	v_lshl_add_u64 v[0:1], v[0:1], 0, v[4:5]
	global_load_ubyte v0, v[0:1], off
	s_waitcnt vmcnt(0)
	v_perm_b32 v6, v6, v0, s0
.LBB165_9:
	s_or_b64 exec, exec, s[2:3]
	s_waitcnt vmcnt(0)
	v_lshrrev_b16_e32 v0, 8, v6
	ds_write_b8 v2, v6
	ds_write_b8 v2, v0 offset:512
	s_waitcnt lgkmcnt(0)
	s_barrier
	ds_read_u8 v0, v3 offset:8720
	v_lshlrev_b32_e32 v8, 1, v2
	v_min_u32_e32 v1, v7, v8
	v_min_u32_e32 v4, s17, v1
	s_waitcnt lgkmcnt(0)
	v_and_b32_e32 v0, 1, v0
	v_cmp_eq_u32_e32 vcc, 1, v0
	ds_write_b8 v3, v0 offset:9232
	v_sub_u32_e64 v0, v1, s26 clamp
	v_cmp_lt_u32_e64 s[0:1], v0, v4
	s_and_saveexec_b64 s[2:3], s[0:1]
	s_cbranch_execz .LBB165_13
; %bb.10:
	ds_read_u8 v5, v3 offset:9232
	v_add_u32_e32 v9, s17, v1
	s_mov_b64 s[4:5], 0
.LBB165_11:                             ; =>This Inner Loop Header: Depth=1
	v_add_u32_e32 v10, v4, v0
	v_lshrrev_b32_e32 v10, 1, v10
	v_xad_u32 v11, v10, -1, v9
	ds_read_u8 v12, v10
	ds_read_u8 v11, v11
	v_add_u32_e32 v13, 1, v10
	s_waitcnt lgkmcnt(1)
	v_bitop3_b16 v12, v12, 1, v5 bitop3:0x80
	s_waitcnt lgkmcnt(0)
	v_bitop3_b16 v11, v11, 1, v5 bitop3:0x80
	v_cmp_gt_u16_e64 s[0:1], v11, v12
	s_nop 1
	v_cndmask_b32_e64 v4, v4, v10, s[0:1]
	v_cndmask_b32_e64 v0, v13, v0, s[0:1]
	v_cmp_ge_u32_e64 s[0:1], v0, v4
	s_or_b64 s[4:5], s[0:1], s[4:5]
	s_andn2_b64 exec, exec, s[4:5]
	s_cbranch_execnz .LBB165_11
; %bb.12:
	s_or_b64 exec, exec, s[4:5]
.LBB165_13:
	s_or_b64 exec, exec, s[2:3]
	v_cndmask_b32_e64 v4, 0, 1, vcc
	ds_write_b8 v3, v4 offset:10256
	ds_read_u8 v4, v3 offset:10256
	v_sub_u32_e32 v1, v1, v0
	v_add_u32_e32 v1, s17, v1
	v_cmp_ge_u32_e32 vcc, s17, v0
	v_cmp_le_u32_e64 s[0:1], v1, v7
	s_waitcnt lgkmcnt(0)
	v_and_b32_e32 v4, 1, v4
	s_or_b64 s[0:1], vcc, s[0:1]
	v_mov_b32_e32 v9, 0
	v_mov_b32_e32 v10, 0
	ds_write_b8 v3, v4 offset:9744
	s_and_saveexec_b64 s[4:5], s[0:1]
	s_cbranch_execz .LBB165_19
; %bb.14:
	v_cmp_le_u32_e32 vcc, s17, v0
	v_cmp_gt_u32_e64 s[0:1], s17, v0
                                        ; implicit-def: $vgpr4
	s_and_saveexec_b64 s[2:3], s[0:1]
; %bb.15:
	ds_read_u8 v4, v0
; %bb.16:
	s_or_b64 exec, exec, s[2:3]
	v_cmp_ge_u32_e64 s[0:1], v1, v7
	v_cmp_lt_u32_e64 s[2:3], v1, v7
                                        ; implicit-def: $vgpr5
	s_and_saveexec_b64 s[8:9], s[2:3]
; %bb.17:
	ds_read_u8 v5, v1
; %bb.18:
	s_or_b64 exec, exec, s[8:9]
	ds_read_u8 v3, v3 offset:9744
	v_cndmask_b32_e64 v6, 0, 1, s[0:1]
	s_or_b64 vcc, vcc, s[0:1]
	s_movk_i32 s8, 0xff
	s_waitcnt lgkmcnt(0)
	v_bitop3_b16 v9, v3, 1, v5 bitop3:0x80
	v_bitop3_b16 v10, v3, 1, v4 bitop3:0x80
	v_cmp_le_u16_e64 s[2:3], v9, v10
	s_nop 1
	v_cndmask_b32_e64 v9, 0, 1, s[2:3]
	v_cndmask_b32_e32 v6, v9, v6, vcc
	v_and_b32_e32 v6, 1, v6
	v_cmp_eq_u32_e32 vcc, 1, v6
	v_mov_b32_e32 v6, s17
	s_nop 0
	v_cndmask_b32_e32 v10, v1, v0, vcc
	v_cndmask_b32_e32 v6, v7, v6, vcc
	v_add_u32_e32 v9, 1, v10
	v_add_u32_e32 v6, -1, v6
	v_min_u32_e32 v6, v9, v6
	ds_read_u8 v6, v6
	v_cndmask_b32_e32 v11, v5, v4, vcc
	v_cndmask_b32_e32 v0, v0, v9, vcc
	;; [unrolled: 1-line block ×3, first 2 shown]
	v_cmp_gt_u32_e64 s[0:1], s17, v0
	s_waitcnt lgkmcnt(0)
	v_cndmask_b32_e32 v5, v6, v5, vcc
	v_cndmask_b32_e32 v4, v4, v6, vcc
	v_and_b32_e32 v6, v5, v3
	v_and_b32_e32 v3, v4, v3
	v_cmp_le_u16_sdwa s[2:3], v6, v3 src0_sel:BYTE_0 src1_sel:BYTE_0
	v_cmp_ge_u32_e32 vcc, v1, v7
	s_and_b64 s[0:1], s[0:1], s[2:3]
	s_or_b64 vcc, vcc, s[0:1]
	v_cndmask_b32_e32 v9, v1, v0, vcc
	v_cndmask_b32_sdwa v0, v5, v4, vcc dst_sel:BYTE_1 dst_unused:UNUSED_PAD src0_sel:DWORD src1_sel:DWORD
	s_nop 0
	v_bitop3_b16 v0, v11, v0, s8 bitop3:0xec
	v_and_b32_e32 v6, 0xffff, v0
.LBB165_19:
	s_or_b64 exec, exec, s[4:5]
	s_lshl_b64 s[0:1], s[18:19], 3
	s_add_u32 s18, s12, s0
	s_addc_u32 s19, s13, s1
	s_lshl_b64 s[0:1], s[20:21], 3
	s_add_u32 s8, s12, s0
	v_cndmask_b32_e64 v0, 0, 1, s[6:7]
	v_mov_b32_e32 v3, 0
	s_addc_u32 s9, s13, s1
	v_cmp_gt_u32_e64 s[4:5], s17, v2
	v_cmp_ne_u32_e64 s[0:1], 1, v0
	s_andn2_b64 vcc, exec, s[6:7]
	v_cmp_le_u32_e64 s[2:3], s17, v2
	s_waitcnt lgkmcnt(0)
	s_barrier
	s_cbranch_vccnz .LBB165_21
; %bb.20:
	v_subrev_u32_e32 v4, s17, v2
	v_lshlrev_b32_e32 v0, 3, v2
	v_mov_b32_e32 v1, v3
	v_lshlrev_b32_e32 v4, 3, v4
	v_mov_b32_e32 v5, v3
	v_lshl_add_u64 v[0:1], s[18:19], 0, v[0:1]
	v_lshl_add_u64 v[4:5], s[8:9], 0, v[4:5]
	v_cndmask_b32_e64 v1, v5, v1, s[4:5]
	v_cndmask_b32_e64 v0, v4, v0, s[4:5]
	global_load_dwordx2 v[12:13], v[0:1], off
	v_add_u32_e32 v11, 0x200, v2
	v_mov_b32_e32 v0, s9
	v_mov_b32_e32 v1, s19
	;; [unrolled: 1-line block ×4, first 2 shown]
	v_subrev_u32_e32 v4, s17, v11
	v_cmp_gt_u32_e32 vcc, s17, v11
	v_mad_u32_u24 v5, v2, 7, v2
	s_nop 0
	v_cndmask_b32_e32 v1, v0, v1, vcc
	v_min_u32_e32 v4, v11, v4
	v_cndmask_b32_e32 v0, v14, v15, vcc
	s_mov_b64 s[4:5], -1
	s_waitcnt vmcnt(0)
	ds_write_b64 v5, v[12:13]
	s_cbranch_execz .LBB165_22
	s_branch .LBB165_31
.LBB165_21:
	s_mov_b64 s[4:5], 0
                                        ; implicit-def: $vgpr11
                                        ; implicit-def: $vgpr0_vgpr1
                                        ; implicit-def: $vgpr4
.LBB165_22:
	s_and_saveexec_b64 s[4:5], s[2:3]
	s_xor_b64 s[2:3], exec, s[4:5]
	s_cbranch_execz .LBB165_26
; %bb.23:
	v_subrev_u32_e32 v0, s17, v2
	v_cmp_gt_u32_e32 vcc, s26, v0
	s_and_saveexec_b64 s[4:5], vcc
	s_cbranch_execz .LBB165_25
; %bb.24:
	v_lshlrev_b32_e32 v0, 3, v0
	global_load_dwordx2 v[0:1], v0, s[8:9]
	v_mad_u32_u24 v4, v2, 7, v2
	s_waitcnt vmcnt(0)
	ds_write_b64 v4, v[0:1]
.LBB165_25:
	s_or_b64 exec, exec, s[4:5]
.LBB165_26:
	s_andn2_saveexec_b64 s[2:3], s[2:3]
	s_cbranch_execz .LBB165_28
; %bb.27:
	v_lshlrev_b32_e32 v0, 3, v2
	global_load_dwordx2 v[0:1], v0, s[18:19]
	v_mad_u32_u24 v4, v2, 7, v2
	s_waitcnt vmcnt(0)
	ds_write_b64 v4, v[0:1]
.LBB165_28:
	s_or_b64 exec, exec, s[2:3]
	v_add_u32_e32 v11, 0x200, v2
	v_cmp_le_u32_e32 vcc, s17, v11
	s_mov_b64 s[4:5], -1
	v_mov_b64_e32 v[0:1], s[18:19]
	v_mov_b32_e32 v4, v11
	s_and_saveexec_b64 s[2:3], vcc
; %bb.29:
	v_subrev_u32_e32 v4, s17, v11
	v_cmp_gt_u32_e32 vcc, s26, v4
	v_mov_b64_e32 v[0:1], s[8:9]
	s_orn2_b64 s[4:5], vcc, exec
; %bb.30:
	s_or_b64 exec, exec, s[2:3]
.LBB165_31:
	s_and_saveexec_b64 s[2:3], s[4:5]
	s_cbranch_execz .LBB165_33
; %bb.32:
	v_mov_b32_e32 v5, 0
	v_lshl_add_u64 v[0:1], v[4:5], 3, v[0:1]
	global_load_dwordx2 v[0:1], v[0:1], off
	v_lshlrev_b32_e32 v4, 3, v11
	s_waitcnt vmcnt(0)
	ds_write_b64 v4, v[0:1]
.LBB165_33:
	s_or_b64 exec, exec, s[2:3]
	s_and_b64 vcc, exec, s[0:1]
	v_add_u32_e32 v0, s23, v8
	s_waitcnt lgkmcnt(0)
	s_barrier
	s_cbranch_vccnz .LBB165_35
; %bb.34:
	v_lshlrev_b32_e32 v1, 3, v10
	ds_read_b64 v[4:5], v1
	v_mov_b32_e32 v1, 0
	v_lshl_add_u64 v[12:13], v[0:1], 3, s[14:15]
	s_mov_b64 s[0:1], -1
	s_waitcnt lgkmcnt(0)
	global_store_dwordx2 v[12:13], v[4:5], off
	s_cbranch_execz .LBB165_36
	s_branch .LBB165_41
.LBB165_35:
	s_mov_b64 s[0:1], 0
.LBB165_36:
	v_cmp_lt_u32_e32 vcc, v8, v7
	s_and_saveexec_b64 s[2:3], vcc
	s_cbranch_execz .LBB165_38
; %bb.37:
	v_lshlrev_b32_e32 v1, 3, v10
	ds_read_b64 v[4:5], v1
	v_mov_b32_e32 v1, 0
	v_lshl_add_u64 v[10:11], v[0:1], 3, s[14:15]
	s_waitcnt lgkmcnt(0)
	global_store_dwordx2 v[10:11], v[4:5], off
.LBB165_38:
	s_or_b64 exec, exec, s[2:3]
	v_or_b32_e32 v1, 1, v8
	v_cmp_lt_u32_e32 vcc, v1, v7
	s_and_saveexec_b64 s[2:3], vcc
; %bb.39:
	v_mov_b32_e32 v1, 0
	s_or_b64 s[0:1], s[0:1], exec
; %bb.40:
	s_or_b64 exec, exec, s[2:3]
.LBB165_41:
	s_and_saveexec_b64 s[2:3], s[0:1]
	s_cbranch_execz .LBB165_43
; %bb.42:
	v_lshlrev_b32_e32 v4, 3, v9
	ds_read_b64 v[4:5], v4
	v_lshl_add_u64 v[0:1], v[0:1], 3, s[14:15]
	s_waitcnt lgkmcnt(0)
	global_store_dwordx2 v[0:1], v[4:5], off offset:8
.LBB165_43:
	s_or_b64 exec, exec, s[2:3]
	v_lshrrev_b32_e32 v0, 4, v2
	v_and_b32_e32 v0, 60, v0
	v_add_u32_e32 v0, v0, v8
	s_barrier
	s_barrier
	ds_write_b16 v0, v6
	v_lshrrev_b32_e32 v0, 5, v2
	v_add_u32_e32 v4, 0x200, v2
	s_add_u32 s0, s10, s23
	v_and_b32_e32 v5, 28, v0
	v_lshrrev_b32_e32 v0, 5, v4
	s_addc_u32 s1, s11, 0
	v_and_b32_e32 v6, 60, v0
	v_lshl_add_u64 v[0:1], s[0:1], 0, v[2:3]
	s_and_b64 vcc, exec, s[6:7]
	v_add_u32_e32 v6, v6, v2
	s_waitcnt lgkmcnt(0)
	s_cbranch_vccz .LBB165_45
; %bb.44:
	v_add_u32_e32 v3, v5, v2
	s_barrier
	ds_read_u8 v7, v3
	ds_read_u8 v3, v6 offset:512
	s_mov_b64 s[0:1], -1
	s_waitcnt lgkmcnt(1)
	global_store_byte v[0:1], v7, off
	s_cbranch_execz .LBB165_46
	s_branch .LBB165_49
.LBB165_45:
	s_mov_b64 s[0:1], 0
                                        ; implicit-def: $vgpr3
.LBB165_46:
	s_barrier
	s_waitcnt lgkmcnt(0)
	ds_read_u8 v3, v6 offset:512
	s_sub_i32 s2, s16, s23
	v_cmp_gt_u32_e32 vcc, s2, v2
	s_and_saveexec_b64 s[0:1], vcc
	s_cbranch_execz .LBB165_48
; %bb.47:
	v_add_u32_e32 v2, v5, v2
	ds_read_u8 v2, v2
	s_waitcnt lgkmcnt(0)
	global_store_byte v[0:1], v2, off
.LBB165_48:
	s_or_b64 exec, exec, s[0:1]
	v_cmp_gt_u32_e64 s[0:1], s2, v4
.LBB165_49:
	s_and_saveexec_b64 s[2:3], s[0:1]
	s_cbranch_execz .LBB165_51
; %bb.50:
	s_waitcnt lgkmcnt(0)
	global_store_byte v[0:1], v3, off offset:512
.LBB165_51:
	s_endpgm
	.section	.rodata,"a",@progbits
	.p2align	6, 0x0
	.amdhsa_kernel _ZN7rocprim17ROCPRIM_304000_NS6detail35device_block_merge_mergepath_kernelINS1_37wrapped_merge_sort_block_merge_configINS0_14default_configEbN2at4cuda3cub6detail10OpaqueTypeILi8EEEEEPbSC_PSA_SD_jNS1_19radix_merge_compareILb1ELb1EbNS0_19identity_decomposerEEEEEvT0_T1_T2_T3_T4_SL_jT5_PKSL_NS1_7vsmem_tE
		.amdhsa_group_segment_fixed_size 10768
		.amdhsa_private_segment_fixed_size 0
		.amdhsa_kernarg_size 320
		.amdhsa_user_sgpr_count 4
		.amdhsa_user_sgpr_dispatch_ptr 1
		.amdhsa_user_sgpr_queue_ptr 0
		.amdhsa_user_sgpr_kernarg_segment_ptr 1
		.amdhsa_user_sgpr_dispatch_id 0
		.amdhsa_user_sgpr_kernarg_preload_length 0
		.amdhsa_user_sgpr_kernarg_preload_offset 0
		.amdhsa_user_sgpr_private_segment_size 0
		.amdhsa_uses_dynamic_stack 0
		.amdhsa_enable_private_segment 0
		.amdhsa_system_sgpr_workgroup_id_x 1
		.amdhsa_system_sgpr_workgroup_id_y 1
		.amdhsa_system_sgpr_workgroup_id_z 1
		.amdhsa_system_sgpr_workgroup_info 0
		.amdhsa_system_vgpr_workitem_id 2
		.amdhsa_next_free_vgpr 16
		.amdhsa_next_free_sgpr 29
		.amdhsa_accum_offset 16
		.amdhsa_reserve_vcc 1
		.amdhsa_float_round_mode_32 0
		.amdhsa_float_round_mode_16_64 0
		.amdhsa_float_denorm_mode_32 3
		.amdhsa_float_denorm_mode_16_64 3
		.amdhsa_dx10_clamp 1
		.amdhsa_ieee_mode 1
		.amdhsa_fp16_overflow 0
		.amdhsa_tg_split 0
		.amdhsa_exception_fp_ieee_invalid_op 0
		.amdhsa_exception_fp_denorm_src 0
		.amdhsa_exception_fp_ieee_div_zero 0
		.amdhsa_exception_fp_ieee_overflow 0
		.amdhsa_exception_fp_ieee_underflow 0
		.amdhsa_exception_fp_ieee_inexact 0
		.amdhsa_exception_int_div_zero 0
	.end_amdhsa_kernel
	.section	.text._ZN7rocprim17ROCPRIM_304000_NS6detail35device_block_merge_mergepath_kernelINS1_37wrapped_merge_sort_block_merge_configINS0_14default_configEbN2at4cuda3cub6detail10OpaqueTypeILi8EEEEEPbSC_PSA_SD_jNS1_19radix_merge_compareILb1ELb1EbNS0_19identity_decomposerEEEEEvT0_T1_T2_T3_T4_SL_jT5_PKSL_NS1_7vsmem_tE,"axG",@progbits,_ZN7rocprim17ROCPRIM_304000_NS6detail35device_block_merge_mergepath_kernelINS1_37wrapped_merge_sort_block_merge_configINS0_14default_configEbN2at4cuda3cub6detail10OpaqueTypeILi8EEEEEPbSC_PSA_SD_jNS1_19radix_merge_compareILb1ELb1EbNS0_19identity_decomposerEEEEEvT0_T1_T2_T3_T4_SL_jT5_PKSL_NS1_7vsmem_tE,comdat
.Lfunc_end165:
	.size	_ZN7rocprim17ROCPRIM_304000_NS6detail35device_block_merge_mergepath_kernelINS1_37wrapped_merge_sort_block_merge_configINS0_14default_configEbN2at4cuda3cub6detail10OpaqueTypeILi8EEEEEPbSC_PSA_SD_jNS1_19radix_merge_compareILb1ELb1EbNS0_19identity_decomposerEEEEEvT0_T1_T2_T3_T4_SL_jT5_PKSL_NS1_7vsmem_tE, .Lfunc_end165-_ZN7rocprim17ROCPRIM_304000_NS6detail35device_block_merge_mergepath_kernelINS1_37wrapped_merge_sort_block_merge_configINS0_14default_configEbN2at4cuda3cub6detail10OpaqueTypeILi8EEEEEPbSC_PSA_SD_jNS1_19radix_merge_compareILb1ELb1EbNS0_19identity_decomposerEEEEEvT0_T1_T2_T3_T4_SL_jT5_PKSL_NS1_7vsmem_tE
                                        ; -- End function
	.set _ZN7rocprim17ROCPRIM_304000_NS6detail35device_block_merge_mergepath_kernelINS1_37wrapped_merge_sort_block_merge_configINS0_14default_configEbN2at4cuda3cub6detail10OpaqueTypeILi8EEEEEPbSC_PSA_SD_jNS1_19radix_merge_compareILb1ELb1EbNS0_19identity_decomposerEEEEEvT0_T1_T2_T3_T4_SL_jT5_PKSL_NS1_7vsmem_tE.num_vgpr, 16
	.set _ZN7rocprim17ROCPRIM_304000_NS6detail35device_block_merge_mergepath_kernelINS1_37wrapped_merge_sort_block_merge_configINS0_14default_configEbN2at4cuda3cub6detail10OpaqueTypeILi8EEEEEPbSC_PSA_SD_jNS1_19radix_merge_compareILb1ELb1EbNS0_19identity_decomposerEEEEEvT0_T1_T2_T3_T4_SL_jT5_PKSL_NS1_7vsmem_tE.num_agpr, 0
	.set _ZN7rocprim17ROCPRIM_304000_NS6detail35device_block_merge_mergepath_kernelINS1_37wrapped_merge_sort_block_merge_configINS0_14default_configEbN2at4cuda3cub6detail10OpaqueTypeILi8EEEEEPbSC_PSA_SD_jNS1_19radix_merge_compareILb1ELb1EbNS0_19identity_decomposerEEEEEvT0_T1_T2_T3_T4_SL_jT5_PKSL_NS1_7vsmem_tE.numbered_sgpr, 29
	.set _ZN7rocprim17ROCPRIM_304000_NS6detail35device_block_merge_mergepath_kernelINS1_37wrapped_merge_sort_block_merge_configINS0_14default_configEbN2at4cuda3cub6detail10OpaqueTypeILi8EEEEEPbSC_PSA_SD_jNS1_19radix_merge_compareILb1ELb1EbNS0_19identity_decomposerEEEEEvT0_T1_T2_T3_T4_SL_jT5_PKSL_NS1_7vsmem_tE.num_named_barrier, 0
	.set _ZN7rocprim17ROCPRIM_304000_NS6detail35device_block_merge_mergepath_kernelINS1_37wrapped_merge_sort_block_merge_configINS0_14default_configEbN2at4cuda3cub6detail10OpaqueTypeILi8EEEEEPbSC_PSA_SD_jNS1_19radix_merge_compareILb1ELb1EbNS0_19identity_decomposerEEEEEvT0_T1_T2_T3_T4_SL_jT5_PKSL_NS1_7vsmem_tE.private_seg_size, 0
	.set _ZN7rocprim17ROCPRIM_304000_NS6detail35device_block_merge_mergepath_kernelINS1_37wrapped_merge_sort_block_merge_configINS0_14default_configEbN2at4cuda3cub6detail10OpaqueTypeILi8EEEEEPbSC_PSA_SD_jNS1_19radix_merge_compareILb1ELb1EbNS0_19identity_decomposerEEEEEvT0_T1_T2_T3_T4_SL_jT5_PKSL_NS1_7vsmem_tE.uses_vcc, 1
	.set _ZN7rocprim17ROCPRIM_304000_NS6detail35device_block_merge_mergepath_kernelINS1_37wrapped_merge_sort_block_merge_configINS0_14default_configEbN2at4cuda3cub6detail10OpaqueTypeILi8EEEEEPbSC_PSA_SD_jNS1_19radix_merge_compareILb1ELb1EbNS0_19identity_decomposerEEEEEvT0_T1_T2_T3_T4_SL_jT5_PKSL_NS1_7vsmem_tE.uses_flat_scratch, 0
	.set _ZN7rocprim17ROCPRIM_304000_NS6detail35device_block_merge_mergepath_kernelINS1_37wrapped_merge_sort_block_merge_configINS0_14default_configEbN2at4cuda3cub6detail10OpaqueTypeILi8EEEEEPbSC_PSA_SD_jNS1_19radix_merge_compareILb1ELb1EbNS0_19identity_decomposerEEEEEvT0_T1_T2_T3_T4_SL_jT5_PKSL_NS1_7vsmem_tE.has_dyn_sized_stack, 0
	.set _ZN7rocprim17ROCPRIM_304000_NS6detail35device_block_merge_mergepath_kernelINS1_37wrapped_merge_sort_block_merge_configINS0_14default_configEbN2at4cuda3cub6detail10OpaqueTypeILi8EEEEEPbSC_PSA_SD_jNS1_19radix_merge_compareILb1ELb1EbNS0_19identity_decomposerEEEEEvT0_T1_T2_T3_T4_SL_jT5_PKSL_NS1_7vsmem_tE.has_recursion, 0
	.set _ZN7rocprim17ROCPRIM_304000_NS6detail35device_block_merge_mergepath_kernelINS1_37wrapped_merge_sort_block_merge_configINS0_14default_configEbN2at4cuda3cub6detail10OpaqueTypeILi8EEEEEPbSC_PSA_SD_jNS1_19radix_merge_compareILb1ELb1EbNS0_19identity_decomposerEEEEEvT0_T1_T2_T3_T4_SL_jT5_PKSL_NS1_7vsmem_tE.has_indirect_call, 0
	.section	.AMDGPU.csdata,"",@progbits
; Kernel info:
; codeLenInByte = 2108
; TotalNumSgprs: 35
; NumVgprs: 16
; NumAgprs: 0
; TotalNumVgprs: 16
; ScratchSize: 0
; MemoryBound: 0
; FloatMode: 240
; IeeeMode: 1
; LDSByteSize: 10768 bytes/workgroup (compile time only)
; SGPRBlocks: 4
; VGPRBlocks: 1
; NumSGPRsForWavesPerEU: 35
; NumVGPRsForWavesPerEU: 16
; AccumOffset: 16
; Occupancy: 8
; WaveLimiterHint : 1
; COMPUTE_PGM_RSRC2:SCRATCH_EN: 0
; COMPUTE_PGM_RSRC2:USER_SGPR: 4
; COMPUTE_PGM_RSRC2:TRAP_HANDLER: 0
; COMPUTE_PGM_RSRC2:TGID_X_EN: 1
; COMPUTE_PGM_RSRC2:TGID_Y_EN: 1
; COMPUTE_PGM_RSRC2:TGID_Z_EN: 1
; COMPUTE_PGM_RSRC2:TIDIG_COMP_CNT: 2
; COMPUTE_PGM_RSRC3_GFX90A:ACCUM_OFFSET: 3
; COMPUTE_PGM_RSRC3_GFX90A:TG_SPLIT: 0
	.section	.text._ZN7rocprim17ROCPRIM_304000_NS6detail33device_block_merge_oddeven_kernelINS1_37wrapped_merge_sort_block_merge_configINS0_14default_configEbN2at4cuda3cub6detail10OpaqueTypeILi8EEEEEPbSC_PSA_SD_jNS1_19radix_merge_compareILb1ELb1EbNS0_19identity_decomposerEEEEEvT0_T1_T2_T3_T4_SL_T5_,"axG",@progbits,_ZN7rocprim17ROCPRIM_304000_NS6detail33device_block_merge_oddeven_kernelINS1_37wrapped_merge_sort_block_merge_configINS0_14default_configEbN2at4cuda3cub6detail10OpaqueTypeILi8EEEEEPbSC_PSA_SD_jNS1_19radix_merge_compareILb1ELb1EbNS0_19identity_decomposerEEEEEvT0_T1_T2_T3_T4_SL_T5_,comdat
	.protected	_ZN7rocprim17ROCPRIM_304000_NS6detail33device_block_merge_oddeven_kernelINS1_37wrapped_merge_sort_block_merge_configINS0_14default_configEbN2at4cuda3cub6detail10OpaqueTypeILi8EEEEEPbSC_PSA_SD_jNS1_19radix_merge_compareILb1ELb1EbNS0_19identity_decomposerEEEEEvT0_T1_T2_T3_T4_SL_T5_ ; -- Begin function _ZN7rocprim17ROCPRIM_304000_NS6detail33device_block_merge_oddeven_kernelINS1_37wrapped_merge_sort_block_merge_configINS0_14default_configEbN2at4cuda3cub6detail10OpaqueTypeILi8EEEEEPbSC_PSA_SD_jNS1_19radix_merge_compareILb1ELb1EbNS0_19identity_decomposerEEEEEvT0_T1_T2_T3_T4_SL_T5_
	.globl	_ZN7rocprim17ROCPRIM_304000_NS6detail33device_block_merge_oddeven_kernelINS1_37wrapped_merge_sort_block_merge_configINS0_14default_configEbN2at4cuda3cub6detail10OpaqueTypeILi8EEEEEPbSC_PSA_SD_jNS1_19radix_merge_compareILb1ELb1EbNS0_19identity_decomposerEEEEEvT0_T1_T2_T3_T4_SL_T5_
	.p2align	8
	.type	_ZN7rocprim17ROCPRIM_304000_NS6detail33device_block_merge_oddeven_kernelINS1_37wrapped_merge_sort_block_merge_configINS0_14default_configEbN2at4cuda3cub6detail10OpaqueTypeILi8EEEEEPbSC_PSA_SD_jNS1_19radix_merge_compareILb1ELb1EbNS0_19identity_decomposerEEEEEvT0_T1_T2_T3_T4_SL_T5_,@function
_ZN7rocprim17ROCPRIM_304000_NS6detail33device_block_merge_oddeven_kernelINS1_37wrapped_merge_sort_block_merge_configINS0_14default_configEbN2at4cuda3cub6detail10OpaqueTypeILi8EEEEEPbSC_PSA_SD_jNS1_19radix_merge_compareILb1ELb1EbNS0_19identity_decomposerEEEEEvT0_T1_T2_T3_T4_SL_T5_: ; @_ZN7rocprim17ROCPRIM_304000_NS6detail33device_block_merge_oddeven_kernelINS1_37wrapped_merge_sort_block_merge_configINS0_14default_configEbN2at4cuda3cub6detail10OpaqueTypeILi8EEEEEPbSC_PSA_SD_jNS1_19radix_merge_compareILb1ELb1EbNS0_19identity_decomposerEEEEEvT0_T1_T2_T3_T4_SL_T5_
; %bb.0:
	s_load_dwordx2 s[6:7], s[0:1], 0x4
	s_load_dwordx4 s[16:19], s[2:3], 0x20
	v_and_b32_e32 v2, 0x3ff, v0
	v_bfe_u32 v3, v0, 10, 10
	v_bfe_u32 v0, v0, 20, 10
	s_waitcnt lgkmcnt(0)
	s_lshr_b32 s0, s6, 16
	s_mul_i32 s0, s0, s7
	v_mul_lo_u32 v1, s0, v2
	v_mul_u32_u24_e32 v3, s7, v3
	s_and_b32 s0, s18, 1
	v_add3_u32 v5, v1, v3, v0
	v_mov_b32_e32 v0, s0
	ds_write_b8 v5, v0
	s_lshr_b32 s0, s16, 8
	ds_read_u8 v0, v5
	s_cmp_eq_u32 s4, s0
	s_cselect_b64 s[18:19], -1, 0
	s_cmp_lg_u32 s4, s0
	s_cselect_b64 s[0:1], -1, 0
	s_lshl_b32 s20, s4, 8
	s_sub_i32 s5, s16, s20
	v_cmp_gt_u32_e64 s[6:7], s5, v2
	s_waitcnt lgkmcnt(0)
	v_and_b32_e32 v0, 1, v0
	s_or_b64 s[0:1], s[0:1], s[6:7]
	ds_write_b8 v5, v0 offset:256
	s_and_saveexec_b64 s[8:9], s[0:1]
	s_cbranch_execz .LBB166_24
; %bb.1:
	s_load_dwordx8 s[8:15], s[2:3], 0x0
	s_mov_b32 s21, 0
	v_lshlrev_b32_e32 v3, 3, v2
	s_waitcnt lgkmcnt(0)
	s_add_u32 s0, s8, s20
	s_addc_u32 s1, s9, 0
	s_lshl_b64 s[2:3], s[20:21], 3
	s_add_u32 s2, s12, s2
	s_addc_u32 s3, s13, s3
	global_load_dwordx2 v[0:1], v3, s[2:3]
	global_load_ubyte v4, v2, s[0:1]
	s_lshr_b32 s0, s17, 8
	s_sub_i32 s1, 0, s0
	s_and_b32 s1, s4, s1
	s_and_b32 s0, s1, s0
	s_lshl_b32 s4, s1, 8
	s_sub_i32 s5, 0, s17
	s_cmp_eq_u32 s0, 0
	s_cselect_b64 s[0:1], -1, 0
	s_and_b64 s[2:3], s[0:1], exec
	s_cselect_b32 s12, s17, s5
	s_add_i32 s12, s12, s4
	s_mov_b64 s[2:3], -1
	s_cmp_gt_u32 s16, s12
	v_add_u32_e32 v2, s20, v2
	s_cbranch_scc1 .LBB166_9
; %bb.2:
	s_and_b64 vcc, exec, s[18:19]
	s_cbranch_vccz .LBB166_6
; %bb.3:
	v_cmp_gt_u32_e32 vcc, s16, v2
	s_and_saveexec_b64 s[2:3], vcc
	s_cbranch_execz .LBB166_5
; %bb.4:
	v_mov_b32_e32 v3, 0
	v_lshl_add_u64 v[6:7], v[2:3], 3, s[14:15]
	s_waitcnt vmcnt(0)
	global_store_byte v2, v4, s[10:11]
	global_store_dwordx2 v[6:7], v[0:1], off
.LBB166_5:
	s_or_b64 exec, exec, s[2:3]
	s_mov_b64 s[2:3], 0
.LBB166_6:
	s_andn2_b64 vcc, exec, s[2:3]
	s_cbranch_vccnz .LBB166_8
; %bb.7:
	v_mov_b32_e32 v3, 0
	v_lshl_add_u64 v[6:7], v[2:3], 3, s[14:15]
	s_waitcnt vmcnt(0)
	global_store_byte v2, v4, s[10:11]
	global_store_dwordx2 v[6:7], v[0:1], off
.LBB166_8:
	s_mov_b64 s[2:3], 0
.LBB166_9:
	s_andn2_b64 vcc, exec, s[2:3]
	s_cbranch_vccnz .LBB166_24
; %bb.10:
	ds_read_u8 v3, v5 offset:256
	s_min_u32 s13, s12, s16
	s_add_i32 s2, s13, s17
	s_min_u32 s16, s2, s16
	s_min_u32 s2, s4, s13
	s_add_i32 s4, s4, s13
	v_subrev_u32_e32 v2, s4, v2
	v_add_u32_e32 v2, s2, v2
	s_waitcnt vmcnt(0) lgkmcnt(0)
	v_and_b32_e32 v5, v3, v4
	s_mov_b64 s[2:3], -1
	s_and_b64 vcc, exec, s[18:19]
	s_cbranch_vccz .LBB166_18
; %bb.11:
	s_and_saveexec_b64 s[2:3], s[6:7]
	s_cbranch_execz .LBB166_17
; %bb.12:
	s_cmp_ge_u32 s12, s16
	v_mov_b32_e32 v6, s13
	s_cbranch_scc1 .LBB166_16
; %bb.13:
	s_mov_b64 s[4:5], 0
	v_mov_b32_e32 v7, s16
	v_mov_b32_e32 v6, s13
.LBB166_14:                             ; =>This Inner Loop Header: Depth=1
	v_add_u32_e32 v8, v6, v7
	v_lshrrev_b32_e32 v8, 1, v8
	global_load_ubyte v9, v8, s[8:9]
	v_add_u32_e32 v10, 1, v8
	s_waitcnt vmcnt(0)
	v_and_b32_e32 v9, v3, v9
	v_cmp_gt_u16_sdwa s[6:7], v9, v5 src0_sel:DWORD src1_sel:BYTE_0
	s_nop 1
	v_cndmask_b32_e64 v11, 0, 1, s[6:7]
	v_cmp_le_u16_sdwa s[6:7], v5, v9 src0_sel:BYTE_0 src1_sel:DWORD
	s_nop 1
	v_cndmask_b32_e64 v9, 0, 1, s[6:7]
	v_cndmask_b32_e64 v9, v9, v11, s[0:1]
	v_and_b32_e32 v9, 1, v9
	v_cmp_eq_u32_e32 vcc, 1, v9
	s_nop 1
	v_cndmask_b32_e32 v7, v8, v7, vcc
	v_cndmask_b32_e32 v6, v6, v10, vcc
	v_cmp_ge_u32_e32 vcc, v6, v7
	s_or_b64 s[4:5], vcc, s[4:5]
	s_andn2_b64 exec, exec, s[4:5]
	s_cbranch_execnz .LBB166_14
; %bb.15:
	s_or_b64 exec, exec, s[4:5]
.LBB166_16:
	v_add_u32_e32 v6, v6, v2
	v_mov_b32_e32 v7, 0
	global_store_byte v6, v4, s[10:11]
	v_lshl_add_u64 v[6:7], v[6:7], 3, s[14:15]
	global_store_dwordx2 v[6:7], v[0:1], off
.LBB166_17:
	s_or_b64 exec, exec, s[2:3]
	s_mov_b64 s[2:3], 0
.LBB166_18:
	s_andn2_b64 vcc, exec, s[2:3]
	s_cbranch_vccnz .LBB166_24
; %bb.19:
	s_cmp_ge_u32 s12, s16
	v_mov_b32_e32 v6, s13
	s_cbranch_scc1 .LBB166_23
; %bb.20:
	s_mov_b64 s[2:3], 0
	v_mov_b32_e32 v7, s16
	v_mov_b32_e32 v6, s13
.LBB166_21:                             ; =>This Inner Loop Header: Depth=1
	v_add_u32_e32 v8, v6, v7
	v_lshrrev_b32_e32 v8, 1, v8
	global_load_ubyte v9, v8, s[8:9]
	v_add_u32_e32 v10, 1, v8
	s_waitcnt vmcnt(0)
	v_and_b32_e32 v9, v3, v9
	v_cmp_gt_u16_sdwa s[4:5], v9, v5 src0_sel:DWORD src1_sel:BYTE_0
	s_nop 1
	v_cndmask_b32_e64 v11, 0, 1, s[4:5]
	v_cmp_le_u16_sdwa s[4:5], v5, v9 src0_sel:BYTE_0 src1_sel:DWORD
	s_nop 1
	v_cndmask_b32_e64 v9, 0, 1, s[4:5]
	v_cndmask_b32_e64 v9, v9, v11, s[0:1]
	v_and_b32_e32 v9, 1, v9
	v_cmp_eq_u32_e32 vcc, 1, v9
	s_nop 1
	v_cndmask_b32_e32 v7, v8, v7, vcc
	v_cndmask_b32_e32 v6, v6, v10, vcc
	v_cmp_ge_u32_e32 vcc, v6, v7
	s_or_b64 s[2:3], vcc, s[2:3]
	s_andn2_b64 exec, exec, s[2:3]
	s_cbranch_execnz .LBB166_21
; %bb.22:
	s_or_b64 exec, exec, s[2:3]
.LBB166_23:
	v_add_u32_e32 v2, v6, v2
	v_mov_b32_e32 v3, 0
	global_store_byte v2, v4, s[10:11]
	v_lshl_add_u64 v[2:3], v[2:3], 3, s[14:15]
	global_store_dwordx2 v[2:3], v[0:1], off
.LBB166_24:
	s_endpgm
	.section	.rodata,"a",@progbits
	.p2align	6, 0x0
	.amdhsa_kernel _ZN7rocprim17ROCPRIM_304000_NS6detail33device_block_merge_oddeven_kernelINS1_37wrapped_merge_sort_block_merge_configINS0_14default_configEbN2at4cuda3cub6detail10OpaqueTypeILi8EEEEEPbSC_PSA_SD_jNS1_19radix_merge_compareILb1ELb1EbNS0_19identity_decomposerEEEEEvT0_T1_T2_T3_T4_SL_T5_
		.amdhsa_group_segment_fixed_size 512
		.amdhsa_private_segment_fixed_size 0
		.amdhsa_kernarg_size 44
		.amdhsa_user_sgpr_count 4
		.amdhsa_user_sgpr_dispatch_ptr 1
		.amdhsa_user_sgpr_queue_ptr 0
		.amdhsa_user_sgpr_kernarg_segment_ptr 1
		.amdhsa_user_sgpr_dispatch_id 0
		.amdhsa_user_sgpr_kernarg_preload_length 0
		.amdhsa_user_sgpr_kernarg_preload_offset 0
		.amdhsa_user_sgpr_private_segment_size 0
		.amdhsa_uses_dynamic_stack 0
		.amdhsa_enable_private_segment 0
		.amdhsa_system_sgpr_workgroup_id_x 1
		.amdhsa_system_sgpr_workgroup_id_y 0
		.amdhsa_system_sgpr_workgroup_id_z 0
		.amdhsa_system_sgpr_workgroup_info 0
		.amdhsa_system_vgpr_workitem_id 2
		.amdhsa_next_free_vgpr 12
		.amdhsa_next_free_sgpr 22
		.amdhsa_accum_offset 12
		.amdhsa_reserve_vcc 1
		.amdhsa_float_round_mode_32 0
		.amdhsa_float_round_mode_16_64 0
		.amdhsa_float_denorm_mode_32 3
		.amdhsa_float_denorm_mode_16_64 3
		.amdhsa_dx10_clamp 1
		.amdhsa_ieee_mode 1
		.amdhsa_fp16_overflow 0
		.amdhsa_tg_split 0
		.amdhsa_exception_fp_ieee_invalid_op 0
		.amdhsa_exception_fp_denorm_src 0
		.amdhsa_exception_fp_ieee_div_zero 0
		.amdhsa_exception_fp_ieee_overflow 0
		.amdhsa_exception_fp_ieee_underflow 0
		.amdhsa_exception_fp_ieee_inexact 0
		.amdhsa_exception_int_div_zero 0
	.end_amdhsa_kernel
	.section	.text._ZN7rocprim17ROCPRIM_304000_NS6detail33device_block_merge_oddeven_kernelINS1_37wrapped_merge_sort_block_merge_configINS0_14default_configEbN2at4cuda3cub6detail10OpaqueTypeILi8EEEEEPbSC_PSA_SD_jNS1_19radix_merge_compareILb1ELb1EbNS0_19identity_decomposerEEEEEvT0_T1_T2_T3_T4_SL_T5_,"axG",@progbits,_ZN7rocprim17ROCPRIM_304000_NS6detail33device_block_merge_oddeven_kernelINS1_37wrapped_merge_sort_block_merge_configINS0_14default_configEbN2at4cuda3cub6detail10OpaqueTypeILi8EEEEEPbSC_PSA_SD_jNS1_19radix_merge_compareILb1ELb1EbNS0_19identity_decomposerEEEEEvT0_T1_T2_T3_T4_SL_T5_,comdat
.Lfunc_end166:
	.size	_ZN7rocprim17ROCPRIM_304000_NS6detail33device_block_merge_oddeven_kernelINS1_37wrapped_merge_sort_block_merge_configINS0_14default_configEbN2at4cuda3cub6detail10OpaqueTypeILi8EEEEEPbSC_PSA_SD_jNS1_19radix_merge_compareILb1ELb1EbNS0_19identity_decomposerEEEEEvT0_T1_T2_T3_T4_SL_T5_, .Lfunc_end166-_ZN7rocprim17ROCPRIM_304000_NS6detail33device_block_merge_oddeven_kernelINS1_37wrapped_merge_sort_block_merge_configINS0_14default_configEbN2at4cuda3cub6detail10OpaqueTypeILi8EEEEEPbSC_PSA_SD_jNS1_19radix_merge_compareILb1ELb1EbNS0_19identity_decomposerEEEEEvT0_T1_T2_T3_T4_SL_T5_
                                        ; -- End function
	.set _ZN7rocprim17ROCPRIM_304000_NS6detail33device_block_merge_oddeven_kernelINS1_37wrapped_merge_sort_block_merge_configINS0_14default_configEbN2at4cuda3cub6detail10OpaqueTypeILi8EEEEEPbSC_PSA_SD_jNS1_19radix_merge_compareILb1ELb1EbNS0_19identity_decomposerEEEEEvT0_T1_T2_T3_T4_SL_T5_.num_vgpr, 12
	.set _ZN7rocprim17ROCPRIM_304000_NS6detail33device_block_merge_oddeven_kernelINS1_37wrapped_merge_sort_block_merge_configINS0_14default_configEbN2at4cuda3cub6detail10OpaqueTypeILi8EEEEEPbSC_PSA_SD_jNS1_19radix_merge_compareILb1ELb1EbNS0_19identity_decomposerEEEEEvT0_T1_T2_T3_T4_SL_T5_.num_agpr, 0
	.set _ZN7rocprim17ROCPRIM_304000_NS6detail33device_block_merge_oddeven_kernelINS1_37wrapped_merge_sort_block_merge_configINS0_14default_configEbN2at4cuda3cub6detail10OpaqueTypeILi8EEEEEPbSC_PSA_SD_jNS1_19radix_merge_compareILb1ELb1EbNS0_19identity_decomposerEEEEEvT0_T1_T2_T3_T4_SL_T5_.numbered_sgpr, 22
	.set _ZN7rocprim17ROCPRIM_304000_NS6detail33device_block_merge_oddeven_kernelINS1_37wrapped_merge_sort_block_merge_configINS0_14default_configEbN2at4cuda3cub6detail10OpaqueTypeILi8EEEEEPbSC_PSA_SD_jNS1_19radix_merge_compareILb1ELb1EbNS0_19identity_decomposerEEEEEvT0_T1_T2_T3_T4_SL_T5_.num_named_barrier, 0
	.set _ZN7rocprim17ROCPRIM_304000_NS6detail33device_block_merge_oddeven_kernelINS1_37wrapped_merge_sort_block_merge_configINS0_14default_configEbN2at4cuda3cub6detail10OpaqueTypeILi8EEEEEPbSC_PSA_SD_jNS1_19radix_merge_compareILb1ELb1EbNS0_19identity_decomposerEEEEEvT0_T1_T2_T3_T4_SL_T5_.private_seg_size, 0
	.set _ZN7rocprim17ROCPRIM_304000_NS6detail33device_block_merge_oddeven_kernelINS1_37wrapped_merge_sort_block_merge_configINS0_14default_configEbN2at4cuda3cub6detail10OpaqueTypeILi8EEEEEPbSC_PSA_SD_jNS1_19radix_merge_compareILb1ELb1EbNS0_19identity_decomposerEEEEEvT0_T1_T2_T3_T4_SL_T5_.uses_vcc, 1
	.set _ZN7rocprim17ROCPRIM_304000_NS6detail33device_block_merge_oddeven_kernelINS1_37wrapped_merge_sort_block_merge_configINS0_14default_configEbN2at4cuda3cub6detail10OpaqueTypeILi8EEEEEPbSC_PSA_SD_jNS1_19radix_merge_compareILb1ELb1EbNS0_19identity_decomposerEEEEEvT0_T1_T2_T3_T4_SL_T5_.uses_flat_scratch, 0
	.set _ZN7rocprim17ROCPRIM_304000_NS6detail33device_block_merge_oddeven_kernelINS1_37wrapped_merge_sort_block_merge_configINS0_14default_configEbN2at4cuda3cub6detail10OpaqueTypeILi8EEEEEPbSC_PSA_SD_jNS1_19radix_merge_compareILb1ELb1EbNS0_19identity_decomposerEEEEEvT0_T1_T2_T3_T4_SL_T5_.has_dyn_sized_stack, 0
	.set _ZN7rocprim17ROCPRIM_304000_NS6detail33device_block_merge_oddeven_kernelINS1_37wrapped_merge_sort_block_merge_configINS0_14default_configEbN2at4cuda3cub6detail10OpaqueTypeILi8EEEEEPbSC_PSA_SD_jNS1_19radix_merge_compareILb1ELb1EbNS0_19identity_decomposerEEEEEvT0_T1_T2_T3_T4_SL_T5_.has_recursion, 0
	.set _ZN7rocprim17ROCPRIM_304000_NS6detail33device_block_merge_oddeven_kernelINS1_37wrapped_merge_sort_block_merge_configINS0_14default_configEbN2at4cuda3cub6detail10OpaqueTypeILi8EEEEEPbSC_PSA_SD_jNS1_19radix_merge_compareILb1ELb1EbNS0_19identity_decomposerEEEEEvT0_T1_T2_T3_T4_SL_T5_.has_indirect_call, 0
	.section	.AMDGPU.csdata,"",@progbits
; Kernel info:
; codeLenInByte = 816
; TotalNumSgprs: 28
; NumVgprs: 12
; NumAgprs: 0
; TotalNumVgprs: 12
; ScratchSize: 0
; MemoryBound: 0
; FloatMode: 240
; IeeeMode: 1
; LDSByteSize: 512 bytes/workgroup (compile time only)
; SGPRBlocks: 3
; VGPRBlocks: 1
; NumSGPRsForWavesPerEU: 28
; NumVGPRsForWavesPerEU: 12
; AccumOffset: 12
; Occupancy: 8
; WaveLimiterHint : 0
; COMPUTE_PGM_RSRC2:SCRATCH_EN: 0
; COMPUTE_PGM_RSRC2:USER_SGPR: 4
; COMPUTE_PGM_RSRC2:TRAP_HANDLER: 0
; COMPUTE_PGM_RSRC2:TGID_X_EN: 1
; COMPUTE_PGM_RSRC2:TGID_Y_EN: 0
; COMPUTE_PGM_RSRC2:TGID_Z_EN: 0
; COMPUTE_PGM_RSRC2:TIDIG_COMP_CNT: 2
; COMPUTE_PGM_RSRC3_GFX90A:ACCUM_OFFSET: 2
; COMPUTE_PGM_RSRC3_GFX90A:TG_SPLIT: 0
	.section	.text._ZN7rocprim17ROCPRIM_304000_NS6detail26onesweep_histograms_kernelINS1_34wrapped_radix_sort_onesweep_configINS0_14default_configEbN2at4cuda3cub6detail10OpaqueTypeILi8EEEEELb1EPKbmNS0_19identity_decomposerEEEvT1_PT2_SG_SG_T3_jj,"axG",@progbits,_ZN7rocprim17ROCPRIM_304000_NS6detail26onesweep_histograms_kernelINS1_34wrapped_radix_sort_onesweep_configINS0_14default_configEbN2at4cuda3cub6detail10OpaqueTypeILi8EEEEELb1EPKbmNS0_19identity_decomposerEEEvT1_PT2_SG_SG_T3_jj,comdat
	.protected	_ZN7rocprim17ROCPRIM_304000_NS6detail26onesweep_histograms_kernelINS1_34wrapped_radix_sort_onesweep_configINS0_14default_configEbN2at4cuda3cub6detail10OpaqueTypeILi8EEEEELb1EPKbmNS0_19identity_decomposerEEEvT1_PT2_SG_SG_T3_jj ; -- Begin function _ZN7rocprim17ROCPRIM_304000_NS6detail26onesweep_histograms_kernelINS1_34wrapped_radix_sort_onesweep_configINS0_14default_configEbN2at4cuda3cub6detail10OpaqueTypeILi8EEEEELb1EPKbmNS0_19identity_decomposerEEEvT1_PT2_SG_SG_T3_jj
	.globl	_ZN7rocprim17ROCPRIM_304000_NS6detail26onesweep_histograms_kernelINS1_34wrapped_radix_sort_onesweep_configINS0_14default_configEbN2at4cuda3cub6detail10OpaqueTypeILi8EEEEELb1EPKbmNS0_19identity_decomposerEEEvT1_PT2_SG_SG_T3_jj
	.p2align	8
	.type	_ZN7rocprim17ROCPRIM_304000_NS6detail26onesweep_histograms_kernelINS1_34wrapped_radix_sort_onesweep_configINS0_14default_configEbN2at4cuda3cub6detail10OpaqueTypeILi8EEEEELb1EPKbmNS0_19identity_decomposerEEEvT1_PT2_SG_SG_T3_jj,@function
_ZN7rocprim17ROCPRIM_304000_NS6detail26onesweep_histograms_kernelINS1_34wrapped_radix_sort_onesweep_configINS0_14default_configEbN2at4cuda3cub6detail10OpaqueTypeILi8EEEEELb1EPKbmNS0_19identity_decomposerEEEvT1_PT2_SG_SG_T3_jj: ; @_ZN7rocprim17ROCPRIM_304000_NS6detail26onesweep_histograms_kernelINS1_34wrapped_radix_sort_onesweep_configINS0_14default_configEbN2at4cuda3cub6detail10OpaqueTypeILi8EEEEELb1EPKbmNS0_19identity_decomposerEEEvT1_PT2_SG_SG_T3_jj
; %bb.0:
	s_load_dwordx8 s[20:27], s[0:1], 0x0
	s_load_dwordx2 s[28:29], s[0:1], 0x24
	v_mov_b32_e32 v1, 0
	v_mov_b32_e32 v2, s2
	;; [unrolled: 1-line block ×3, first 2 shown]
	s_mul_hi_u32 s0, s2, 0xc00
	s_mulk_i32 s2, 0xc00
	s_waitcnt lgkmcnt(0)
	v_cmp_le_u64_e32 vcc, s[26:27], v[2:3]
	s_add_u32 s30, s20, s2
	s_addc_u32 s31, s21, s0
	s_mov_b64 s[0:1], -1
	s_cbranch_vccz .LBB167_50
; %bb.1:
	s_mul_i32 s10, s26, 0xfffff400
	s_add_i32 s10, s10, s24
	v_lshl_add_u64 v[2:3], s[30:31], 0, v[0:1]
	v_cmp_gt_u32_e64 s[8:9], s10, v0
	v_mov_b32_e32 v4, 0
	v_mov_b32_e32 v7, 0
	;; [unrolled: 1-line block ×4, first 2 shown]
	s_and_saveexec_b64 s[0:1], s[8:9]
	s_cbranch_execz .LBB167_3
; %bb.2:
	global_load_ubyte v4, v[2:3], off
	v_mov_b32_e32 v7, 0
	v_mov_b32_e32 v5, 0
	;; [unrolled: 1-line block ×3, first 2 shown]
.LBB167_3:
	s_or_b64 exec, exec, s[0:1]
	v_or_b32_e32 v8, 0x200, v0
	v_cmp_gt_u32_e32 vcc, s10, v8
	v_mov_b32_e32 v8, v1
	s_and_saveexec_b64 s[0:1], vcc
	s_cbranch_execz .LBB167_5
; %bb.4:
	global_load_ubyte v8, v[2:3], off offset:512
.LBB167_5:
	s_or_b64 exec, exec, s[0:1]
	v_or_b32_e32 v9, 0x400, v0
	v_cmp_gt_u32_e64 s[0:1], s10, v9
	s_and_saveexec_b64 s[2:3], s[0:1]
	s_cbranch_execz .LBB167_7
; %bb.6:
	global_load_ubyte v1, v[2:3], off offset:1024
.LBB167_7:
	s_or_b64 exec, exec, s[2:3]
	v_or_b32_e32 v9, 0x600, v0
	v_cmp_gt_u32_e64 s[2:3], s10, v9
	s_and_saveexec_b64 s[4:5], s[2:3]
	;; [unrolled: 8-line block ×4, first 2 shown]
	s_cbranch_execz .LBB167_13
; %bb.12:
	global_load_ubyte v6, v[2:3], off offset:2560
.LBB167_13:
	s_or_b64 exec, exec, s[10:11]
	s_mov_b32 s10, 0
	s_mov_b32 s11, 1
	v_lshlrev_b32_e32 v2, 2, v0
	s_mov_b64 s[12:13], 0
	v_mov_b32_e32 v3, 0
	s_mov_b32 s14, s10
	s_branch .LBB167_15
.LBB167_14:                             ;   in Loop: Header=BB167_15 Depth=1
	s_or_b64 exec, exec, s[18:19]
	s_add_i32 s14, s14, 2
	v_cmp_eq_u32_e64 s[16:17], 2, s14
	s_or_b64 s[12:13], s[16:17], s[12:13]
	v_add_u32_e32 v2, 0x1000, v2
	s_andn2_b64 exec, exec, s[12:13]
	s_cbranch_execz .LBB167_19
.LBB167_15:                             ; =>This Inner Loop Header: Depth=1
	s_mov_b32 s15, s14
	s_or_b64 s[18:19], s[14:15], s[10:11]
	v_cmp_le_u32_e64 s[16:17], s19, 1
	v_cmp_le_u32_e64 s[20:21], s18, 1
	s_and_saveexec_b64 s[18:19], s[20:21]
; %bb.16:                               ;   in Loop: Header=BB167_15 Depth=1
	ds_write_b32 v2, v3
; %bb.17:                               ;   in Loop: Header=BB167_15 Depth=1
	s_or_b64 exec, exec, s[18:19]
	s_and_saveexec_b64 s[18:19], s[16:17]
	s_cbranch_execz .LBB167_14
; %bb.18:                               ;   in Loop: Header=BB167_15 Depth=1
	ds_write_b32 v2, v3 offset:2048
	s_branch .LBB167_14
.LBB167_19:
	s_or_b64 exec, exec, s[12:13]
	s_cmp_gt_u32 s29, s28
	s_cselect_b64 s[24:25], -1, 0
	s_cmp_le_u32 s29, s28
	s_waitcnt lgkmcnt(0)
	s_barrier
	s_cbranch_scc1 .LBB167_44
; %bb.20:
	s_waitcnt vmcnt(0)
	v_and_b32_e32 v1, 1, v1
	v_cmp_eq_u32_e64 s[16:17], 1, v1
	v_and_b32_e32 v1, 1, v7
	v_cmp_eq_u32_e64 s[14:15], 1, v1
	;; [unrolled: 2-line block ×5, first 2 shown]
	v_and_b32_e32 v1, 3, v0
	v_and_b32_e32 v2, 1, v8
	s_xor_b64 s[20:21], s[20:21], -1
	v_lshlrev_b32_e32 v1, 2, v1
	s_sub_i32 s26, s29, s28
	v_cmp_eq_u32_e64 s[18:19], 1, v2
	v_cndmask_b32_e64 v2, 0, 1, s[20:21]
	v_mov_b32_e32 v3, 1
	s_mov_b32 s27, s26
	v_mov_b32_e32 v4, v1
	s_mov_b32 s33, s28
	s_branch .LBB167_22
.LBB167_21:                             ;   in Loop: Header=BB167_22 Depth=1
	s_or_b64 exec, exec, s[20:21]
	s_add_i32 s33, s33, 8
	s_add_i32 s27, s27, -8
	s_cmp_ge_u32 s33, s29
	v_add_u32_e32 v4, 0x1000, v4
	s_cbranch_scc1 .LBB167_24
.LBB167_22:                             ; =>This Inner Loop Header: Depth=1
	s_and_saveexec_b64 s[20:21], s[8:9]
	s_cbranch_execz .LBB167_21
; %bb.23:                               ;   in Loop: Header=BB167_22 Depth=1
	s_min_u32 s34, s27, 8
	v_lshrrev_b32_e32 v5, s33, v2
	v_bfe_u32 v5, v5, 0, s34
	v_lshl_add_u32 v5, v5, 4, v4
	ds_add_u32 v5, v3
	s_branch .LBB167_21
.LBB167_24:
	s_xor_b64 s[8:9], s[18:19], -1
	v_cndmask_b32_e64 v2, 0, 1, s[8:9]
	v_mov_b32_e32 v3, 1
	s_mov_b32 s18, s26
	v_mov_b32_e32 v4, v1
	s_mov_b32 s19, s28
	s_branch .LBB167_26
.LBB167_25:                             ;   in Loop: Header=BB167_26 Depth=1
	s_or_b64 exec, exec, s[8:9]
	s_add_i32 s19, s19, 8
	s_add_i32 s18, s18, -8
	s_cmp_lt_u32 s19, s29
	v_add_u32_e32 v4, 0x1000, v4
	s_cbranch_scc0 .LBB167_28
.LBB167_26:                             ; =>This Inner Loop Header: Depth=1
	s_and_saveexec_b64 s[8:9], vcc
	s_cbranch_execz .LBB167_25
; %bb.27:                               ;   in Loop: Header=BB167_26 Depth=1
	s_min_u32 s20, s18, 8
	v_lshrrev_b32_e32 v5, s19, v2
	v_bfe_u32 v5, v5, 0, s20
	v_lshl_add_u32 v5, v5, 4, v4
	ds_add_u32 v5, v3
	s_branch .LBB167_25
.LBB167_28:
	s_xor_b64 s[8:9], s[16:17], -1
	v_cndmask_b32_e64 v2, 0, 1, s[8:9]
	v_mov_b32_e32 v3, 1
	s_mov_b32 s16, s26
	v_mov_b32_e32 v4, v1
	s_mov_b32 s17, s28
	s_branch .LBB167_30
.LBB167_29:                             ;   in Loop: Header=BB167_30 Depth=1
	s_or_b64 exec, exec, s[8:9]
	s_add_i32 s17, s17, 8
	s_add_i32 s16, s16, -8
	s_cmp_lt_u32 s17, s29
	v_add_u32_e32 v4, 0x1000, v4
	s_cbranch_scc0 .LBB167_32
.LBB167_30:                             ; =>This Inner Loop Header: Depth=1
	s_and_saveexec_b64 s[8:9], s[0:1]
	s_cbranch_execz .LBB167_29
; %bb.31:                               ;   in Loop: Header=BB167_30 Depth=1
	s_min_u32 s18, s16, 8
	v_lshrrev_b32_e32 v5, s17, v2
	v_bfe_u32 v5, v5, 0, s18
	v_lshl_add_u32 v5, v5, 4, v4
	ds_add_u32 v5, v3
	s_branch .LBB167_29
.LBB167_32:
	s_xor_b64 s[0:1], s[14:15], -1
	v_cndmask_b32_e64 v2, 0, 1, s[0:1]
	v_mov_b32_e32 v3, 1
	s_mov_b32 s8, s26
	v_mov_b32_e32 v4, v1
	s_mov_b32 s9, s28
	s_branch .LBB167_34
.LBB167_33:                             ;   in Loop: Header=BB167_34 Depth=1
	s_or_b64 exec, exec, s[0:1]
	s_add_i32 s9, s9, 8
	s_add_i32 s8, s8, -8
	s_cmp_lt_u32 s9, s29
	v_add_u32_e32 v4, 0x1000, v4
	s_cbranch_scc0 .LBB167_36
.LBB167_34:                             ; =>This Inner Loop Header: Depth=1
	s_and_saveexec_b64 s[0:1], s[2:3]
	s_cbranch_execz .LBB167_33
; %bb.35:                               ;   in Loop: Header=BB167_34 Depth=1
	s_min_u32 s14, s8, 8
	v_lshrrev_b32_e32 v5, s9, v2
	v_bfe_u32 v5, v5, 0, s14
	v_lshl_add_u32 v5, v5, 4, v4
	ds_add_u32 v5, v3
	s_branch .LBB167_33
.LBB167_36:
	;; [unrolled: 25-line block ×3, first 2 shown]
	s_xor_b64 s[0:1], s[10:11], -1
	v_cndmask_b32_e64 v2, 0, 1, s[0:1]
	v_mov_b32_e32 v3, 1
	s_mov_b32 s2, s28
	s_branch .LBB167_42
.LBB167_41:                             ;   in Loop: Header=BB167_42 Depth=1
	s_or_b64 exec, exec, s[0:1]
	s_add_i32 s2, s2, 8
	s_add_i32 s26, s26, -8
	s_cmp_lt_u32 s2, s29
	v_add_u32_e32 v1, 0x1000, v1
	s_cbranch_scc0 .LBB167_44
.LBB167_42:                             ; =>This Inner Loop Header: Depth=1
	s_and_saveexec_b64 s[0:1], s[6:7]
	s_cbranch_execz .LBB167_41
; %bb.43:                               ;   in Loop: Header=BB167_42 Depth=1
	s_min_u32 s3, s26, 8
	v_lshrrev_b32_e32 v4, s2, v2
	v_bfe_u32 v4, v4, 0, s3
	v_lshl_add_u32 v4, v4, 4, v1
	ds_add_u32 v4, v3
	s_branch .LBB167_41
.LBB167_44:
	s_and_b64 vcc, exec, s[24:25]
	s_waitcnt lgkmcnt(0)
	s_barrier
	s_cbranch_vccz .LBB167_49
; %bb.45:
	s_movk_i32 s0, 0x100
	v_cmp_gt_u32_e32 vcc, s0, v0
	s_waitcnt vmcnt(0)
	v_lshlrev_b32_e32 v1, 4, v0
	v_mov_b32_e32 v3, 0
	v_mov_b32_e32 v2, v0
	s_mov_b32 s2, s28
	s_branch .LBB167_47
.LBB167_46:                             ;   in Loop: Header=BB167_47 Depth=1
	s_or_b64 exec, exec, s[0:1]
	s_add_i32 s2, s2, 8
	v_add_u32_e32 v2, 0x100, v2
	s_cmp_lt_u32 s2, s29
	v_add_u32_e32 v1, 0x1000, v1
	s_cbranch_scc0 .LBB167_49
.LBB167_47:                             ; =>This Inner Loop Header: Depth=1
	s_and_saveexec_b64 s[0:1], vcc
	s_cbranch_execz .LBB167_46
; %bb.48:                               ;   in Loop: Header=BB167_47 Depth=1
	ds_read2_b32 v[4:5], v1 offset1:1
	ds_read2_b32 v[6:7], v1 offset0:2 offset1:3
	v_lshl_add_u64 v[8:9], v[2:3], 3, s[22:23]
	s_waitcnt lgkmcnt(1)
	v_add_u32_e32 v4, v5, v4
	s_waitcnt lgkmcnt(0)
	v_add3_u32 v4, v4, v6, v7
	v_mov_b32_e32 v5, v3
	global_atomic_add_x2 v[8:9], v[4:5], off
	s_branch .LBB167_46
.LBB167_49:
	s_mov_b64 s[0:1], 0
.LBB167_50:
	s_and_b64 vcc, exec, s[0:1]
	s_cbranch_vccz .LBB167_86
; %bb.51:
	global_load_ubyte v8, v0, s[30:31]
	global_load_ubyte v7, v0, s[30:31] offset:512
	global_load_ubyte v6, v0, s[30:31] offset:1024
	;; [unrolled: 1-line block ×5, first 2 shown]
	s_cmp_eq_u32 s28, 0
	s_cselect_b64 s[2:3], -1, 0
	s_cmp_eq_u32 s29, 8
	s_cselect_b64 s[4:5], -1, 0
	s_mov_b32 s0, 0
	s_and_b64 s[4:5], s[2:3], s[4:5]
	s_mov_b32 s1, 1
	v_mov_b32_e32 v2, 0
	s_mov_b64 s[2:3], -1
	s_and_b64 vcc, exec, s[4:5]
	v_lshlrev_b32_e32 v9, 2, v0
	s_cbranch_vccnz .LBB167_77
; %bb.52:
	v_lshlrev_b32_e32 v3, 2, v0
	s_mov_b64 s[2:3], 0
	s_mov_b32 s4, s0
	s_branch .LBB167_54
.LBB167_53:                             ;   in Loop: Header=BB167_54 Depth=1
	s_or_b64 exec, exec, s[8:9]
	s_add_i32 s4, s4, 2
	v_cmp_eq_u32_e64 s[6:7], 2, s4
	s_or_b64 s[2:3], s[6:7], s[2:3]
	v_add_u32_e32 v3, 0x1000, v3
	s_andn2_b64 exec, exec, s[2:3]
	s_cbranch_execz .LBB167_58
.LBB167_54:                             ; =>This Inner Loop Header: Depth=1
	s_mov_b32 s5, s4
	s_or_b64 s[8:9], s[4:5], s[0:1]
	v_cmp_le_u32_e64 s[6:7], s9, 1
	v_cmp_le_u32_e64 s[10:11], s8, 1
	s_and_saveexec_b64 s[8:9], s[10:11]
; %bb.55:                               ;   in Loop: Header=BB167_54 Depth=1
	ds_write_b32 v3, v2
; %bb.56:                               ;   in Loop: Header=BB167_54 Depth=1
	s_or_b64 exec, exec, s[8:9]
	s_and_saveexec_b64 s[8:9], s[6:7]
	s_cbranch_execz .LBB167_53
; %bb.57:                               ;   in Loop: Header=BB167_54 Depth=1
	ds_write_b32 v3, v2 offset:2048
	s_branch .LBB167_53
.LBB167_58:
	s_or_b64 exec, exec, s[2:3]
	s_cmp_gt_u32 s29, s28
	s_cselect_b64 s[0:1], -1, 0
	s_cmp_le_u32 s29, s28
	s_waitcnt lgkmcnt(0)
	s_barrier
	s_cbranch_scc1 .LBB167_71
; %bb.59:
	v_and_b32_e32 v2, 3, v0
	v_lshlrev_b32_e32 v2, 2, v2
	s_sub_i32 s2, s29, s28
	s_waitcnt vmcnt(5)
	v_xor_b32_e32 v3, 1, v8
	v_mov_b32_e32 v10, 1
	s_mov_b32 s3, s2
	v_mov_b32_e32 v11, v2
	s_mov_b32 s4, s28
.LBB167_60:                             ; =>This Inner Loop Header: Depth=1
	s_min_u32 s5, s3, 8
	v_lshrrev_b32_sdwa v12, s4, v3 dst_sel:DWORD dst_unused:UNUSED_PAD src0_sel:DWORD src1_sel:BYTE_0
	v_bfe_u32 v12, v12, 0, s5
	v_lshl_add_u32 v12, v12, 4, v11
	ds_add_u32 v12, v10
	s_add_i32 s4, s4, 8
	s_add_i32 s3, s3, -8
	s_cmp_lt_u32 s4, s29
	v_add_u32_e32 v11, 0x1000, v11
	s_cbranch_scc1 .LBB167_60
; %bb.61:
	s_waitcnt vmcnt(4)
	v_xor_b32_e32 v3, 1, v7
	v_mov_b32_e32 v10, 1
	s_mov_b32 s3, s2
	v_mov_b32_e32 v11, v2
	s_mov_b32 s4, s28
.LBB167_62:                             ; =>This Inner Loop Header: Depth=1
	s_min_u32 s5, s3, 8
	v_lshrrev_b32_sdwa v12, s4, v3 dst_sel:DWORD dst_unused:UNUSED_PAD src0_sel:DWORD src1_sel:BYTE_0
	v_bfe_u32 v12, v12, 0, s5
	v_lshl_add_u32 v12, v12, 4, v11
	ds_add_u32 v12, v10
	s_add_i32 s4, s4, 8
	s_add_i32 s3, s3, -8
	s_cmp_lt_u32 s4, s29
	v_add_u32_e32 v11, 0x1000, v11
	s_cbranch_scc1 .LBB167_62
; %bb.63:
	;; [unrolled: 18-line block ×5, first 2 shown]
	s_waitcnt vmcnt(0)
	v_xor_b32_e32 v3, 1, v1
	v_mov_b32_e32 v10, 1
	s_mov_b32 s3, s28
.LBB167_70:                             ; =>This Inner Loop Header: Depth=1
	s_min_u32 s4, s2, 8
	v_lshrrev_b32_sdwa v11, s3, v3 dst_sel:DWORD dst_unused:UNUSED_PAD src0_sel:DWORD src1_sel:BYTE_0
	v_bfe_u32 v11, v11, 0, s4
	v_lshl_add_u32 v11, v11, 4, v2
	ds_add_u32 v11, v10
	s_add_i32 s3, s3, 8
	s_add_i32 s2, s2, -8
	s_cmp_lt_u32 s3, s29
	v_add_u32_e32 v2, 0x1000, v2
	s_cbranch_scc1 .LBB167_70
.LBB167_71:
	s_and_b64 vcc, exec, s[0:1]
	s_waitcnt lgkmcnt(0)
	s_barrier
	s_cbranch_vccz .LBB167_76
; %bb.72:
	s_movk_i32 s0, 0x100
	v_cmp_gt_u32_e32 vcc, s0, v0
	v_lshlrev_b32_e32 v10, 4, v0
	v_mov_b32_e32 v3, 0
	v_mov_b32_e32 v2, v0
	s_branch .LBB167_74
.LBB167_73:                             ;   in Loop: Header=BB167_74 Depth=1
	s_or_b64 exec, exec, s[0:1]
	s_add_i32 s28, s28, 8
	v_add_u32_e32 v2, 0x100, v2
	s_cmp_ge_u32 s28, s29
	v_add_u32_e32 v10, 0x1000, v10
	s_cbranch_scc1 .LBB167_76
.LBB167_74:                             ; =>This Inner Loop Header: Depth=1
	s_and_saveexec_b64 s[0:1], vcc
	s_cbranch_execz .LBB167_73
; %bb.75:                               ;   in Loop: Header=BB167_74 Depth=1
	ds_read2_b32 v[12:13], v10 offset1:1
	ds_read2_b32 v[14:15], v10 offset0:2 offset1:3
	v_lshl_add_u64 v[16:17], v[2:3], 3, s[22:23]
	s_waitcnt lgkmcnt(1)
	v_add_u32_e32 v11, v13, v12
	s_waitcnt lgkmcnt(0)
	v_add3_u32 v12, v11, v14, v15
	v_mov_b32_e32 v13, v3
	global_atomic_add_x2 v[16:17], v[12:13], off
	s_branch .LBB167_73
.LBB167_76:
	s_mov_b64 s[2:3], 0
.LBB167_77:
	s_and_b64 vcc, exec, s[2:3]
	s_cbranch_vccz .LBB167_86
; %bb.78:
	s_mov_b32 s0, 0
	s_mov_b32 s1, 1
	s_mov_b64 s[2:3], 0
	v_mov_b32_e32 v2, 0
	s_mov_b32 s4, s0
	s_branch .LBB167_80
.LBB167_79:                             ;   in Loop: Header=BB167_80 Depth=1
	s_or_b64 exec, exec, s[8:9]
	s_add_i32 s4, s4, 2
	v_cmp_eq_u32_e64 s[6:7], 2, s4
	s_or_b64 s[2:3], s[6:7], s[2:3]
	v_add_u32_e32 v9, 0x1000, v9
	s_andn2_b64 exec, exec, s[2:3]
	s_cbranch_execz .LBB167_84
.LBB167_80:                             ; =>This Inner Loop Header: Depth=1
	s_mov_b32 s5, s4
	s_or_b64 s[8:9], s[4:5], s[0:1]
	v_cmp_le_u32_e64 s[6:7], s9, 1
	v_cmp_le_u32_e64 s[10:11], s8, 1
	s_and_saveexec_b64 s[8:9], s[10:11]
; %bb.81:                               ;   in Loop: Header=BB167_80 Depth=1
	ds_write_b32 v9, v2
; %bb.82:                               ;   in Loop: Header=BB167_80 Depth=1
	s_or_b64 exec, exec, s[8:9]
	s_and_saveexec_b64 s[8:9], s[6:7]
	s_cbranch_execz .LBB167_79
; %bb.83:                               ;   in Loop: Header=BB167_80 Depth=1
	ds_write_b32 v9, v2 offset:2048
	s_branch .LBB167_79
.LBB167_84:
	s_or_b64 exec, exec, s[2:3]
	v_and_b32_e32 v2, 3, v0
	s_waitcnt vmcnt(5)
	v_lshlrev_b16_e32 v3, 4, v8
	v_and_b32_e32 v3, 0xf0, v3
	v_lshlrev_b32_e32 v2, 2, v2
	v_bitop3_b32 v3, v3, v2, 16 bitop3:0xde
	v_mov_b32_e32 v8, 1
	s_waitcnt lgkmcnt(0)
	s_barrier
	ds_add_u32 v3, v8
	s_waitcnt vmcnt(4)
	v_lshlrev_b16_e32 v3, 4, v7
	v_and_b32_e32 v3, 0xf0, v3
	v_bitop3_b32 v3, v3, v2, 16 bitop3:0xde
	ds_add_u32 v3, v8
	s_waitcnt vmcnt(3)
	v_lshlrev_b16_e32 v3, 4, v6
	v_and_b32_e32 v3, 0xf0, v3
	v_bitop3_b32 v3, v3, v2, 16 bitop3:0xde
	ds_add_u32 v3, v8
	s_waitcnt vmcnt(2)
	v_lshlrev_b16_e32 v3, 4, v5
	v_and_b32_e32 v3, 0xf0, v3
	v_bitop3_b32 v3, v3, v2, 16 bitop3:0xde
	ds_add_u32 v3, v8
	s_waitcnt vmcnt(1)
	v_lshlrev_b16_e32 v3, 4, v4
	v_and_b32_e32 v3, 0xf0, v3
	s_waitcnt vmcnt(0)
	v_lshlrev_b16_e32 v1, 4, v1
	v_bitop3_b32 v3, v3, v2, 16 bitop3:0xde
	v_and_b32_e32 v1, 0xf0, v1
	ds_add_u32 v3, v8
	v_bitop3_b32 v1, v1, v2, 16 bitop3:0xde
	ds_add_u32 v1, v8
	s_movk_i32 s0, 0x100
	v_cmp_gt_u32_e32 vcc, s0, v0
	s_waitcnt lgkmcnt(0)
	s_barrier
	s_and_saveexec_b64 s[0:1], vcc
	s_cbranch_execz .LBB167_86
; %bb.85:
	v_lshlrev_b32_e32 v1, 4, v0
	ds_read2_b32 v[2:3], v1 offset1:1
	ds_read2_b32 v[4:5], v1 offset0:2 offset1:3
	v_lshlrev_b32_e32 v6, 3, v0
	v_mov_b32_e32 v1, 0
	s_waitcnt lgkmcnt(1)
	v_add_u32_e32 v0, v3, v2
	s_waitcnt lgkmcnt(0)
	v_add3_u32 v0, v0, v4, v5
	global_atomic_add_x2 v6, v[0:1], s[22:23]
.LBB167_86:
	s_endpgm
	.section	.rodata,"a",@progbits
	.p2align	6, 0x0
	.amdhsa_kernel _ZN7rocprim17ROCPRIM_304000_NS6detail26onesweep_histograms_kernelINS1_34wrapped_radix_sort_onesweep_configINS0_14default_configEbN2at4cuda3cub6detail10OpaqueTypeILi8EEEEELb1EPKbmNS0_19identity_decomposerEEEvT1_PT2_SG_SG_T3_jj
		.amdhsa_group_segment_fixed_size 4096
		.amdhsa_private_segment_fixed_size 0
		.amdhsa_kernarg_size 44
		.amdhsa_user_sgpr_count 2
		.amdhsa_user_sgpr_dispatch_ptr 0
		.amdhsa_user_sgpr_queue_ptr 0
		.amdhsa_user_sgpr_kernarg_segment_ptr 1
		.amdhsa_user_sgpr_dispatch_id 0
		.amdhsa_user_sgpr_kernarg_preload_length 0
		.amdhsa_user_sgpr_kernarg_preload_offset 0
		.amdhsa_user_sgpr_private_segment_size 0
		.amdhsa_uses_dynamic_stack 0
		.amdhsa_enable_private_segment 0
		.amdhsa_system_sgpr_workgroup_id_x 1
		.amdhsa_system_sgpr_workgroup_id_y 0
		.amdhsa_system_sgpr_workgroup_id_z 0
		.amdhsa_system_sgpr_workgroup_info 0
		.amdhsa_system_vgpr_workitem_id 0
		.amdhsa_next_free_vgpr 18
		.amdhsa_next_free_sgpr 35
		.amdhsa_accum_offset 20
		.amdhsa_reserve_vcc 1
		.amdhsa_float_round_mode_32 0
		.amdhsa_float_round_mode_16_64 0
		.amdhsa_float_denorm_mode_32 3
		.amdhsa_float_denorm_mode_16_64 3
		.amdhsa_dx10_clamp 1
		.amdhsa_ieee_mode 1
		.amdhsa_fp16_overflow 0
		.amdhsa_tg_split 0
		.amdhsa_exception_fp_ieee_invalid_op 0
		.amdhsa_exception_fp_denorm_src 0
		.amdhsa_exception_fp_ieee_div_zero 0
		.amdhsa_exception_fp_ieee_overflow 0
		.amdhsa_exception_fp_ieee_underflow 0
		.amdhsa_exception_fp_ieee_inexact 0
		.amdhsa_exception_int_div_zero 0
	.end_amdhsa_kernel
	.section	.text._ZN7rocprim17ROCPRIM_304000_NS6detail26onesweep_histograms_kernelINS1_34wrapped_radix_sort_onesweep_configINS0_14default_configEbN2at4cuda3cub6detail10OpaqueTypeILi8EEEEELb1EPKbmNS0_19identity_decomposerEEEvT1_PT2_SG_SG_T3_jj,"axG",@progbits,_ZN7rocprim17ROCPRIM_304000_NS6detail26onesweep_histograms_kernelINS1_34wrapped_radix_sort_onesweep_configINS0_14default_configEbN2at4cuda3cub6detail10OpaqueTypeILi8EEEEELb1EPKbmNS0_19identity_decomposerEEEvT1_PT2_SG_SG_T3_jj,comdat
.Lfunc_end167:
	.size	_ZN7rocprim17ROCPRIM_304000_NS6detail26onesweep_histograms_kernelINS1_34wrapped_radix_sort_onesweep_configINS0_14default_configEbN2at4cuda3cub6detail10OpaqueTypeILi8EEEEELb1EPKbmNS0_19identity_decomposerEEEvT1_PT2_SG_SG_T3_jj, .Lfunc_end167-_ZN7rocprim17ROCPRIM_304000_NS6detail26onesweep_histograms_kernelINS1_34wrapped_radix_sort_onesweep_configINS0_14default_configEbN2at4cuda3cub6detail10OpaqueTypeILi8EEEEELb1EPKbmNS0_19identity_decomposerEEEvT1_PT2_SG_SG_T3_jj
                                        ; -- End function
	.set _ZN7rocprim17ROCPRIM_304000_NS6detail26onesweep_histograms_kernelINS1_34wrapped_radix_sort_onesweep_configINS0_14default_configEbN2at4cuda3cub6detail10OpaqueTypeILi8EEEEELb1EPKbmNS0_19identity_decomposerEEEvT1_PT2_SG_SG_T3_jj.num_vgpr, 18
	.set _ZN7rocprim17ROCPRIM_304000_NS6detail26onesweep_histograms_kernelINS1_34wrapped_radix_sort_onesweep_configINS0_14default_configEbN2at4cuda3cub6detail10OpaqueTypeILi8EEEEELb1EPKbmNS0_19identity_decomposerEEEvT1_PT2_SG_SG_T3_jj.num_agpr, 0
	.set _ZN7rocprim17ROCPRIM_304000_NS6detail26onesweep_histograms_kernelINS1_34wrapped_radix_sort_onesweep_configINS0_14default_configEbN2at4cuda3cub6detail10OpaqueTypeILi8EEEEELb1EPKbmNS0_19identity_decomposerEEEvT1_PT2_SG_SG_T3_jj.numbered_sgpr, 35
	.set _ZN7rocprim17ROCPRIM_304000_NS6detail26onesweep_histograms_kernelINS1_34wrapped_radix_sort_onesweep_configINS0_14default_configEbN2at4cuda3cub6detail10OpaqueTypeILi8EEEEELb1EPKbmNS0_19identity_decomposerEEEvT1_PT2_SG_SG_T3_jj.num_named_barrier, 0
	.set _ZN7rocprim17ROCPRIM_304000_NS6detail26onesweep_histograms_kernelINS1_34wrapped_radix_sort_onesweep_configINS0_14default_configEbN2at4cuda3cub6detail10OpaqueTypeILi8EEEEELb1EPKbmNS0_19identity_decomposerEEEvT1_PT2_SG_SG_T3_jj.private_seg_size, 0
	.set _ZN7rocprim17ROCPRIM_304000_NS6detail26onesweep_histograms_kernelINS1_34wrapped_radix_sort_onesweep_configINS0_14default_configEbN2at4cuda3cub6detail10OpaqueTypeILi8EEEEELb1EPKbmNS0_19identity_decomposerEEEvT1_PT2_SG_SG_T3_jj.uses_vcc, 1
	.set _ZN7rocprim17ROCPRIM_304000_NS6detail26onesweep_histograms_kernelINS1_34wrapped_radix_sort_onesweep_configINS0_14default_configEbN2at4cuda3cub6detail10OpaqueTypeILi8EEEEELb1EPKbmNS0_19identity_decomposerEEEvT1_PT2_SG_SG_T3_jj.uses_flat_scratch, 0
	.set _ZN7rocprim17ROCPRIM_304000_NS6detail26onesweep_histograms_kernelINS1_34wrapped_radix_sort_onesweep_configINS0_14default_configEbN2at4cuda3cub6detail10OpaqueTypeILi8EEEEELb1EPKbmNS0_19identity_decomposerEEEvT1_PT2_SG_SG_T3_jj.has_dyn_sized_stack, 0
	.set _ZN7rocprim17ROCPRIM_304000_NS6detail26onesweep_histograms_kernelINS1_34wrapped_radix_sort_onesweep_configINS0_14default_configEbN2at4cuda3cub6detail10OpaqueTypeILi8EEEEELb1EPKbmNS0_19identity_decomposerEEEvT1_PT2_SG_SG_T3_jj.has_recursion, 0
	.set _ZN7rocprim17ROCPRIM_304000_NS6detail26onesweep_histograms_kernelINS1_34wrapped_radix_sort_onesweep_configINS0_14default_configEbN2at4cuda3cub6detail10OpaqueTypeILi8EEEEELb1EPKbmNS0_19identity_decomposerEEEvT1_PT2_SG_SG_T3_jj.has_indirect_call, 0
	.section	.AMDGPU.csdata,"",@progbits
; Kernel info:
; codeLenInByte = 2652
; TotalNumSgprs: 41
; NumVgprs: 18
; NumAgprs: 0
; TotalNumVgprs: 18
; ScratchSize: 0
; MemoryBound: 0
; FloatMode: 240
; IeeeMode: 1
; LDSByteSize: 4096 bytes/workgroup (compile time only)
; SGPRBlocks: 5
; VGPRBlocks: 2
; NumSGPRsForWavesPerEU: 41
; NumVGPRsForWavesPerEU: 18
; AccumOffset: 20
; Occupancy: 8
; WaveLimiterHint : 1
; COMPUTE_PGM_RSRC2:SCRATCH_EN: 0
; COMPUTE_PGM_RSRC2:USER_SGPR: 2
; COMPUTE_PGM_RSRC2:TRAP_HANDLER: 0
; COMPUTE_PGM_RSRC2:TGID_X_EN: 1
; COMPUTE_PGM_RSRC2:TGID_Y_EN: 0
; COMPUTE_PGM_RSRC2:TGID_Z_EN: 0
; COMPUTE_PGM_RSRC2:TIDIG_COMP_CNT: 0
; COMPUTE_PGM_RSRC3_GFX90A:ACCUM_OFFSET: 4
; COMPUTE_PGM_RSRC3_GFX90A:TG_SPLIT: 0
	.section	.text._ZN7rocprim17ROCPRIM_304000_NS6detail31onesweep_scan_histograms_kernelINS1_34wrapped_radix_sort_onesweep_configINS0_14default_configEbN2at4cuda3cub6detail10OpaqueTypeILi8EEEEEmEEvPT0_,"axG",@progbits,_ZN7rocprim17ROCPRIM_304000_NS6detail31onesweep_scan_histograms_kernelINS1_34wrapped_radix_sort_onesweep_configINS0_14default_configEbN2at4cuda3cub6detail10OpaqueTypeILi8EEEEEmEEvPT0_,comdat
	.protected	_ZN7rocprim17ROCPRIM_304000_NS6detail31onesweep_scan_histograms_kernelINS1_34wrapped_radix_sort_onesweep_configINS0_14default_configEbN2at4cuda3cub6detail10OpaqueTypeILi8EEEEEmEEvPT0_ ; -- Begin function _ZN7rocprim17ROCPRIM_304000_NS6detail31onesweep_scan_histograms_kernelINS1_34wrapped_radix_sort_onesweep_configINS0_14default_configEbN2at4cuda3cub6detail10OpaqueTypeILi8EEEEEmEEvPT0_
	.globl	_ZN7rocprim17ROCPRIM_304000_NS6detail31onesweep_scan_histograms_kernelINS1_34wrapped_radix_sort_onesweep_configINS0_14default_configEbN2at4cuda3cub6detail10OpaqueTypeILi8EEEEEmEEvPT0_
	.p2align	8
	.type	_ZN7rocprim17ROCPRIM_304000_NS6detail31onesweep_scan_histograms_kernelINS1_34wrapped_radix_sort_onesweep_configINS0_14default_configEbN2at4cuda3cub6detail10OpaqueTypeILi8EEEEEmEEvPT0_,@function
_ZN7rocprim17ROCPRIM_304000_NS6detail31onesweep_scan_histograms_kernelINS1_34wrapped_radix_sort_onesweep_configINS0_14default_configEbN2at4cuda3cub6detail10OpaqueTypeILi8EEEEEmEEvPT0_: ; @_ZN7rocprim17ROCPRIM_304000_NS6detail31onesweep_scan_histograms_kernelINS1_34wrapped_radix_sort_onesweep_configINS0_14default_configEbN2at4cuda3cub6detail10OpaqueTypeILi8EEEEEmEEvPT0_
; %bb.0:
	s_load_dwordx2 s[0:1], s[0:1], 0x0
	s_lshl_b32 s2, s2, 8
	s_mov_b32 s3, 0
	s_lshl_b64 s[2:3], s[2:3], 3
	v_lshlrev_b32_e32 v8, 3, v0
	s_waitcnt lgkmcnt(0)
	s_add_u32 s6, s0, s2
	s_movk_i32 s0, 0x100
	s_addc_u32 s7, s1, s3
	v_cmp_gt_u32_e32 vcc, s0, v0
                                        ; implicit-def: $vgpr2_vgpr3
	s_and_saveexec_b64 s[0:1], vcc
	s_cbranch_execz .LBB168_2
; %bb.1:
	global_load_dwordx2 v[2:3], v8, s[6:7]
.LBB168_2:
	s_or_b64 exec, exec, s[0:1]
	v_mbcnt_lo_u32_b32 v1, -1, 0
	v_mov_b32_e32 v6, 0
	v_mbcnt_hi_u32_b32 v9, -1, v1
	s_waitcnt vmcnt(0)
	v_mov_b32_dpp v4, v2 row_shr:1 row_mask:0xf bank_mask:0xf
	v_mov_b32_e32 v5, v6
	v_and_b32_e32 v1, 15, v9
	v_mov_b32_dpp v7, v3 row_shr:1 row_mask:0xf bank_mask:0xf
	v_lshl_add_u64 v[4:5], v[2:3], 0, v[4:5]
	v_lshl_add_u64 v[6:7], v[6:7], 0, v[4:5]
	v_cmp_eq_u32_e64 s[0:1], 0, v1
	v_cmp_ne_u32_e64 s[4:5], 0, v9
	s_nop 0
	v_cndmask_b32_e64 v10, v4, v2, s[0:1]
	v_cndmask_b32_e64 v5, v7, v3, s[0:1]
	v_cndmask_b32_e64 v4, v6, v2, s[0:1]
	v_mov_b32_dpp v6, v10 row_shr:2 row_mask:0xf bank_mask:0xf
	v_mov_b32_dpp v7, v5 row_shr:2 row_mask:0xf bank_mask:0xf
	v_lshl_add_u64 v[6:7], v[6:7], 0, v[4:5]
	v_cmp_lt_u32_e64 s[0:1], 1, v1
	s_nop 1
	v_cndmask_b32_e64 v10, v10, v6, s[0:1]
	v_cndmask_b32_e64 v5, v5, v7, s[0:1]
	v_cndmask_b32_e64 v4, v4, v6, s[0:1]
	v_mov_b32_dpp v6, v10 row_shr:4 row_mask:0xf bank_mask:0xf
	v_mov_b32_dpp v7, v5 row_shr:4 row_mask:0xf bank_mask:0xf
	v_lshl_add_u64 v[6:7], v[6:7], 0, v[4:5]
	v_cmp_lt_u32_e64 s[0:1], 3, v1
	;; [unrolled: 8-line block ×3, first 2 shown]
	s_nop 1
	v_cndmask_b32_e64 v1, v10, v6, s[0:1]
	v_cndmask_b32_e64 v5, v5, v7, s[0:1]
	;; [unrolled: 1-line block ×3, first 2 shown]
	v_mov_b32_dpp v6, v1 row_bcast:15 row_mask:0xf bank_mask:0xf
	v_mov_b32_dpp v7, v5 row_bcast:15 row_mask:0xf bank_mask:0xf
	v_and_b32_e32 v10, 16, v9
	v_lshl_add_u64 v[6:7], v[6:7], 0, v[4:5]
	v_cmp_eq_u32_e64 s[2:3], 0, v10
	v_cmp_eq_u32_e64 s[0:1], 0, v9
	s_nop 0
	v_cndmask_b32_e64 v10, v7, v5, s[2:3]
	v_cndmask_b32_e64 v1, v6, v1, s[2:3]
	s_nop 0
	v_mov_b32_dpp v10, v10 row_bcast:31 row_mask:0xf bank_mask:0xf
	v_mov_b32_dpp v1, v1 row_bcast:31 row_mask:0xf bank_mask:0xf
	s_and_saveexec_b64 s[8:9], s[4:5]
; %bb.3:
	v_cndmask_b32_e64 v3, v7, v5, s[2:3]
	v_cndmask_b32_e64 v2, v6, v4, s[2:3]
	v_cmp_lt_u32_e64 s[2:3], 31, v9
	s_nop 1
	v_cndmask_b32_e64 v5, 0, v10, s[2:3]
	v_cndmask_b32_e64 v4, 0, v1, s[2:3]
	v_lshl_add_u64 v[2:3], v[4:5], 0, v[2:3]
; %bb.4:
	s_or_b64 exec, exec, s[8:9]
	v_or_b32_e32 v1, 63, v0
	v_lshrrev_b32_e32 v4, 6, v0
	v_cmp_eq_u32_e64 s[2:3], v0, v1
	s_and_saveexec_b64 s[4:5], s[2:3]
; %bb.5:
	v_lshlrev_b32_e32 v1, 3, v4
	ds_write_b64 v1, v[2:3]
; %bb.6:
	s_or_b64 exec, exec, s[4:5]
	v_cmp_gt_u32_e64 s[2:3], 8, v0
	s_waitcnt lgkmcnt(0)
	s_barrier
	s_and_saveexec_b64 s[4:5], s[2:3]
	s_cbranch_execz .LBB168_8
; %bb.7:
	ds_read_b64 v[6:7], v8
	v_mov_b32_e32 v10, 0
	v_and_b32_e32 v1, 7, v9
	v_mov_b32_e32 v13, v10
	v_cmp_eq_u32_e64 s[2:3], 0, v1
	s_waitcnt lgkmcnt(0)
	v_mov_b32_dpp v12, v6 row_shr:1 row_mask:0xf bank_mask:0xf
	v_mov_b32_dpp v11, v7 row_shr:1 row_mask:0xf bank_mask:0xf
	v_lshl_add_u64 v[12:13], v[6:7], 0, v[12:13]
	v_lshl_add_u64 v[14:15], v[10:11], 0, v[12:13]
	v_cndmask_b32_e64 v5, v12, v6, s[2:3]
	v_cndmask_b32_e64 v15, v15, v7, s[2:3]
	v_cndmask_b32_e64 v14, v14, v6, s[2:3]
	v_mov_b32_dpp v6, v5 row_shr:2 row_mask:0xf bank_mask:0xf
	v_mov_b32_e32 v7, v10
	v_mov_b32_dpp v11, v15 row_shr:2 row_mask:0xf bank_mask:0xf
	v_lshl_add_u64 v[6:7], v[14:15], 0, v[6:7]
	v_lshl_add_u64 v[10:11], v[6:7], 0, v[10:11]
	v_cmp_lt_u32_e64 s[2:3], 1, v1
	s_nop 1
	v_cndmask_b32_e64 v11, v15, v11, s[2:3]
	v_cndmask_b32_e64 v5, v5, v6, s[2:3]
	;; [unrolled: 1-line block ×3, first 2 shown]
	v_mov_b32_dpp v7, v11 row_shr:4 row_mask:0xf bank_mask:0xf
	v_mov_b32_dpp v5, v5 row_shr:4 row_mask:0xf bank_mask:0xf
	v_cmp_lt_u32_e64 s[2:3], 3, v1
	s_nop 1
	v_cndmask_b32_e64 v6, 0, v5, s[2:3]
	v_cndmask_b32_e64 v7, 0, v7, s[2:3]
	v_lshl_add_u64 v[6:7], v[6:7], 0, v[10:11]
	ds_write_b64 v8, v[6:7]
.LBB168_8:
	s_or_b64 exec, exec, s[4:5]
	v_cmp_lt_u32_e64 s[2:3], 63, v0
	v_mov_b64_e32 v[0:1], 0
	s_waitcnt lgkmcnt(0)
	s_barrier
	s_and_saveexec_b64 s[4:5], s[2:3]
; %bb.9:
	v_lshl_add_u32 v0, v4, 3, -8
	ds_read_b64 v[0:1], v0
; %bb.10:
	s_or_b64 exec, exec, s[4:5]
	v_add_u32_e32 v4, -1, v9
	v_and_b32_e32 v5, 64, v9
	v_cmp_lt_i32_e64 s[2:3], v4, v5
	s_waitcnt lgkmcnt(0)
	v_lshl_add_u64 v[2:3], v[0:1], 0, v[2:3]
	v_cndmask_b32_e64 v4, v4, v9, s[2:3]
	v_lshlrev_b32_e32 v4, 2, v4
	ds_bpermute_b32 v2, v4, v2
	ds_bpermute_b32 v3, v4, v3
	s_and_saveexec_b64 s[2:3], vcc
	s_cbranch_execz .LBB168_12
; %bb.11:
	s_waitcnt lgkmcnt(0)
	v_cndmask_b32_e64 v1, v3, v1, s[0:1]
	v_cndmask_b32_e64 v0, v2, v0, s[0:1]
	global_store_dwordx2 v8, v[0:1], s[6:7]
.LBB168_12:
	s_endpgm
	.section	.rodata,"a",@progbits
	.p2align	6, 0x0
	.amdhsa_kernel _ZN7rocprim17ROCPRIM_304000_NS6detail31onesweep_scan_histograms_kernelINS1_34wrapped_radix_sort_onesweep_configINS0_14default_configEbN2at4cuda3cub6detail10OpaqueTypeILi8EEEEEmEEvPT0_
		.amdhsa_group_segment_fixed_size 64
		.amdhsa_private_segment_fixed_size 0
		.amdhsa_kernarg_size 8
		.amdhsa_user_sgpr_count 2
		.amdhsa_user_sgpr_dispatch_ptr 0
		.amdhsa_user_sgpr_queue_ptr 0
		.amdhsa_user_sgpr_kernarg_segment_ptr 1
		.amdhsa_user_sgpr_dispatch_id 0
		.amdhsa_user_sgpr_kernarg_preload_length 0
		.amdhsa_user_sgpr_kernarg_preload_offset 0
		.amdhsa_user_sgpr_private_segment_size 0
		.amdhsa_uses_dynamic_stack 0
		.amdhsa_enable_private_segment 0
		.amdhsa_system_sgpr_workgroup_id_x 1
		.amdhsa_system_sgpr_workgroup_id_y 0
		.amdhsa_system_sgpr_workgroup_id_z 0
		.amdhsa_system_sgpr_workgroup_info 0
		.amdhsa_system_vgpr_workitem_id 0
		.amdhsa_next_free_vgpr 16
		.amdhsa_next_free_sgpr 10
		.amdhsa_accum_offset 16
		.amdhsa_reserve_vcc 1
		.amdhsa_float_round_mode_32 0
		.amdhsa_float_round_mode_16_64 0
		.amdhsa_float_denorm_mode_32 3
		.amdhsa_float_denorm_mode_16_64 3
		.amdhsa_dx10_clamp 1
		.amdhsa_ieee_mode 1
		.amdhsa_fp16_overflow 0
		.amdhsa_tg_split 0
		.amdhsa_exception_fp_ieee_invalid_op 0
		.amdhsa_exception_fp_denorm_src 0
		.amdhsa_exception_fp_ieee_div_zero 0
		.amdhsa_exception_fp_ieee_overflow 0
		.amdhsa_exception_fp_ieee_underflow 0
		.amdhsa_exception_fp_ieee_inexact 0
		.amdhsa_exception_int_div_zero 0
	.end_amdhsa_kernel
	.section	.text._ZN7rocprim17ROCPRIM_304000_NS6detail31onesweep_scan_histograms_kernelINS1_34wrapped_radix_sort_onesweep_configINS0_14default_configEbN2at4cuda3cub6detail10OpaqueTypeILi8EEEEEmEEvPT0_,"axG",@progbits,_ZN7rocprim17ROCPRIM_304000_NS6detail31onesweep_scan_histograms_kernelINS1_34wrapped_radix_sort_onesweep_configINS0_14default_configEbN2at4cuda3cub6detail10OpaqueTypeILi8EEEEEmEEvPT0_,comdat
.Lfunc_end168:
	.size	_ZN7rocprim17ROCPRIM_304000_NS6detail31onesweep_scan_histograms_kernelINS1_34wrapped_radix_sort_onesweep_configINS0_14default_configEbN2at4cuda3cub6detail10OpaqueTypeILi8EEEEEmEEvPT0_, .Lfunc_end168-_ZN7rocprim17ROCPRIM_304000_NS6detail31onesweep_scan_histograms_kernelINS1_34wrapped_radix_sort_onesweep_configINS0_14default_configEbN2at4cuda3cub6detail10OpaqueTypeILi8EEEEEmEEvPT0_
                                        ; -- End function
	.set _ZN7rocprim17ROCPRIM_304000_NS6detail31onesweep_scan_histograms_kernelINS1_34wrapped_radix_sort_onesweep_configINS0_14default_configEbN2at4cuda3cub6detail10OpaqueTypeILi8EEEEEmEEvPT0_.num_vgpr, 16
	.set _ZN7rocprim17ROCPRIM_304000_NS6detail31onesweep_scan_histograms_kernelINS1_34wrapped_radix_sort_onesweep_configINS0_14default_configEbN2at4cuda3cub6detail10OpaqueTypeILi8EEEEEmEEvPT0_.num_agpr, 0
	.set _ZN7rocprim17ROCPRIM_304000_NS6detail31onesweep_scan_histograms_kernelINS1_34wrapped_radix_sort_onesweep_configINS0_14default_configEbN2at4cuda3cub6detail10OpaqueTypeILi8EEEEEmEEvPT0_.numbered_sgpr, 10
	.set _ZN7rocprim17ROCPRIM_304000_NS6detail31onesweep_scan_histograms_kernelINS1_34wrapped_radix_sort_onesweep_configINS0_14default_configEbN2at4cuda3cub6detail10OpaqueTypeILi8EEEEEmEEvPT0_.num_named_barrier, 0
	.set _ZN7rocprim17ROCPRIM_304000_NS6detail31onesweep_scan_histograms_kernelINS1_34wrapped_radix_sort_onesweep_configINS0_14default_configEbN2at4cuda3cub6detail10OpaqueTypeILi8EEEEEmEEvPT0_.private_seg_size, 0
	.set _ZN7rocprim17ROCPRIM_304000_NS6detail31onesweep_scan_histograms_kernelINS1_34wrapped_radix_sort_onesweep_configINS0_14default_configEbN2at4cuda3cub6detail10OpaqueTypeILi8EEEEEmEEvPT0_.uses_vcc, 1
	.set _ZN7rocprim17ROCPRIM_304000_NS6detail31onesweep_scan_histograms_kernelINS1_34wrapped_radix_sort_onesweep_configINS0_14default_configEbN2at4cuda3cub6detail10OpaqueTypeILi8EEEEEmEEvPT0_.uses_flat_scratch, 0
	.set _ZN7rocprim17ROCPRIM_304000_NS6detail31onesweep_scan_histograms_kernelINS1_34wrapped_radix_sort_onesweep_configINS0_14default_configEbN2at4cuda3cub6detail10OpaqueTypeILi8EEEEEmEEvPT0_.has_dyn_sized_stack, 0
	.set _ZN7rocprim17ROCPRIM_304000_NS6detail31onesweep_scan_histograms_kernelINS1_34wrapped_radix_sort_onesweep_configINS0_14default_configEbN2at4cuda3cub6detail10OpaqueTypeILi8EEEEEmEEvPT0_.has_recursion, 0
	.set _ZN7rocprim17ROCPRIM_304000_NS6detail31onesweep_scan_histograms_kernelINS1_34wrapped_radix_sort_onesweep_configINS0_14default_configEbN2at4cuda3cub6detail10OpaqueTypeILi8EEEEEmEEvPT0_.has_indirect_call, 0
	.section	.AMDGPU.csdata,"",@progbits
; Kernel info:
; codeLenInByte = 920
; TotalNumSgprs: 16
; NumVgprs: 16
; NumAgprs: 0
; TotalNumVgprs: 16
; ScratchSize: 0
; MemoryBound: 0
; FloatMode: 240
; IeeeMode: 1
; LDSByteSize: 64 bytes/workgroup (compile time only)
; SGPRBlocks: 1
; VGPRBlocks: 1
; NumSGPRsForWavesPerEU: 16
; NumVGPRsForWavesPerEU: 16
; AccumOffset: 16
; Occupancy: 8
; WaveLimiterHint : 0
; COMPUTE_PGM_RSRC2:SCRATCH_EN: 0
; COMPUTE_PGM_RSRC2:USER_SGPR: 2
; COMPUTE_PGM_RSRC2:TRAP_HANDLER: 0
; COMPUTE_PGM_RSRC2:TGID_X_EN: 1
; COMPUTE_PGM_RSRC2:TGID_Y_EN: 0
; COMPUTE_PGM_RSRC2:TGID_Z_EN: 0
; COMPUTE_PGM_RSRC2:TIDIG_COMP_CNT: 0
; COMPUTE_PGM_RSRC3_GFX90A:ACCUM_OFFSET: 3
; COMPUTE_PGM_RSRC3_GFX90A:TG_SPLIT: 0
	.section	.text._ZN7rocprim17ROCPRIM_304000_NS6detail16transform_kernelINS1_24wrapped_transform_configINS0_14default_configEbEEbPKbPbNS0_8identityIbEEEEvT1_mT2_T3_,"axG",@progbits,_ZN7rocprim17ROCPRIM_304000_NS6detail16transform_kernelINS1_24wrapped_transform_configINS0_14default_configEbEEbPKbPbNS0_8identityIbEEEEvT1_mT2_T3_,comdat
	.protected	_ZN7rocprim17ROCPRIM_304000_NS6detail16transform_kernelINS1_24wrapped_transform_configINS0_14default_configEbEEbPKbPbNS0_8identityIbEEEEvT1_mT2_T3_ ; -- Begin function _ZN7rocprim17ROCPRIM_304000_NS6detail16transform_kernelINS1_24wrapped_transform_configINS0_14default_configEbEEbPKbPbNS0_8identityIbEEEEvT1_mT2_T3_
	.globl	_ZN7rocprim17ROCPRIM_304000_NS6detail16transform_kernelINS1_24wrapped_transform_configINS0_14default_configEbEEbPKbPbNS0_8identityIbEEEEvT1_mT2_T3_
	.p2align	8
	.type	_ZN7rocprim17ROCPRIM_304000_NS6detail16transform_kernelINS1_24wrapped_transform_configINS0_14default_configEbEEbPKbPbNS0_8identityIbEEEEvT1_mT2_T3_,@function
_ZN7rocprim17ROCPRIM_304000_NS6detail16transform_kernelINS1_24wrapped_transform_configINS0_14default_configEbEEbPKbPbNS0_8identityIbEEEEvT1_mT2_T3_: ; @_ZN7rocprim17ROCPRIM_304000_NS6detail16transform_kernelINS1_24wrapped_transform_configINS0_14default_configEbEEbPKbPbNS0_8identityIbEEEEvT1_mT2_T3_
; %bb.0:
	s_load_dword s3, s[0:1], 0x20
	s_load_dwordx4 s[4:7], s[0:1], 0x0
	s_load_dwordx2 s[14:15], s[0:1], 0x10
	s_lshl_b32 s20, s2, 10
	v_mov_b32_e32 v1, 0
	s_waitcnt lgkmcnt(0)
	s_add_i32 s3, s3, -1
	s_add_u32 s0, s4, s20
	s_addc_u32 s1, s5, 0
	s_cmp_lg_u32 s2, s3
	v_lshl_add_u64 v[2:3], s[0:1], 0, v[0:1]
	s_cbranch_scc0 .LBB169_2
; %bb.1:
	global_load_ubyte v4, v[2:3], off
	global_load_ubyte v8, v[2:3], off offset:128
	global_load_ubyte v9, v[2:3], off offset:256
	;; [unrolled: 1-line block ×7, first 2 shown]
	s_add_u32 s2, s14, s20
	s_addc_u32 s3, s15, 0
	v_lshl_add_u64 v[6:7], s[2:3], 0, v[0:1]
	s_mov_b64 s[16:17], -1
	s_waitcnt vmcnt(7)
	global_store_byte v[6:7], v4, off
	s_waitcnt vmcnt(7)
	global_store_byte v[6:7], v8, off offset:128
	s_waitcnt vmcnt(7)
	global_store_byte v[6:7], v9, off offset:256
	;; [unrolled: 2-line block ×6, first 2 shown]
	s_cbranch_execz .LBB169_3
	s_branch .LBB169_29
.LBB169_2:
	s_mov_b64 s[16:17], 0
                                        ; implicit-def: $vgpr5
.LBB169_3:
	s_sub_i32 s18, s6, s20
	v_cmp_gt_u32_e32 vcc, s18, v0
	v_mov_b32_e32 v7, 0
	v_mov_b32_e32 v10, 0
	;; [unrolled: 1-line block ×5, first 2 shown]
	s_waitcnt vmcnt(7)
	v_mov_b32_e32 v5, 0
	v_mov_b32_e32 v4, 0
	s_and_saveexec_b64 s[0:1], vcc
	s_cbranch_execz .LBB169_5
; %bb.4:
	global_load_ubyte v10, v[2:3], off
	v_mov_b32_e32 v9, 0
	v_mov_b32_e32 v8, 0
	;; [unrolled: 1-line block ×5, first 2 shown]
.LBB169_5:
	s_or_b64 exec, exec, s[0:1]
	v_or_b32_e32 v11, 0x80, v0
	v_cmp_gt_u32_e64 s[0:1], s18, v11
	v_mov_b32_e32 v11, v7
	s_and_saveexec_b64 s[2:3], s[0:1]
	s_cbranch_execz .LBB169_7
; %bb.6:
	global_load_ubyte v11, v[2:3], off offset:128
.LBB169_7:
	s_or_b64 exec, exec, s[2:3]
	v_or_b32_e32 v12, 0x100, v0
	v_cmp_gt_u32_e64 s[2:3], s18, v12
	s_and_saveexec_b64 s[4:5], s[2:3]
	s_cbranch_execz .LBB169_9
; %bb.8:
	global_load_ubyte v7, v[2:3], off offset:256
.LBB169_9:
	s_or_b64 exec, exec, s[4:5]
	v_or_b32_e32 v12, 0x180, v0
	v_cmp_gt_u32_e64 s[4:5], s18, v12
	;; [unrolled: 8-line block ×6, first 2 shown]
	s_and_saveexec_b64 s[18:19], s[12:13]
	s_cbranch_execz .LBB169_19
; %bb.18:
	global_load_ubyte v4, v[2:3], off offset:896
.LBB169_19:
	s_or_b64 exec, exec, s[18:19]
	s_waitcnt vmcnt(0)
	v_and_b32_e32 v2, 1, v10
	v_and_b32_e32 v2, 0xffff, v2
	v_mov_b32_e32 v3, 1
	v_cndmask_b32_e32 v2, 0, v2, vcc
	v_and_b32_sdwa v10, v11, v3 dst_sel:BYTE_1 dst_unused:UNUSED_PAD src0_sel:DWORD src1_sel:DWORD
	v_and_b32_sdwa v7, v7, v3 dst_sel:WORD_1 dst_unused:UNUSED_PAD src0_sel:DWORD src1_sel:DWORD
	v_or_b32_e32 v10, v2, v10
	v_and_b32_e32 v10, 0xffff, v10
	v_cndmask_b32_e64 v2, v2, v10, s[0:1]
	s_movk_i32 s19, 0x1ff
	v_and_or_b32 v7, v2, s19, v7
	v_cndmask_b32_e64 v2, v2, v7, s[2:3]
	v_lshrrev_b32_e32 v7, 16, v2
	v_and_b32_sdwa v9, v9, v3 dst_sel:BYTE_1 dst_unused:UNUSED_PAD src0_sel:DWORD src1_sel:DWORD
	s_movk_i32 s19, 0xff
	v_bitop3_b16 v7, v7, v9, s19 bitop3:0xec
	s_mov_b32 s18, 0xffff
	v_lshlrev_b32_e32 v7, 16, v7
	v_and_or_b32 v7, v2, s18, v7
	v_cndmask_b32_e64 v7, v2, v7, s[4:5]
	v_and_b32_e32 v2, 1, v8
	v_and_b32_e32 v2, 0xffff, v2
	v_cndmask_b32_e64 v2, 0, v2, s[6:7]
	v_and_b32_sdwa v6, v6, v3 dst_sel:BYTE_1 dst_unused:UNUSED_PAD src0_sel:DWORD src1_sel:DWORD
	s_movk_i32 s21, 0xff00
	v_bitop3_b16 v6, v2, v6, s19 bitop3:0xec
	v_and_b32_e32 v6, 0xffff, v6
	v_cndmask_b32_e64 v2, v2, v6, s[8:9]
	v_and_b32_sdwa v6, v2, s21 dst_sel:DWORD dst_unused:UNUSED_PAD src0_sel:WORD_1 src1_sel:DWORD
	v_bitop3_b16 v5, v5, v6, 1 bitop3:0xec
	v_lshlrev_b32_e32 v5, 16, v5
	v_and_or_b32 v5, v2, s18, v5
	v_cndmask_b32_e64 v2, v2, v5, s[10:11]
	v_lshrrev_b32_e32 v5, 16, v2
	v_and_b32_sdwa v3, v4, v3 dst_sel:BYTE_1 dst_unused:UNUSED_PAD src0_sel:DWORD src1_sel:DWORD
	s_nop 0
	v_bitop3_b16 v3, v5, v3, s19 bitop3:0xec
	v_lshlrev_b32_e32 v3, 16, v3
	v_and_or_b32 v3, v2, s18, v3
	s_add_u32 s18, s14, s20
	s_addc_u32 s19, s15, 0
	v_cndmask_b32_e64 v4, v2, v3, s[12:13]
	v_lshl_add_u64 v[2:3], s[18:19], 0, v[0:1]
	s_and_saveexec_b64 s[18:19], vcc
	s_cbranch_execnz .LBB169_32
; %bb.20:
	s_or_b64 exec, exec, s[18:19]
	s_and_saveexec_b64 s[18:19], s[0:1]
	s_cbranch_execnz .LBB169_33
.LBB169_21:
	s_or_b64 exec, exec, s[18:19]
	s_and_saveexec_b64 s[0:1], s[2:3]
	s_cbranch_execnz .LBB169_34
.LBB169_22:
	s_or_b64 exec, exec, s[0:1]
	s_and_saveexec_b64 s[0:1], s[4:5]
	s_cbranch_execnz .LBB169_35
.LBB169_23:
	s_or_b64 exec, exec, s[0:1]
	s_and_saveexec_b64 s[0:1], s[6:7]
	s_cbranch_execnz .LBB169_36
.LBB169_24:
	s_or_b64 exec, exec, s[0:1]
	s_and_saveexec_b64 s[0:1], s[8:9]
	s_cbranch_execnz .LBB169_37
.LBB169_25:
	s_or_b64 exec, exec, s[0:1]
	s_and_saveexec_b64 s[0:1], s[10:11]
	s_cbranch_execnz .LBB169_38
.LBB169_26:
	s_or_b64 exec, exec, s[0:1]
                                        ; implicit-def: $vgpr5
	s_and_saveexec_b64 s[0:1], s[12:13]
.LBB169_27:
	v_lshrrev_b32_e32 v5, 24, v4
	s_or_b64 s[16:17], s[16:17], exec
.LBB169_28:
	s_or_b64 exec, exec, s[0:1]
.LBB169_29:
	s_and_saveexec_b64 s[0:1], s[16:17]
	s_cbranch_execnz .LBB169_31
; %bb.30:
	s_endpgm
.LBB169_31:
	s_add_u32 s0, s14, s20
	s_addc_u32 s1, s15, 0
	v_lshl_add_u64 v[0:1], s[0:1], 0, v[0:1]
	s_waitcnt vmcnt(7)
	global_store_byte v[0:1], v5, off offset:896
	s_endpgm
.LBB169_32:
	global_store_byte v[2:3], v7, off
	s_or_b64 exec, exec, s[18:19]
	s_and_saveexec_b64 s[18:19], s[0:1]
	s_cbranch_execz .LBB169_21
.LBB169_33:
	v_lshrrev_b32_e32 v5, 8, v7
	global_store_byte v[2:3], v5, off offset:128
	s_or_b64 exec, exec, s[18:19]
	s_and_saveexec_b64 s[0:1], s[2:3]
	s_cbranch_execz .LBB169_22
.LBB169_34:
	global_store_byte_d16_hi v[2:3], v7, off offset:256
	s_or_b64 exec, exec, s[0:1]
	s_and_saveexec_b64 s[0:1], s[4:5]
	s_cbranch_execz .LBB169_23
.LBB169_35:
	v_lshrrev_b32_e32 v5, 24, v7
	global_store_byte v[2:3], v5, off offset:384
	s_or_b64 exec, exec, s[0:1]
	s_and_saveexec_b64 s[0:1], s[6:7]
	s_cbranch_execz .LBB169_24
.LBB169_36:
	global_store_byte v[2:3], v4, off offset:512
	s_or_b64 exec, exec, s[0:1]
	s_and_saveexec_b64 s[0:1], s[8:9]
	s_cbranch_execz .LBB169_25
.LBB169_37:
	v_lshrrev_b32_e32 v5, 8, v4
	global_store_byte v[2:3], v5, off offset:640
	s_or_b64 exec, exec, s[0:1]
	s_and_saveexec_b64 s[0:1], s[10:11]
	s_cbranch_execz .LBB169_26
.LBB169_38:
	global_store_byte_d16_hi v[2:3], v4, off offset:768
	s_or_b64 exec, exec, s[0:1]
                                        ; implicit-def: $vgpr5
	s_and_saveexec_b64 s[0:1], s[12:13]
	s_cbranch_execnz .LBB169_27
	s_branch .LBB169_28
	.section	.rodata,"a",@progbits
	.p2align	6, 0x0
	.amdhsa_kernel _ZN7rocprim17ROCPRIM_304000_NS6detail16transform_kernelINS1_24wrapped_transform_configINS0_14default_configEbEEbPKbPbNS0_8identityIbEEEEvT1_mT2_T3_
		.amdhsa_group_segment_fixed_size 0
		.amdhsa_private_segment_fixed_size 0
		.amdhsa_kernarg_size 288
		.amdhsa_user_sgpr_count 2
		.amdhsa_user_sgpr_dispatch_ptr 0
		.amdhsa_user_sgpr_queue_ptr 0
		.amdhsa_user_sgpr_kernarg_segment_ptr 1
		.amdhsa_user_sgpr_dispatch_id 0
		.amdhsa_user_sgpr_kernarg_preload_length 0
		.amdhsa_user_sgpr_kernarg_preload_offset 0
		.amdhsa_user_sgpr_private_segment_size 0
		.amdhsa_uses_dynamic_stack 0
		.amdhsa_enable_private_segment 0
		.amdhsa_system_sgpr_workgroup_id_x 1
		.amdhsa_system_sgpr_workgroup_id_y 0
		.amdhsa_system_sgpr_workgroup_id_z 0
		.amdhsa_system_sgpr_workgroup_info 0
		.amdhsa_system_vgpr_workitem_id 0
		.amdhsa_next_free_vgpr 14
		.amdhsa_next_free_sgpr 22
		.amdhsa_accum_offset 16
		.amdhsa_reserve_vcc 1
		.amdhsa_float_round_mode_32 0
		.amdhsa_float_round_mode_16_64 0
		.amdhsa_float_denorm_mode_32 3
		.amdhsa_float_denorm_mode_16_64 3
		.amdhsa_dx10_clamp 1
		.amdhsa_ieee_mode 1
		.amdhsa_fp16_overflow 0
		.amdhsa_tg_split 0
		.amdhsa_exception_fp_ieee_invalid_op 0
		.amdhsa_exception_fp_denorm_src 0
		.amdhsa_exception_fp_ieee_div_zero 0
		.amdhsa_exception_fp_ieee_overflow 0
		.amdhsa_exception_fp_ieee_underflow 0
		.amdhsa_exception_fp_ieee_inexact 0
		.amdhsa_exception_int_div_zero 0
	.end_amdhsa_kernel
	.section	.text._ZN7rocprim17ROCPRIM_304000_NS6detail16transform_kernelINS1_24wrapped_transform_configINS0_14default_configEbEEbPKbPbNS0_8identityIbEEEEvT1_mT2_T3_,"axG",@progbits,_ZN7rocprim17ROCPRIM_304000_NS6detail16transform_kernelINS1_24wrapped_transform_configINS0_14default_configEbEEbPKbPbNS0_8identityIbEEEEvT1_mT2_T3_,comdat
.Lfunc_end169:
	.size	_ZN7rocprim17ROCPRIM_304000_NS6detail16transform_kernelINS1_24wrapped_transform_configINS0_14default_configEbEEbPKbPbNS0_8identityIbEEEEvT1_mT2_T3_, .Lfunc_end169-_ZN7rocprim17ROCPRIM_304000_NS6detail16transform_kernelINS1_24wrapped_transform_configINS0_14default_configEbEEbPKbPbNS0_8identityIbEEEEvT1_mT2_T3_
                                        ; -- End function
	.set _ZN7rocprim17ROCPRIM_304000_NS6detail16transform_kernelINS1_24wrapped_transform_configINS0_14default_configEbEEbPKbPbNS0_8identityIbEEEEvT1_mT2_T3_.num_vgpr, 14
	.set _ZN7rocprim17ROCPRIM_304000_NS6detail16transform_kernelINS1_24wrapped_transform_configINS0_14default_configEbEEbPKbPbNS0_8identityIbEEEEvT1_mT2_T3_.num_agpr, 0
	.set _ZN7rocprim17ROCPRIM_304000_NS6detail16transform_kernelINS1_24wrapped_transform_configINS0_14default_configEbEEbPKbPbNS0_8identityIbEEEEvT1_mT2_T3_.numbered_sgpr, 22
	.set _ZN7rocprim17ROCPRIM_304000_NS6detail16transform_kernelINS1_24wrapped_transform_configINS0_14default_configEbEEbPKbPbNS0_8identityIbEEEEvT1_mT2_T3_.num_named_barrier, 0
	.set _ZN7rocprim17ROCPRIM_304000_NS6detail16transform_kernelINS1_24wrapped_transform_configINS0_14default_configEbEEbPKbPbNS0_8identityIbEEEEvT1_mT2_T3_.private_seg_size, 0
	.set _ZN7rocprim17ROCPRIM_304000_NS6detail16transform_kernelINS1_24wrapped_transform_configINS0_14default_configEbEEbPKbPbNS0_8identityIbEEEEvT1_mT2_T3_.uses_vcc, 1
	.set _ZN7rocprim17ROCPRIM_304000_NS6detail16transform_kernelINS1_24wrapped_transform_configINS0_14default_configEbEEbPKbPbNS0_8identityIbEEEEvT1_mT2_T3_.uses_flat_scratch, 0
	.set _ZN7rocprim17ROCPRIM_304000_NS6detail16transform_kernelINS1_24wrapped_transform_configINS0_14default_configEbEEbPKbPbNS0_8identityIbEEEEvT1_mT2_T3_.has_dyn_sized_stack, 0
	.set _ZN7rocprim17ROCPRIM_304000_NS6detail16transform_kernelINS1_24wrapped_transform_configINS0_14default_configEbEEbPKbPbNS0_8identityIbEEEEvT1_mT2_T3_.has_recursion, 0
	.set _ZN7rocprim17ROCPRIM_304000_NS6detail16transform_kernelINS1_24wrapped_transform_configINS0_14default_configEbEEbPKbPbNS0_8identityIbEEEEvT1_mT2_T3_.has_indirect_call, 0
	.section	.AMDGPU.csdata,"",@progbits
; Kernel info:
; codeLenInByte = 1164
; TotalNumSgprs: 28
; NumVgprs: 14
; NumAgprs: 0
; TotalNumVgprs: 14
; ScratchSize: 0
; MemoryBound: 0
; FloatMode: 240
; IeeeMode: 1
; LDSByteSize: 0 bytes/workgroup (compile time only)
; SGPRBlocks: 3
; VGPRBlocks: 1
; NumSGPRsForWavesPerEU: 28
; NumVGPRsForWavesPerEU: 14
; AccumOffset: 16
; Occupancy: 8
; WaveLimiterHint : 1
; COMPUTE_PGM_RSRC2:SCRATCH_EN: 0
; COMPUTE_PGM_RSRC2:USER_SGPR: 2
; COMPUTE_PGM_RSRC2:TRAP_HANDLER: 0
; COMPUTE_PGM_RSRC2:TGID_X_EN: 1
; COMPUTE_PGM_RSRC2:TGID_Y_EN: 0
; COMPUTE_PGM_RSRC2:TGID_Z_EN: 0
; COMPUTE_PGM_RSRC2:TIDIG_COMP_CNT: 0
; COMPUTE_PGM_RSRC3_GFX90A:ACCUM_OFFSET: 3
; COMPUTE_PGM_RSRC3_GFX90A:TG_SPLIT: 0
	.section	.text._ZN7rocprim17ROCPRIM_304000_NS6detail25onesweep_iteration_kernelINS1_34wrapped_radix_sort_onesweep_configINS0_14default_configEbN2at4cuda3cub6detail10OpaqueTypeILi8EEEEELb1EPKbPbPKSA_PSA_mNS0_19identity_decomposerEEEvT1_T2_T3_T4_jPT5_SO_PNS1_23onesweep_lookback_stateET6_jjj,"axG",@progbits,_ZN7rocprim17ROCPRIM_304000_NS6detail25onesweep_iteration_kernelINS1_34wrapped_radix_sort_onesweep_configINS0_14default_configEbN2at4cuda3cub6detail10OpaqueTypeILi8EEEEELb1EPKbPbPKSA_PSA_mNS0_19identity_decomposerEEEvT1_T2_T3_T4_jPT5_SO_PNS1_23onesweep_lookback_stateET6_jjj,comdat
	.protected	_ZN7rocprim17ROCPRIM_304000_NS6detail25onesweep_iteration_kernelINS1_34wrapped_radix_sort_onesweep_configINS0_14default_configEbN2at4cuda3cub6detail10OpaqueTypeILi8EEEEELb1EPKbPbPKSA_PSA_mNS0_19identity_decomposerEEEvT1_T2_T3_T4_jPT5_SO_PNS1_23onesweep_lookback_stateET6_jjj ; -- Begin function _ZN7rocprim17ROCPRIM_304000_NS6detail25onesweep_iteration_kernelINS1_34wrapped_radix_sort_onesweep_configINS0_14default_configEbN2at4cuda3cub6detail10OpaqueTypeILi8EEEEELb1EPKbPbPKSA_PSA_mNS0_19identity_decomposerEEEvT1_T2_T3_T4_jPT5_SO_PNS1_23onesweep_lookback_stateET6_jjj
	.globl	_ZN7rocprim17ROCPRIM_304000_NS6detail25onesweep_iteration_kernelINS1_34wrapped_radix_sort_onesweep_configINS0_14default_configEbN2at4cuda3cub6detail10OpaqueTypeILi8EEEEELb1EPKbPbPKSA_PSA_mNS0_19identity_decomposerEEEvT1_T2_T3_T4_jPT5_SO_PNS1_23onesweep_lookback_stateET6_jjj
	.p2align	8
	.type	_ZN7rocprim17ROCPRIM_304000_NS6detail25onesweep_iteration_kernelINS1_34wrapped_radix_sort_onesweep_configINS0_14default_configEbN2at4cuda3cub6detail10OpaqueTypeILi8EEEEELb1EPKbPbPKSA_PSA_mNS0_19identity_decomposerEEEvT1_T2_T3_T4_jPT5_SO_PNS1_23onesweep_lookback_stateET6_jjj,@function
_ZN7rocprim17ROCPRIM_304000_NS6detail25onesweep_iteration_kernelINS1_34wrapped_radix_sort_onesweep_configINS0_14default_configEbN2at4cuda3cub6detail10OpaqueTypeILi8EEEEELb1EPKbPbPKSA_PSA_mNS0_19identity_decomposerEEEvT1_T2_T3_T4_jPT5_SO_PNS1_23onesweep_lookback_stateET6_jjj: ; @_ZN7rocprim17ROCPRIM_304000_NS6detail25onesweep_iteration_kernelINS1_34wrapped_radix_sort_onesweep_configINS0_14default_configEbN2at4cuda3cub6detail10OpaqueTypeILi8EEEEELb1EPKbPbPKSA_PSA_mNS0_19identity_decomposerEEEvT1_T2_T3_T4_jPT5_SO_PNS1_23onesweep_lookback_stateET6_jjj
; %bb.0:
	s_load_dwordx4 s[44:47], s[0:1], 0x44
	s_load_dwordx8 s[36:43], s[0:1], 0x0
	s_load_dwordx4 s[28:31], s[0:1], 0x28
	s_load_dwordx2 s[48:49], s[0:1], 0x38
	s_mov_b64 s[4:5], -1
	s_waitcnt lgkmcnt(0)
	s_cmp_ge_u32 s2, s46
	s_mul_i32 s34, s2, 0xc00
	v_mbcnt_lo_u32_b32 v1, -1, 0
	s_cbranch_scc0 .LBB170_96
; %bb.1:
	s_load_dword s3, s[0:1], 0x20
	s_mul_i32 s33, s46, 0xfffff400
	v_and_b32_e32 v3, 0x1c0, v0
	v_mbcnt_hi_u32_b32 v6, -1, v1
	v_mul_u32_u24_e32 v4, 6, v3
	s_waitcnt lgkmcnt(0)
	s_add_i32 s33, s33, s3
	s_add_u32 s4, s36, s34
	s_addc_u32 s5, s37, 0
	v_mov_b32_e32 v7, 0
	v_lshl_add_u64 v[8:9], s[4:5], 0, v[6:7]
	v_mov_b32_e32 v5, v7
	v_or_b32_e32 v14, v6, v4
	s_mov_b32 s35, 0
	v_lshl_add_u64 v[8:9], v[8:9], 0, v[4:5]
	v_cmp_gt_u32_e32 vcc, s33, v14
	v_mov_b32_e32 v12, v7
	v_mov_b32_e32 v10, v7
	;; [unrolled: 1-line block ×3, first 2 shown]
	s_and_saveexec_b64 s[4:5], vcc
	s_cbranch_execz .LBB170_3
; %bb.2:
	global_load_ubyte v12, v[8:9], off
	v_mov_b32_e32 v5, v7
	v_mov_b32_e32 v10, v7
	;; [unrolled: 1-line block ×3, first 2 shown]
.LBB170_3:
	s_or_b64 exec, exec, s[4:5]
	v_add_u32_e32 v2, 64, v14
	v_cmp_gt_u32_e64 s[26:27], s33, v2
	v_mov_b32_e32 v13, v7
	s_and_saveexec_b64 s[4:5], s[26:27]
	s_cbranch_execz .LBB170_5
; %bb.4:
	global_load_ubyte v13, v[8:9], off offset:64
.LBB170_5:
	s_or_b64 exec, exec, s[4:5]
	v_add_u32_e32 v2, 0x80, v14
	v_cmp_gt_u32_e64 s[4:5], s33, v2
	s_and_saveexec_b64 s[6:7], s[4:5]
	s_cbranch_execz .LBB170_7
; %bb.6:
	global_load_ubyte v7, v[8:9], off offset:128
.LBB170_7:
	s_or_b64 exec, exec, s[6:7]
	v_add_u32_e32 v2, 0xc0, v14
	v_cmp_gt_u32_e64 s[6:7], s33, v2
	;; [unrolled: 8-line block ×3, first 2 shown]
	s_and_saveexec_b64 s[10:11], s[8:9]
	s_cbranch_execz .LBB170_11
; %bb.10:
	global_load_ubyte v10, v[8:9], off offset:256
.LBB170_11:
	s_or_b64 exec, exec, s[10:11]
	v_add_u32_e32 v14, 0x140, v14
	v_and_b32_e32 v2, 0x3ff, v0
	v_cmp_gt_u32_e64 s[10:11], s33, v14
	s_and_saveexec_b64 s[12:13], s[10:11]
	s_cbranch_execz .LBB170_13
; %bb.12:
	global_load_ubyte v11, v[8:9], off offset:320
.LBB170_13:
	s_or_b64 exec, exec, s[12:13]
	s_load_dword s3, s[0:1], 0x50
	s_load_dword s14, s[0:1], 0x5c
	s_waitcnt vmcnt(0)
	v_and_b32_e32 v8, 1, v12
	v_cmp_eq_u32_e64 s[12:13], 1, v8
	s_xor_b64 s[22:23], s[12:13], -1
	s_add_u32 s12, s0, 0x50
	s_addc_u32 s13, s1, 0
	s_waitcnt lgkmcnt(0)
	s_lshr_b32 s24, s14, 16
	s_cmp_lt_u32 s2, s3
	s_cselect_b32 s14, 12, 18
	s_add_u32 s12, s12, s14
	s_addc_u32 s13, s13, 0
	v_mov_b32_e32 v9, 0
	global_load_ushort v14, v9, s[12:13]
	v_and_b32_e32 v5, 1, v5
	v_and_b32_e32 v7, 1, v7
	v_cmp_eq_u32_e64 s[16:17], 1, v5
	v_cndmask_b32_e64 v5, 0, 1, s[22:23]
	v_and_b32_e32 v8, 1, v13
	v_cmp_eq_u32_e64 s[18:19], 1, v7
	v_lshrrev_b32_e32 v7, s44, v5
	s_lshl_b32 s22, -1, s45
	v_and_b32_e32 v10, 1, v10
	v_and_b32_e32 v11, 1, v11
	v_cmp_eq_u32_e64 s[20:21], 1, v8
	v_bitop3_b32 v8, v7, s22, v7 bitop3:0x30
	v_cmp_eq_u32_e64 s[14:15], 1, v10
	v_cmp_eq_u32_e64 s[12:13], 1, v11
	s_not_b32 s50, s22
	v_cmp_ne_u32_e64 s[22:23], 0, v8
	v_lshl_add_u64 v[10:11], v[8:9], 0, -1
	v_bfe_u32 v13, v0, 10, 10
	v_bfe_u32 v15, v0, 20, 10
	v_mul_u32_u24_e32 v16, 36, v8
	v_xor_b32_e32 v8, s22, v10
	v_mad_u32_u24 v13, v15, s24, v13
	v_xor_b32_e32 v7, s23, v11
	v_and_b32_e32 v10, exec_lo, v8
	v_and_b32_e32 v11, exec_hi, v7
	v_mbcnt_lo_u32_b32 v7, v10, 0
	v_mbcnt_hi_u32_b32 v7, v11, v7
	v_cmp_ne_u64_e64 s[22:23], 0, v[10:11]
	v_cmp_eq_u32_e64 s[24:25], 0, v7
	v_mul_u32_u24_e32 v12, 20, v2
	s_and_b64 s[24:25], s[22:23], s[24:25]
	ds_write2_b32 v12, v9, v9 offset0:8 offset1:9
	ds_write2_b32 v12, v9, v9 offset0:10 offset1:11
	ds_write_b32 v12, v9 offset:48
	s_waitcnt lgkmcnt(0)
	s_barrier
	s_waitcnt vmcnt(0)
	; wave barrier
	v_mad_u64_u32 v[14:15], s[46:47], v13, v14, v[2:3]
	v_lshrrev_b32_e32 v8, 4, v14
	v_and_b32_e32 v26, 0xffffffc, v8
	v_add_u32_e32 v17, v26, v16
	s_and_saveexec_b64 s[22:23], s[24:25]
; %bb.14:
	v_bcnt_u32_b32 v8, v10, 0
	v_bcnt_u32_b32 v8, v11, v8
	ds_write_b32 v17, v8 offset:32
; %bb.15:
	s_or_b64 exec, exec, s[22:23]
	s_xor_b64 s[20:21], s[20:21], -1
	v_cndmask_b32_e64 v13, 0, 1, s[20:21]
	v_lshrrev_b32_e32 v8, s44, v13
	v_and_b32_e32 v8, s50, v8
	v_mul_u32_u24_e32 v10, 36, v8
	v_mad_u32_u24 v11, v8, 36, v26
	v_cmp_ne_u32_e64 s[20:21], 0, v8
	v_lshl_add_u64 v[8:9], v[8:9], 0, -1
	s_nop 0
	v_xor_b32_e32 v8, s20, v8
	; wave barrier
	ds_read_b32 v14, v11 offset:32
	v_xor_b32_e32 v9, s21, v9
	v_and_b32_e32 v8, exec_lo, v8
	v_and_b32_e32 v9, exec_hi, v9
	v_mbcnt_lo_u32_b32 v11, v8, 0
	v_mbcnt_hi_u32_b32 v15, v9, v11
	v_cmp_eq_u32_e64 s[20:21], 0, v15
	v_cmp_ne_u64_e64 s[22:23], 0, v[8:9]
	s_and_b64 s[22:23], s[22:23], s[20:21]
	v_add_u32_e32 v21, v26, v10
	; wave barrier
	s_and_saveexec_b64 s[20:21], s[22:23]
	s_cbranch_execz .LBB170_17
; %bb.16:
	v_bcnt_u32_b32 v8, v8, 0
	v_bcnt_u32_b32 v8, v9, v8
	s_waitcnt lgkmcnt(0)
	v_add_u32_e32 v8, v14, v8
	ds_write_b32 v21, v8 offset:32
.LBB170_17:
	s_or_b64 exec, exec, s[20:21]
	s_xor_b64 s[18:19], s[18:19], -1
	v_cndmask_b32_e64 v16, 0, 1, s[18:19]
	v_lshrrev_b32_e32 v8, s44, v16
	v_and_b32_e32 v8, s50, v8
	v_mad_u32_u24 v9, v8, 36, v26
	; wave barrier
	ds_read_b32 v18, v9 offset:32
	v_mov_b32_e32 v9, 0
	v_cmp_ne_u32_e64 s[18:19], 0, v8
	v_lshl_add_u64 v[10:11], v[8:9], 0, -1
	v_mul_u32_u24_e32 v20, 36, v8
	v_xor_b32_e32 v10, s18, v10
	v_xor_b32_e32 v8, s19, v11
	v_and_b32_e32 v10, exec_lo, v10
	v_and_b32_e32 v11, exec_hi, v8
	v_mbcnt_lo_u32_b32 v8, v10, 0
	v_mbcnt_hi_u32_b32 v19, v11, v8
	v_cmp_eq_u32_e64 s[18:19], 0, v19
	v_cmp_ne_u64_e64 s[20:21], 0, v[10:11]
	s_and_b64 s[20:21], s[20:21], s[18:19]
	v_add_u32_e32 v24, v26, v20
	; wave barrier
	s_and_saveexec_b64 s[18:19], s[20:21]
	s_cbranch_execz .LBB170_19
; %bb.18:
	v_bcnt_u32_b32 v8, v10, 0
	v_bcnt_u32_b32 v8, v11, v8
	s_waitcnt lgkmcnt(0)
	v_add_u32_e32 v8, v18, v8
	ds_write_b32 v24, v8 offset:32
.LBB170_19:
	s_or_b64 exec, exec, s[18:19]
	s_xor_b64 s[16:17], s[16:17], -1
	v_cndmask_b32_e64 v20, 0, 1, s[16:17]
	v_lshrrev_b32_e32 v8, s44, v20
	v_and_b32_e32 v8, s50, v8
	v_mul_u32_u24_e32 v10, 36, v8
	v_mad_u32_u24 v11, v8, 36, v26
	v_cmp_ne_u32_e64 s[16:17], 0, v8
	v_lshl_add_u64 v[8:9], v[8:9], 0, -1
	s_nop 0
	v_xor_b32_e32 v8, s16, v8
	; wave barrier
	ds_read_b32 v22, v11 offset:32
	v_xor_b32_e32 v9, s17, v9
	v_and_b32_e32 v8, exec_lo, v8
	v_and_b32_e32 v9, exec_hi, v9
	v_mbcnt_lo_u32_b32 v11, v8, 0
	v_mbcnt_hi_u32_b32 v23, v9, v11
	v_cmp_eq_u32_e64 s[16:17], 0, v23
	v_cmp_ne_u64_e64 s[18:19], 0, v[8:9]
	s_and_b64 s[18:19], s[18:19], s[16:17]
	v_add_u32_e32 v25, v26, v10
	; wave barrier
	s_and_saveexec_b64 s[16:17], s[18:19]
	s_cbranch_execz .LBB170_21
; %bb.20:
	v_bcnt_u32_b32 v8, v8, 0
	v_bcnt_u32_b32 v8, v9, v8
	s_waitcnt lgkmcnt(0)
	v_add_u32_e32 v8, v22, v8
	ds_write_b32 v25, v8 offset:32
.LBB170_21:
	s_or_b64 exec, exec, s[16:17]
	s_xor_b64 s[14:15], s[14:15], -1
	v_cndmask_b32_e64 v28, 0, 1, s[14:15]
	v_lshrrev_b32_e32 v8, s44, v28
	v_and_b32_e32 v8, s50, v8
	v_mad_u32_u24 v9, v8, 36, v26
	; wave barrier
	ds_read_b32 v29, v9 offset:32
	v_mov_b32_e32 v9, 0
	v_cmp_ne_u32_e64 s[14:15], 0, v8
	v_lshl_add_u64 v[10:11], v[8:9], 0, -1
	v_mul_u32_u24_e32 v27, 36, v8
	v_xor_b32_e32 v10, s14, v10
	v_xor_b32_e32 v8, s15, v11
	v_and_b32_e32 v10, exec_lo, v10
	v_and_b32_e32 v11, exec_hi, v8
	v_mbcnt_lo_u32_b32 v8, v10, 0
	v_mbcnt_hi_u32_b32 v30, v11, v8
	v_cmp_eq_u32_e64 s[14:15], 0, v30
	v_cmp_ne_u64_e64 s[16:17], 0, v[10:11]
	s_and_b64 s[16:17], s[16:17], s[14:15]
	v_add_u32_e32 v27, v26, v27
	; wave barrier
	s_and_saveexec_b64 s[14:15], s[16:17]
	s_cbranch_execz .LBB170_23
; %bb.22:
	v_bcnt_u32_b32 v8, v10, 0
	v_bcnt_u32_b32 v8, v11, v8
	s_waitcnt lgkmcnt(0)
	v_add_u32_e32 v8, v29, v8
	ds_write_b32 v27, v8 offset:32
.LBB170_23:
	s_or_b64 exec, exec, s[14:15]
	s_xor_b64 s[12:13], s[12:13], -1
	v_cndmask_b32_e64 v31, 0, 1, s[12:13]
	v_lshrrev_b32_e32 v8, s44, v31
	v_and_b32_e32 v8, s50, v8
	v_mul_u32_u24_e32 v10, 36, v8
	v_mad_u32_u24 v11, v8, 36, v26
	v_cmp_ne_u32_e64 s[12:13], 0, v8
	v_lshl_add_u64 v[8:9], v[8:9], 0, -1
	s_nop 0
	v_xor_b32_e32 v8, s12, v8
	; wave barrier
	ds_read_b32 v32, v11 offset:32
	v_xor_b32_e32 v9, s13, v9
	v_and_b32_e32 v8, exec_lo, v8
	v_and_b32_e32 v9, exec_hi, v9
	v_mbcnt_lo_u32_b32 v11, v8, 0
	v_mbcnt_hi_u32_b32 v33, v9, v11
	v_cmp_eq_u32_e64 s[12:13], 0, v33
	v_cmp_ne_u64_e64 s[14:15], 0, v[8:9]
	s_and_b64 s[14:15], s[14:15], s[12:13]
	v_add_u32_e32 v26, v26, v10
	; wave barrier
	s_and_saveexec_b64 s[12:13], s[14:15]
	s_cbranch_execz .LBB170_25
; %bb.24:
	v_bcnt_u32_b32 v8, v8, 0
	v_bcnt_u32_b32 v8, v9, v8
	s_waitcnt lgkmcnt(0)
	v_add_u32_e32 v8, v32, v8
	ds_write_b32 v26, v8 offset:32
.LBB170_25:
	s_or_b64 exec, exec, s[12:13]
	; wave barrier
	s_waitcnt lgkmcnt(0)
	s_barrier
	ds_read2_b32 v[10:11], v12 offset0:8 offset1:9
	ds_read2_b32 v[8:9], v12 offset0:10 offset1:11
	ds_read_b32 v34, v12 offset:48
	v_min_u32_e32 v3, 0x1c0, v3
	v_or_b32_e32 v3, 63, v3
	s_waitcnt lgkmcnt(1)
	v_add3_u32 v35, v11, v10, v8
	s_waitcnt lgkmcnt(0)
	v_add3_u32 v34, v35, v9, v34
	v_and_b32_e32 v35, 15, v6
	v_cmp_ne_u32_e64 s[12:13], 0, v35
	v_mov_b32_dpp v36, v34 row_shr:1 row_mask:0xf bank_mask:0xf
	s_nop 0
	v_cndmask_b32_e64 v36, 0, v36, s[12:13]
	v_add_u32_e32 v34, v36, v34
	v_cmp_lt_u32_e64 s[12:13], 1, v35
	s_nop 0
	v_mov_b32_dpp v36, v34 row_shr:2 row_mask:0xf bank_mask:0xf
	v_cndmask_b32_e64 v36, 0, v36, s[12:13]
	v_add_u32_e32 v34, v34, v36
	v_cmp_lt_u32_e64 s[12:13], 3, v35
	s_nop 0
	v_mov_b32_dpp v36, v34 row_shr:4 row_mask:0xf bank_mask:0xf
	;; [unrolled: 5-line block ×3, first 2 shown]
	v_cndmask_b32_e64 v35, 0, v36, s[12:13]
	v_add_u32_e32 v34, v34, v35
	v_bfe_i32 v36, v6, 4, 1
	v_cmp_lt_u32_e64 s[12:13], 31, v6
	v_mov_b32_dpp v35, v34 row_bcast:15 row_mask:0xf bank_mask:0xf
	v_and_b32_e32 v35, v36, v35
	v_add_u32_e32 v34, v34, v35
	s_nop 1
	v_mov_b32_dpp v35, v34 row_bcast:31 row_mask:0xf bank_mask:0xf
	v_cndmask_b32_e64 v35, 0, v35, s[12:13]
	v_add_u32_e32 v34, v34, v35
	v_lshrrev_b32_e32 v35, 6, v2
	v_cmp_eq_u32_e64 s[12:13], v2, v3
	s_and_saveexec_b64 s[14:15], s[12:13]
; %bb.26:
	v_lshlrev_b32_e32 v3, 2, v35
	ds_write_b32 v3, v34
; %bb.27:
	s_or_b64 exec, exec, s[14:15]
	v_cmp_gt_u32_e64 s[12:13], 8, v2
	s_waitcnt lgkmcnt(0)
	s_barrier
	s_and_saveexec_b64 s[14:15], s[12:13]
	s_cbranch_execz .LBB170_29
; %bb.28:
	v_lshlrev_b32_e32 v3, 2, v2
	ds_read_b32 v36, v3
	v_and_b32_e32 v37, 7, v6
	v_cmp_ne_u32_e64 s[12:13], 0, v37
	s_waitcnt lgkmcnt(0)
	v_mov_b32_dpp v38, v36 row_shr:1 row_mask:0xf bank_mask:0xf
	v_cndmask_b32_e64 v38, 0, v38, s[12:13]
	v_add_u32_e32 v36, v38, v36
	v_cmp_lt_u32_e64 s[12:13], 1, v37
	s_nop 0
	v_mov_b32_dpp v38, v36 row_shr:2 row_mask:0xf bank_mask:0xf
	v_cndmask_b32_e64 v38, 0, v38, s[12:13]
	v_add_u32_e32 v36, v36, v38
	v_cmp_lt_u32_e64 s[12:13], 3, v37
	s_nop 0
	v_mov_b32_dpp v38, v36 row_shr:4 row_mask:0xf bank_mask:0xf
	v_cndmask_b32_e64 v37, 0, v38, s[12:13]
	v_add_u32_e32 v36, v36, v37
	ds_write_b32 v3, v36
.LBB170_29:
	s_or_b64 exec, exec, s[14:15]
	v_cmp_lt_u32_e64 s[12:13], 63, v2
	v_mov_b32_e32 v3, 0
	s_waitcnt lgkmcnt(0)
	s_barrier
	s_and_saveexec_b64 s[14:15], s[12:13]
; %bb.30:
	v_lshl_add_u32 v3, v35, 2, -4
	ds_read_b32 v3, v3
; %bb.31:
	s_or_b64 exec, exec, s[14:15]
	v_subrev_co_u32_e64 v35, s[12:13], 1, v6
	v_and_b32_e32 v36, 64, v6
	v_cmp_lt_i32_e64 s[14:15], v35, v36
	s_waitcnt lgkmcnt(0)
	v_add_u32_e32 v34, v3, v34
	s_movk_i32 s16, 0x100
	v_cndmask_b32_e64 v35, v35, v6, s[14:15]
	v_lshlrev_b32_e32 v35, 2, v35
	ds_bpermute_b32 v34, v35, v34
	v_cmp_gt_u32_e64 s[14:15], s16, v2
	s_waitcnt lgkmcnt(0)
	v_cndmask_b32_e64 v3, v34, v3, s[12:13]
	v_cmp_ne_u32_e64 s[12:13], 0, v2
	s_nop 1
	v_cndmask_b32_e64 v3, 0, v3, s[12:13]
	v_add_u32_e32 v10, v3, v10
	v_add_u32_e32 v11, v10, v11
	;; [unrolled: 1-line block ×4, first 2 shown]
	ds_write2_b32 v12, v3, v10 offset0:8 offset1:9
	ds_write2_b32 v12, v11, v8 offset0:10 offset1:11
	ds_write_b32 v12, v9 offset:48
	s_waitcnt lgkmcnt(0)
	s_barrier
	ds_read_b32 v3, v17 offset:32
	ds_read_b32 v11, v21 offset:32
	;; [unrolled: 1-line block ×6, first 2 shown]
	s_movk_i32 s12, 0xff
	v_cmp_lt_u32_e64 s[12:13], s12, v2
	v_mov_b64_e32 v[8:9], 0
                                        ; implicit-def: $vgpr10
	s_and_saveexec_b64 s[18:19], s[14:15]
	s_cbranch_execz .LBB170_35
; %bb.32:
	v_mul_u32_u24_e32 v8, 36, v2
	ds_read_b32 v8, v8 offset:32
	v_add_u32_e32 v10, 1, v2
	v_cmp_ne_u32_e64 s[16:17], s16, v10
	v_mov_b32_e32 v9, 0xc00
	s_and_saveexec_b64 s[20:21], s[16:17]
; %bb.33:
	v_mul_u32_u24_e32 v9, 36, v10
	ds_read_b32 v9, v9 offset:32
; %bb.34:
	s_or_b64 exec, exec, s[20:21]
	s_waitcnt lgkmcnt(0)
	v_sub_u32_e32 v10, v9, v8
	v_mov_b32_e32 v9, 0
.LBB170_35:
	s_or_b64 exec, exec, s[18:19]
	s_waitcnt lgkmcnt(5)
	v_add_u32_e32 v27, v3, v7
	s_waitcnt lgkmcnt(4)
	v_add3_u32 v26, v15, v14, v11
	s_waitcnt lgkmcnt(3)
	v_add3_u32 v25, v19, v18, v12
	;; [unrolled: 2-line block ×5, first 2 shown]
	s_barrier
	ds_write_b8 v27, v5 offset:2048
	ds_write_b8 v26, v13 offset:2048
	;; [unrolled: 1-line block ×6, first 2 shown]
	v_mov_b32_e32 v13, 0
	v_mov_b32_e32 v3, v13
	v_lshlrev_b32_e32 v11, 3, v2
	s_waitcnt lgkmcnt(0)
	s_barrier
	s_and_saveexec_b64 s[16:17], s[14:15]
	s_cbranch_execz .LBB170_45
; %bb.36:
	v_lshl_add_u32 v12, s2, 8, v2
	v_lshl_add_u64 v[14:15], v[12:13], 2, s[48:49]
	v_or_b32_e32 v5, 2.0, v10
	global_store_dword v[14:15], v5, off sc1
	s_mov_b64 s[18:19], 0
	s_brev_b32 s24, -4
	s_mov_b32 s25, s2
	v_mov_b32_e32 v5, 0
                                        ; implicit-def: $sgpr14_sgpr15
	s_branch .LBB170_39
.LBB170_37:                             ;   in Loop: Header=BB170_39 Depth=1
	s_or_b64 exec, exec, s[22:23]
.LBB170_38:                             ;   in Loop: Header=BB170_39 Depth=1
	s_or_b64 exec, exec, s[20:21]
	v_and_b32_e32 v12, 0x3fffffff, v7
	v_add_u32_e32 v5, v12, v5
	v_cmp_gt_i32_e64 s[14:15], -2.0, v7
	s_and_b64 s[20:21], exec, s[14:15]
	s_or_b64 s[18:19], s[20:21], s[18:19]
	s_andn2_b64 exec, exec, s[18:19]
	s_cbranch_execz .LBB170_44
.LBB170_39:                             ; =>This Loop Header: Depth=1
                                        ;     Child Loop BB170_42 Depth 2
	s_or_b64 s[14:15], s[14:15], exec
	s_cmp_eq_u32 s25, 0
	s_cbranch_scc1 .LBB170_43
; %bb.40:                               ;   in Loop: Header=BB170_39 Depth=1
	s_add_i32 s25, s25, -1
	v_lshl_or_b32 v12, s25, 8, v2
	v_lshl_add_u64 v[16:17], v[12:13], 2, s[48:49]
	global_load_dword v7, v[16:17], off sc1
	s_waitcnt vmcnt(0)
	v_cmp_gt_u32_e64 s[14:15], 2.0, v7
	s_and_saveexec_b64 s[20:21], s[14:15]
	s_cbranch_execz .LBB170_38
; %bb.41:                               ;   in Loop: Header=BB170_39 Depth=1
	s_mov_b64 s[22:23], 0
.LBB170_42:                             ;   Parent Loop BB170_39 Depth=1
                                        ; =>  This Inner Loop Header: Depth=2
	global_load_dword v7, v[16:17], off sc1
	s_waitcnt vmcnt(0)
	v_cmp_lt_u32_e64 s[14:15], s24, v7
	s_or_b64 s[22:23], s[14:15], s[22:23]
	s_andn2_b64 exec, exec, s[22:23]
	s_cbranch_execnz .LBB170_42
	s_branch .LBB170_37
.LBB170_43:                             ;   in Loop: Header=BB170_39 Depth=1
                                        ; implicit-def: $sgpr25
	s_and_b64 s[20:21], exec, s[14:15]
	s_or_b64 s[18:19], s[20:21], s[18:19]
	s_andn2_b64 exec, exec, s[18:19]
	s_cbranch_execnz .LBB170_39
.LBB170_44:
	s_or_b64 exec, exec, s[18:19]
	v_add_u32_e32 v12, v5, v10
	v_or_b32_e32 v12, 0x80000000, v12
	v_lshlrev_b32_e32 v7, 3, v2
	global_store_dword v[14:15], v12, off sc1
	global_load_dwordx2 v[12:13], v7, s[28:29]
	v_sub_co_u32_e64 v14, s[14:15], v5, v8
	s_nop 1
	v_subb_co_u32_e64 v15, s[14:15], 0, v9, s[14:15]
	s_waitcnt vmcnt(0)
	v_lshl_add_u64 v[12:13], v[14:15], 0, v[12:13]
	ds_write_b64 v11, v[12:13]
.LBB170_45:
	s_or_b64 exec, exec, s[16:17]
	v_cmp_gt_u32_e64 s[14:15], s33, v2
	s_waitcnt lgkmcnt(0)
	s_barrier
	s_and_saveexec_b64 s[16:17], s[14:15]
	s_cbranch_execz .LBB170_47
; %bb.46:
	ds_read_u8 v5, v2 offset:2048
	s_waitcnt lgkmcnt(0)
	v_and_b32_e32 v7, 1, v5
	v_lshrrev_b32_e32 v7, s44, v7
	v_and_b32_e32 v7, s50, v7
	v_lshlrev_b32_e32 v7, 3, v7
	ds_read_b64 v[12:13], v7
	v_xor_b32_e32 v5, 1, v5
	s_waitcnt lgkmcnt(0)
	v_lshl_add_u64 v[12:13], s[38:39], 0, v[12:13]
	v_lshl_add_u64 v[12:13], v[12:13], 0, v[2:3]
	global_store_byte v[12:13], v5, off
.LBB170_47:
	s_or_b64 exec, exec, s[16:17]
	v_add_u32_e32 v28, 0x200, v2
	v_cmp_gt_u32_e64 s[16:17], s33, v28
	s_and_saveexec_b64 s[18:19], s[16:17]
	s_cbranch_execz .LBB170_49
; %bb.48:
	ds_read_u8 v5, v2 offset:2560
	s_waitcnt lgkmcnt(0)
	v_and_b32_e32 v7, 1, v5
	v_lshrrev_b32_e32 v7, s44, v7
	v_and_b32_e32 v7, s50, v7
	v_lshlrev_b32_e32 v7, 3, v7
	ds_read_b64 v[12:13], v7
	v_xor_b32_e32 v5, 1, v5
	s_waitcnt lgkmcnt(0)
	v_lshl_add_u64 v[12:13], s[38:39], 0, v[12:13]
	v_lshl_add_u64 v[12:13], v[12:13], 0, v[2:3]
	global_store_byte v[12:13], v5, off offset:512
.LBB170_49:
	s_or_b64 exec, exec, s[18:19]
	v_or_b32_e32 v29, 0x400, v2
	v_cmp_gt_u32_e64 s[18:19], s33, v29
	s_and_saveexec_b64 s[20:21], s[18:19]
	s_cbranch_execz .LBB170_51
; %bb.50:
	ds_read_u8 v5, v2 offset:3072
	s_waitcnt lgkmcnt(0)
	v_and_b32_e32 v7, 1, v5
	v_lshrrev_b32_e32 v7, s44, v7
	v_and_b32_e32 v7, s50, v7
	v_lshlrev_b32_e32 v7, 3, v7
	ds_read_b64 v[12:13], v7
	v_xor_b32_e32 v5, 1, v5
	s_waitcnt lgkmcnt(0)
	v_lshl_add_u64 v[12:13], s[38:39], 0, v[12:13]
	v_lshl_add_u64 v[12:13], v[12:13], 0, v[2:3]
	global_store_byte v[12:13], v5, off offset:1024
.LBB170_51:
	s_or_b64 exec, exec, s[20:21]
	v_add_u32_e32 v30, 0x600, v2
	v_cmp_gt_u32_e64 s[20:21], s33, v30
	s_and_saveexec_b64 s[22:23], s[20:21]
	s_cbranch_execz .LBB170_53
; %bb.52:
	ds_read_u8 v5, v2 offset:3584
	s_waitcnt lgkmcnt(0)
	v_and_b32_e32 v7, 1, v5
	v_lshrrev_b32_e32 v7, s44, v7
	v_and_b32_e32 v7, s50, v7
	v_lshlrev_b32_e32 v7, 3, v7
	ds_read_b64 v[12:13], v7
	v_xor_b32_e32 v5, 1, v5
	s_waitcnt lgkmcnt(0)
	v_lshl_add_u64 v[12:13], s[38:39], 0, v[12:13]
	v_lshl_add_u64 v[12:13], v[12:13], 0, v[2:3]
	global_store_byte v[12:13], v5, off offset:1536
.LBB170_53:
	s_or_b64 exec, exec, s[22:23]
	v_or_b32_e32 v31, 0x800, v2
	v_cmp_gt_u32_e64 s[22:23], s33, v31
	s_and_saveexec_b64 s[24:25], s[22:23]
	s_cbranch_execz .LBB170_55
; %bb.54:
	ds_read_u8 v5, v2 offset:4096
	s_waitcnt lgkmcnt(0)
	v_and_b32_e32 v7, 1, v5
	v_lshrrev_b32_e32 v7, s44, v7
	v_and_b32_e32 v7, s50, v7
	v_lshlrev_b32_e32 v7, 3, v7
	ds_read_b64 v[12:13], v7
	v_xor_b32_e32 v5, 1, v5
	s_waitcnt lgkmcnt(0)
	v_lshl_add_u64 v[12:13], s[38:39], 0, v[12:13]
	v_lshl_add_u64 v[12:13], v[12:13], 0, v[2:3]
	global_store_byte v[12:13], v5, off offset:2048
.LBB170_55:
	s_or_b64 exec, exec, s[24:25]
	v_add_u32_e32 v32, 0xa00, v2
	v_cmp_gt_u32_e64 s[24:25], s33, v32
	s_and_saveexec_b64 s[46:47], s[24:25]
	s_cbranch_execz .LBB170_57
; %bb.56:
	ds_read_u8 v5, v2 offset:4608
	s_waitcnt lgkmcnt(0)
	v_and_b32_e32 v7, 1, v5
	v_lshrrev_b32_e32 v7, s44, v7
	v_and_b32_e32 v7, s50, v7
	v_lshlrev_b32_e32 v7, 3, v7
	ds_read_b64 v[12:13], v7
	v_xor_b32_e32 v5, 1, v5
	s_waitcnt lgkmcnt(0)
	v_lshl_add_u64 v[12:13], s[38:39], 0, v[12:13]
	v_lshl_add_u64 v[12:13], v[12:13], 0, v[2:3]
	global_store_byte v[12:13], v5, off offset:2560
.LBB170_57:
	s_or_b64 exec, exec, s[46:47]
	s_lshl_b64 s[46:47], s[34:35], 3
	s_add_u32 s46, s40, s46
	s_addc_u32 s47, s41, s47
	v_lshlrev_b32_e32 v6, 3, v6
	v_mov_b32_e32 v7, 0
	v_lshl_add_u64 v[12:13], s[46:47], 0, v[6:7]
	v_lshlrev_b32_e32 v6, 3, v4
	v_lshl_add_u64 v[20:21], v[12:13], 0, v[6:7]
                                        ; implicit-def: $vgpr4_vgpr5
	s_and_saveexec_b64 s[46:47], vcc
	s_xor_b64 s[46:47], exec, s[46:47]
	s_cbranch_execz .LBB170_63
; %bb.58:
	global_load_dwordx2 v[4:5], v[20:21], off
	s_or_b64 exec, exec, s[46:47]
                                        ; implicit-def: $vgpr6_vgpr7
	s_and_saveexec_b64 s[46:47], s[26:27]
	s_cbranch_execnz .LBB170_64
.LBB170_59:
	s_or_b64 exec, exec, s[46:47]
                                        ; implicit-def: $vgpr12_vgpr13
	s_and_saveexec_b64 s[26:27], s[4:5]
	s_cbranch_execz .LBB170_65
.LBB170_60:
	global_load_dwordx2 v[12:13], v[20:21], off offset:1024
	s_or_b64 exec, exec, s[26:27]
                                        ; implicit-def: $vgpr14_vgpr15
	s_and_saveexec_b64 s[4:5], s[6:7]
	s_cbranch_execnz .LBB170_66
.LBB170_61:
	s_or_b64 exec, exec, s[4:5]
                                        ; implicit-def: $vgpr16_vgpr17
	s_and_saveexec_b64 s[4:5], s[8:9]
	s_cbranch_execz .LBB170_67
.LBB170_62:
	global_load_dwordx2 v[16:17], v[20:21], off offset:2048
	s_or_b64 exec, exec, s[4:5]
                                        ; implicit-def: $vgpr18_vgpr19
	s_and_saveexec_b64 s[4:5], s[10:11]
	s_cbranch_execnz .LBB170_68
	s_branch .LBB170_69
.LBB170_63:
	s_or_b64 exec, exec, s[46:47]
                                        ; implicit-def: $vgpr6_vgpr7
	s_and_saveexec_b64 s[46:47], s[26:27]
	s_cbranch_execz .LBB170_59
.LBB170_64:
	global_load_dwordx2 v[6:7], v[20:21], off offset:512
	s_or_b64 exec, exec, s[46:47]
                                        ; implicit-def: $vgpr12_vgpr13
	s_and_saveexec_b64 s[26:27], s[4:5]
	s_cbranch_execnz .LBB170_60
.LBB170_65:
	s_or_b64 exec, exec, s[26:27]
                                        ; implicit-def: $vgpr14_vgpr15
	s_and_saveexec_b64 s[4:5], s[6:7]
	s_cbranch_execz .LBB170_61
.LBB170_66:
	global_load_dwordx2 v[14:15], v[20:21], off offset:1536
	s_or_b64 exec, exec, s[4:5]
                                        ; implicit-def: $vgpr16_vgpr17
	s_and_saveexec_b64 s[4:5], s[8:9]
	s_cbranch_execnz .LBB170_62
.LBB170_67:
	s_or_b64 exec, exec, s[4:5]
                                        ; implicit-def: $vgpr18_vgpr19
	s_and_saveexec_b64 s[4:5], s[10:11]
	s_cbranch_execz .LBB170_69
.LBB170_68:
	global_load_dwordx2 v[18:19], v[20:21], off offset:2560
.LBB170_69:
	s_or_b64 exec, exec, s[4:5]
	v_mov_b32_e32 v34, 0
	v_mov_b32_e32 v3, 0
	s_and_saveexec_b64 s[4:5], s[14:15]
	s_cbranch_execz .LBB170_71
; %bb.70:
	ds_read_u8 v3, v2 offset:2048
	s_waitcnt lgkmcnt(0)
	v_lshrrev_b32_e32 v3, s44, v3
	v_and_b32_e32 v3, s50, v3
.LBB170_71:
	s_or_b64 exec, exec, s[4:5]
	s_and_saveexec_b64 s[4:5], s[16:17]
	s_cbranch_execz .LBB170_73
; %bb.72:
	ds_read_u8 v20, v2 offset:2560
	s_waitcnt lgkmcnt(0)
	v_lshrrev_b32_e32 v20, s44, v20
	v_and_b32_e32 v34, s50, v20
.LBB170_73:
	s_or_b64 exec, exec, s[4:5]
	v_mov_b32_e32 v21, 0
	v_mov_b32_e32 v35, 0
	s_and_saveexec_b64 s[4:5], s[18:19]
	s_cbranch_execz .LBB170_75
; %bb.74:
	ds_read_u8 v20, v2 offset:3072
	s_waitcnt lgkmcnt(0)
	v_lshrrev_b32_e32 v20, s44, v20
	v_and_b32_e32 v35, s50, v20
.LBB170_75:
	s_or_b64 exec, exec, s[4:5]
	s_and_saveexec_b64 s[4:5], s[20:21]
	s_cbranch_execz .LBB170_77
; %bb.76:
	ds_read_u8 v20, v2 offset:3584
	s_waitcnt lgkmcnt(0)
	v_lshrrev_b32_e32 v20, s44, v20
	v_and_b32_e32 v21, s50, v20
.LBB170_77:
	;; [unrolled: 20-line block ×3, first 2 shown]
	s_or_b64 exec, exec, s[4:5]
	v_lshlrev_b32_e32 v27, 3, v27
	s_barrier
	s_waitcnt vmcnt(0)
	ds_write_b64 v27, v[4:5] offset:2048
	v_lshlrev_b32_e32 v4, 3, v26
	ds_write_b64 v4, v[6:7] offset:2048
	v_lshlrev_b32_e32 v4, 3, v25
	;; [unrolled: 2-line block ×5, first 2 shown]
	v_lshlrev_b32_e32 v2, 3, v2
	ds_write_b64 v4, v[18:19] offset:2048
	s_waitcnt lgkmcnt(0)
	s_barrier
	s_and_saveexec_b64 s[4:5], s[14:15]
	s_cbranch_execz .LBB170_87
; %bb.82:
	v_lshlrev_b32_e32 v3, 3, v3
	ds_read_b64 v[4:5], v3
	ds_read_b64 v[6:7], v11 offset:2048
	v_mov_b32_e32 v3, 0
	s_waitcnt lgkmcnt(1)
	v_lshl_add_u64 v[4:5], v[4:5], 3, s[42:43]
	v_lshl_add_u64 v[4:5], v[4:5], 0, v[2:3]
	s_waitcnt lgkmcnt(0)
	global_store_dwordx2 v[4:5], v[6:7], off
	s_or_b64 exec, exec, s[4:5]
	s_and_saveexec_b64 s[4:5], s[16:17]
	s_cbranch_execnz .LBB170_88
.LBB170_83:
	s_or_b64 exec, exec, s[4:5]
	s_and_saveexec_b64 s[4:5], s[18:19]
	s_cbranch_execz .LBB170_89
.LBB170_84:
	v_lshlrev_b32_e32 v3, 3, v35
	ds_read_b64 v[4:5], v3
	ds_read_b64 v[6:7], v11 offset:10240
	v_lshlrev_b32_e32 v12, 3, v29
	v_mov_b32_e32 v13, 0
	s_waitcnt lgkmcnt(1)
	v_lshl_add_u64 v[4:5], v[4:5], 3, s[42:43]
	v_lshl_add_u64 v[4:5], v[4:5], 0, v[12:13]
	s_waitcnt lgkmcnt(0)
	global_store_dwordx2 v[4:5], v[6:7], off
	s_or_b64 exec, exec, s[4:5]
	s_and_saveexec_b64 s[4:5], s[20:21]
	s_cbranch_execnz .LBB170_90
.LBB170_85:
	s_or_b64 exec, exec, s[4:5]
	s_and_saveexec_b64 s[4:5], s[22:23]
	s_cbranch_execz .LBB170_91
.LBB170_86:
	v_lshlrev_b32_e32 v3, 3, v33
	ds_read_b64 v[4:5], v3
	ds_read_b64 v[6:7], v11 offset:18432
	v_lshlrev_b32_e32 v12, 3, v31
	v_mov_b32_e32 v13, 0
	s_waitcnt lgkmcnt(1)
	v_lshl_add_u64 v[4:5], v[4:5], 3, s[42:43]
	v_lshl_add_u64 v[4:5], v[4:5], 0, v[12:13]
	s_waitcnt lgkmcnt(0)
	global_store_dwordx2 v[4:5], v[6:7], off
	s_or_b64 exec, exec, s[4:5]
	s_and_saveexec_b64 s[4:5], s[24:25]
	s_cbranch_execnz .LBB170_92
	s_branch .LBB170_93
.LBB170_87:
	s_or_b64 exec, exec, s[4:5]
	s_and_saveexec_b64 s[4:5], s[16:17]
	s_cbranch_execz .LBB170_83
.LBB170_88:
	v_lshlrev_b32_e32 v3, 3, v34
	ds_read_b64 v[4:5], v3
	ds_read_b64 v[6:7], v11 offset:6144
	v_lshlrev_b32_e32 v12, 3, v28
	v_mov_b32_e32 v13, 0
	s_waitcnt lgkmcnt(1)
	v_lshl_add_u64 v[4:5], v[4:5], 3, s[42:43]
	v_lshl_add_u64 v[4:5], v[4:5], 0, v[12:13]
	s_waitcnt lgkmcnt(0)
	global_store_dwordx2 v[4:5], v[6:7], off
	s_or_b64 exec, exec, s[4:5]
	s_and_saveexec_b64 s[4:5], s[18:19]
	s_cbranch_execnz .LBB170_84
.LBB170_89:
	s_or_b64 exec, exec, s[4:5]
	s_and_saveexec_b64 s[4:5], s[20:21]
	s_cbranch_execz .LBB170_85
.LBB170_90:
	v_lshlrev_b32_e32 v3, 3, v21
	ds_read_b64 v[4:5], v3
	ds_read_b64 v[6:7], v11 offset:14336
	v_lshlrev_b32_e32 v12, 3, v30
	v_mov_b32_e32 v13, 0
	s_waitcnt lgkmcnt(1)
	v_lshl_add_u64 v[4:5], v[4:5], 3, s[42:43]
	v_lshl_add_u64 v[4:5], v[4:5], 0, v[12:13]
	s_waitcnt lgkmcnt(0)
	global_store_dwordx2 v[4:5], v[6:7], off
	s_or_b64 exec, exec, s[4:5]
	s_and_saveexec_b64 s[4:5], s[22:23]
	s_cbranch_execnz .LBB170_86
.LBB170_91:
	s_or_b64 exec, exec, s[4:5]
	s_and_saveexec_b64 s[4:5], s[24:25]
	s_cbranch_execz .LBB170_93
.LBB170_92:
	v_lshlrev_b32_e32 v3, 3, v20
	ds_read_b64 v[4:5], v3
	ds_read_b64 v[6:7], v11 offset:22528
	v_lshlrev_b32_e32 v12, 3, v32
	v_mov_b32_e32 v13, 0
	s_waitcnt lgkmcnt(1)
	v_lshl_add_u64 v[4:5], v[4:5], 3, s[42:43]
	v_lshl_add_u64 v[4:5], v[4:5], 0, v[12:13]
	s_waitcnt lgkmcnt(0)
	global_store_dwordx2 v[4:5], v[6:7], off
.LBB170_93:
	s_or_b64 exec, exec, s[4:5]
	s_add_i32 s3, s3, -1
	s_cmp_eq_u32 s2, s3
	s_cselect_b64 s[4:5], -1, 0
	s_xor_b64 s[6:7], s[12:13], -1
	s_and_b64 s[6:7], s[6:7], s[4:5]
	s_and_saveexec_b64 s[4:5], s[6:7]
	s_cbranch_execz .LBB170_95
; %bb.94:
	ds_read_b64 v[4:5], v11
	v_mov_b32_e32 v11, 0
	v_lshl_add_u64 v[6:7], v[8:9], 0, v[10:11]
	s_waitcnt lgkmcnt(0)
	v_lshl_add_u64 v[4:5], v[6:7], 0, v[4:5]
	global_store_dwordx2 v2, v[4:5], s[30:31]
.LBB170_95:
	s_or_b64 exec, exec, s[4:5]
	s_mov_b64 s[4:5], 0
.LBB170_96:
	s_and_b64 vcc, exec, s[4:5]
	s_cbranch_vccz .LBB170_131
; %bb.97:
	s_add_u32 s4, s36, s34
	s_addc_u32 s5, s37, 0
	v_mbcnt_hi_u32_b32 v6, -1, v1
	v_and_b32_e32 v13, 0x1c0, v0
	v_mov_b32_e32 v7, 0
	v_mul_u32_u24_e32 v4, 6, v13
	v_lshl_add_u64 v[2:3], s[4:5], 0, v[6:7]
	v_mov_b32_e32 v5, v7
	v_lshl_add_u64 v[2:3], v[2:3], 0, v[4:5]
	global_load_ubyte v1, v[2:3], off
	s_load_dword s3, s[0:1], 0x50
	s_load_dword s6, s[0:1], 0x5c
	global_load_ubyte v9, v[2:3], off offset:64
	global_load_ubyte v8, v[2:3], off offset:128
	;; [unrolled: 1-line block ×5, first 2 shown]
	v_and_b32_e32 v2, 0x3ff, v0
	v_bfe_u32 v5, v0, 10, 10
	v_bfe_u32 v0, v0, 20, 10
	s_mov_b32 s35, 0
	v_mul_u32_u24_e32 v10, 20, v2
	s_waitcnt vmcnt(5)
	v_and_b32_e32 v1, 1, v1
	v_cmp_eq_u32_e32 vcc, 1, v1
	s_xor_b64 s[4:5], vcc, -1
	s_add_u32 s0, s0, 0x50
	s_addc_u32 s1, s1, 0
	s_waitcnt lgkmcnt(0)
	s_lshr_b32 s6, s6, 16
	s_cmp_lt_u32 s2, s3
	s_cselect_b32 s7, 12, 18
	s_add_u32 s0, s0, s7
	s_addc_u32 s1, s1, 0
	global_load_ushort v11, v7, s[0:1]
	v_cndmask_b32_e64 v3, 0, 1, s[4:5]
	v_lshrrev_b32_e32 v12, s44, v3
	s_lshl_b32 s0, -1, s45
	v_mov_b32_e32 v1, v7
	v_mad_u32_u24 v14, v0, s6, v5
	v_bitop3_b32 v0, v12, s0, v12 bitop3:0x30
	v_mul_u32_u24_e32 v12, 36, v0
	v_cmp_ne_u32_e32 vcc, 0, v0
	v_lshl_add_u64 v[0:1], v[0:1], 0, -1
	s_not_b32 s12, s0
	v_xor_b32_e32 v0, vcc_lo, v0
	v_xor_b32_e32 v1, vcc_hi, v1
	v_and_b32_e32 v0, exec_lo, v0
	v_and_b32_e32 v1, exec_hi, v1
	v_mbcnt_lo_u32_b32 v5, v0, 0
	v_mbcnt_hi_u32_b32 v5, v1, v5
	v_cmp_ne_u64_e32 vcc, 0, v[0:1]
	v_cmp_eq_u32_e64 s[0:1], 0, v5
	ds_write2_b32 v10, v7, v7 offset0:8 offset1:9
	ds_write2_b32 v10, v7, v7 offset0:10 offset1:11
	ds_write_b32 v10, v7 offset:48
	s_waitcnt lgkmcnt(0)
	s_barrier
	s_waitcnt vmcnt(0)
	; wave barrier
	v_mad_u64_u32 v[14:15], s[4:5], v14, v11, v[2:3]
	v_lshrrev_b32_e32 v11, 4, v14
	v_and_b32_e32 v27, 0xffffffc, v11
	s_and_b64 s[4:5], vcc, s[0:1]
	v_add_u32_e32 v15, v27, v12
	s_and_saveexec_b64 s[0:1], s[4:5]
; %bb.98:
	v_bcnt_u32_b32 v0, v0, 0
	v_bcnt_u32_b32 v0, v1, v0
	ds_write_b32 v15, v0 offset:32
; %bb.99:
	s_or_b64 exec, exec, s[0:1]
	v_and_b32_e32 v0, 1, v9
	v_cmp_eq_u32_e32 vcc, 1, v0
	s_xor_b64 s[0:1], vcc, -1
	v_cndmask_b32_e64 v11, 0, 1, s[0:1]
	v_lshrrev_b32_e32 v0, s44, v11
	v_and_b32_e32 v0, s12, v0
	v_mad_u32_u24 v1, v0, 36, v27
	; wave barrier
	ds_read_b32 v12, v1 offset:32
	v_mov_b32_e32 v1, v7
	v_mul_u32_u24_e32 v9, 36, v0
	v_cmp_ne_u32_e32 vcc, 0, v0
	v_lshl_add_u64 v[0:1], v[0:1], 0, -1
	v_add_u32_e32 v18, v27, v9
	v_xor_b32_e32 v0, vcc_lo, v0
	v_xor_b32_e32 v1, vcc_hi, v1
	v_and_b32_e32 v0, exec_lo, v0
	v_and_b32_e32 v1, exec_hi, v1
	v_mbcnt_lo_u32_b32 v7, v0, 0
	v_mbcnt_hi_u32_b32 v7, v1, v7
	v_cmp_eq_u32_e32 vcc, 0, v7
	v_cmp_ne_u64_e64 s[0:1], 0, v[0:1]
	s_and_b64 s[4:5], s[0:1], vcc
	; wave barrier
	s_and_saveexec_b64 s[0:1], s[4:5]
	s_cbranch_execz .LBB170_101
; %bb.100:
	v_bcnt_u32_b32 v0, v0, 0
	v_bcnt_u32_b32 v0, v1, v0
	s_waitcnt lgkmcnt(0)
	v_add_u32_e32 v0, v12, v0
	ds_write_b32 v18, v0 offset:32
.LBB170_101:
	s_or_b64 exec, exec, s[0:1]
	v_and_b32_e32 v0, 1, v8
	v_cmp_eq_u32_e32 vcc, 1, v0
	s_xor_b64 s[0:1], vcc, -1
	v_cndmask_b32_e64 v14, 0, 1, s[0:1]
	v_lshrrev_b32_e32 v0, s44, v14
	v_and_b32_e32 v0, s12, v0
	v_mad_u32_u24 v1, v0, 36, v27
	; wave barrier
	ds_read_b32 v16, v1 offset:32
	v_mov_b32_e32 v1, 0
	v_cmp_ne_u32_e32 vcc, 0, v0
	v_lshl_add_u64 v[8:9], v[0:1], 0, -1
	v_mul_u32_u24_e32 v20, 36, v0
	v_xor_b32_e32 v8, vcc_lo, v8
	v_xor_b32_e32 v0, vcc_hi, v9
	v_and_b32_e32 v8, exec_lo, v8
	v_and_b32_e32 v9, exec_hi, v0
	v_mbcnt_lo_u32_b32 v0, v8, 0
	v_mbcnt_hi_u32_b32 v17, v9, v0
	v_cmp_eq_u32_e32 vcc, 0, v17
	v_cmp_ne_u64_e64 s[0:1], 0, v[8:9]
	s_and_b64 s[4:5], s[0:1], vcc
	v_add_u32_e32 v24, v27, v20
	; wave barrier
	s_and_saveexec_b64 s[0:1], s[4:5]
	s_cbranch_execz .LBB170_103
; %bb.102:
	v_bcnt_u32_b32 v0, v8, 0
	v_bcnt_u32_b32 v0, v9, v0
	s_waitcnt lgkmcnt(0)
	v_add_u32_e32 v0, v16, v0
	ds_write_b32 v24, v0 offset:32
.LBB170_103:
	s_or_b64 exec, exec, s[0:1]
	v_and_b32_e32 v0, 1, v19
	v_cmp_eq_u32_e32 vcc, 1, v0
	s_xor_b64 s[0:1], vcc, -1
	v_cndmask_b32_e64 v19, 0, 1, s[0:1]
	v_lshrrev_b32_e32 v0, s44, v19
	v_and_b32_e32 v0, s12, v0
	v_mul_u32_u24_e32 v8, 36, v0
	v_mad_u32_u24 v9, v0, 36, v27
	v_cmp_ne_u32_e32 vcc, 0, v0
	v_lshl_add_u64 v[0:1], v[0:1], 0, -1
	s_nop 0
	v_xor_b32_e32 v0, vcc_lo, v0
	; wave barrier
	ds_read_b32 v20, v9 offset:32
	v_xor_b32_e32 v1, vcc_hi, v1
	v_and_b32_e32 v0, exec_lo, v0
	v_and_b32_e32 v1, exec_hi, v1
	v_mbcnt_lo_u32_b32 v9, v0, 0
	v_mbcnt_hi_u32_b32 v21, v1, v9
	v_cmp_eq_u32_e32 vcc, 0, v21
	v_cmp_ne_u64_e64 s[0:1], 0, v[0:1]
	s_and_b64 s[4:5], s[0:1], vcc
	v_add_u32_e32 v28, v27, v8
	; wave barrier
	s_and_saveexec_b64 s[0:1], s[4:5]
	s_cbranch_execz .LBB170_105
; %bb.104:
	v_bcnt_u32_b32 v0, v0, 0
	v_bcnt_u32_b32 v0, v1, v0
	s_waitcnt lgkmcnt(0)
	v_add_u32_e32 v0, v20, v0
	ds_write_b32 v28, v0 offset:32
.LBB170_105:
	s_or_b64 exec, exec, s[0:1]
	v_and_b32_e32 v0, 1, v23
	v_cmp_eq_u32_e32 vcc, 1, v0
	s_xor_b64 s[0:1], vcc, -1
	v_cndmask_b32_e64 v23, 0, 1, s[0:1]
	v_lshrrev_b32_e32 v0, s44, v23
	v_and_b32_e32 v0, s12, v0
	v_mad_u32_u24 v1, v0, 36, v27
	; wave barrier
	ds_read_b32 v25, v1 offset:32
	v_mov_b32_e32 v1, 0
	v_cmp_ne_u32_e32 vcc, 0, v0
	v_lshl_add_u64 v[8:9], v[0:1], 0, -1
	v_mul_u32_u24_e32 v29, 36, v0
	v_xor_b32_e32 v8, vcc_lo, v8
	v_xor_b32_e32 v0, vcc_hi, v9
	v_and_b32_e32 v8, exec_lo, v8
	v_and_b32_e32 v9, exec_hi, v0
	v_mbcnt_lo_u32_b32 v0, v8, 0
	v_mbcnt_hi_u32_b32 v26, v9, v0
	v_cmp_eq_u32_e32 vcc, 0, v26
	v_cmp_ne_u64_e64 s[0:1], 0, v[8:9]
	s_and_b64 s[4:5], s[0:1], vcc
	v_add_u32_e32 v32, v27, v29
	; wave barrier
	s_and_saveexec_b64 s[0:1], s[4:5]
	s_cbranch_execz .LBB170_107
; %bb.106:
	v_bcnt_u32_b32 v0, v8, 0
	v_bcnt_u32_b32 v0, v9, v0
	s_waitcnt lgkmcnt(0)
	v_add_u32_e32 v0, v25, v0
	ds_write_b32 v32, v0 offset:32
.LBB170_107:
	s_or_b64 exec, exec, s[0:1]
	v_and_b32_e32 v0, 1, v22
	v_cmp_eq_u32_e32 vcc, 1, v0
	s_xor_b64 s[0:1], vcc, -1
	v_cndmask_b32_e64 v29, 0, 1, s[0:1]
	v_lshrrev_b32_e32 v0, s44, v29
	v_and_b32_e32 v0, s12, v0
	v_mul_u32_u24_e32 v8, 36, v0
	v_mad_u32_u24 v9, v0, 36, v27
	v_cmp_ne_u32_e32 vcc, 0, v0
	v_lshl_add_u64 v[0:1], v[0:1], 0, -1
	s_nop 0
	v_xor_b32_e32 v0, vcc_lo, v0
	; wave barrier
	ds_read_b32 v30, v9 offset:32
	v_xor_b32_e32 v1, vcc_hi, v1
	v_and_b32_e32 v0, exec_lo, v0
	v_and_b32_e32 v1, exec_hi, v1
	v_mbcnt_lo_u32_b32 v9, v0, 0
	v_mbcnt_hi_u32_b32 v31, v1, v9
	v_cmp_eq_u32_e32 vcc, 0, v31
	v_cmp_ne_u64_e64 s[0:1], 0, v[0:1]
	s_and_b64 s[4:5], s[0:1], vcc
	v_add_u32_e32 v22, v27, v8
	; wave barrier
	s_and_saveexec_b64 s[0:1], s[4:5]
	s_cbranch_execz .LBB170_109
; %bb.108:
	v_bcnt_u32_b32 v0, v0, 0
	v_bcnt_u32_b32 v0, v1, v0
	s_waitcnt lgkmcnt(0)
	v_add_u32_e32 v0, v30, v0
	ds_write_b32 v22, v0 offset:32
.LBB170_109:
	s_or_b64 exec, exec, s[0:1]
	; wave barrier
	s_waitcnt lgkmcnt(0)
	s_barrier
	ds_read2_b32 v[8:9], v10 offset0:8 offset1:9
	ds_read2_b32 v[0:1], v10 offset0:10 offset1:11
	ds_read_b32 v27, v10 offset:48
	v_min_u32_e32 v13, 0x1c0, v13
	v_or_b32_e32 v13, 63, v13
	s_waitcnt lgkmcnt(1)
	v_add3_u32 v33, v9, v8, v0
	s_waitcnt lgkmcnt(0)
	v_add3_u32 v27, v33, v1, v27
	v_and_b32_e32 v33, 15, v6
	v_cmp_ne_u32_e32 vcc, 0, v33
	v_mov_b32_dpp v34, v27 row_shr:1 row_mask:0xf bank_mask:0xf
	s_nop 0
	v_cndmask_b32_e32 v34, 0, v34, vcc
	v_add_u32_e32 v27, v34, v27
	v_cmp_lt_u32_e32 vcc, 1, v33
	s_nop 0
	v_mov_b32_dpp v34, v27 row_shr:2 row_mask:0xf bank_mask:0xf
	v_cndmask_b32_e32 v34, 0, v34, vcc
	v_add_u32_e32 v27, v27, v34
	v_cmp_lt_u32_e32 vcc, 3, v33
	s_nop 0
	v_mov_b32_dpp v34, v27 row_shr:4 row_mask:0xf bank_mask:0xf
	;; [unrolled: 5-line block ×3, first 2 shown]
	v_cndmask_b32_e32 v33, 0, v34, vcc
	v_add_u32_e32 v27, v27, v33
	v_bfe_i32 v34, v6, 4, 1
	v_cmp_lt_u32_e32 vcc, 31, v6
	v_mov_b32_dpp v33, v27 row_bcast:15 row_mask:0xf bank_mask:0xf
	v_and_b32_e32 v33, v34, v33
	v_add_u32_e32 v27, v27, v33
	s_nop 1
	v_mov_b32_dpp v33, v27 row_bcast:31 row_mask:0xf bank_mask:0xf
	v_cndmask_b32_e32 v33, 0, v33, vcc
	v_add_u32_e32 v27, v27, v33
	v_lshrrev_b32_e32 v33, 6, v2
	v_cmp_eq_u32_e32 vcc, v2, v13
	s_and_saveexec_b64 s[0:1], vcc
; %bb.110:
	v_lshlrev_b32_e32 v13, 2, v33
	ds_write_b32 v13, v27
; %bb.111:
	s_or_b64 exec, exec, s[0:1]
	v_cmp_gt_u32_e32 vcc, 8, v2
	s_waitcnt lgkmcnt(0)
	s_barrier
	s_and_saveexec_b64 s[0:1], vcc
	s_cbranch_execz .LBB170_113
; %bb.112:
	v_lshlrev_b32_e32 v13, 2, v2
	ds_read_b32 v34, v13
	v_and_b32_e32 v35, 7, v6
	v_cmp_ne_u32_e32 vcc, 0, v35
	s_waitcnt lgkmcnt(0)
	v_mov_b32_dpp v36, v34 row_shr:1 row_mask:0xf bank_mask:0xf
	v_cndmask_b32_e32 v36, 0, v36, vcc
	v_add_u32_e32 v34, v36, v34
	v_cmp_lt_u32_e32 vcc, 1, v35
	s_nop 0
	v_mov_b32_dpp v36, v34 row_shr:2 row_mask:0xf bank_mask:0xf
	v_cndmask_b32_e32 v36, 0, v36, vcc
	v_add_u32_e32 v34, v34, v36
	v_cmp_lt_u32_e32 vcc, 3, v35
	s_nop 0
	v_mov_b32_dpp v36, v34 row_shr:4 row_mask:0xf bank_mask:0xf
	v_cndmask_b32_e32 v35, 0, v36, vcc
	v_add_u32_e32 v34, v34, v35
	ds_write_b32 v13, v34
.LBB170_113:
	s_or_b64 exec, exec, s[0:1]
	v_cmp_lt_u32_e32 vcc, 63, v2
	v_mov_b32_e32 v13, 0
	s_waitcnt lgkmcnt(0)
	s_barrier
	s_and_saveexec_b64 s[0:1], vcc
; %bb.114:
	v_lshl_add_u32 v13, v33, 2, -4
	ds_read_b32 v13, v13
; %bb.115:
	s_or_b64 exec, exec, s[0:1]
	v_subrev_co_u32_e32 v33, vcc, 1, v6
	v_and_b32_e32 v34, 64, v6
	v_cmp_lt_i32_e64 s[0:1], v33, v34
	s_waitcnt lgkmcnt(0)
	v_add_u32_e32 v27, v13, v27
	s_movk_i32 s4, 0x100
	v_cndmask_b32_e64 v33, v33, v6, s[0:1]
	v_lshlrev_b32_e32 v33, 2, v33
	ds_bpermute_b32 v27, v33, v27
	s_movk_i32 s0, 0xff
	s_waitcnt lgkmcnt(0)
	v_cndmask_b32_e32 v13, v27, v13, vcc
	v_cmp_ne_u32_e32 vcc, 0, v2
	s_nop 1
	v_cndmask_b32_e32 v13, 0, v13, vcc
	v_add_u32_e32 v8, v13, v8
	v_add_u32_e32 v9, v8, v9
	v_add_u32_e32 v0, v9, v0
	v_add_u32_e32 v1, v0, v1
	ds_write2_b32 v10, v13, v8 offset0:8 offset1:9
	ds_write2_b32 v10, v9, v0 offset0:10 offset1:11
	ds_write_b32 v10, v1 offset:48
	s_waitcnt lgkmcnt(0)
	s_barrier
	ds_read_b32 v9, v15 offset:32
	ds_read_b32 v10, v18 offset:32
	;; [unrolled: 1-line block ×6, first 2 shown]
	v_cmp_lt_u32_e32 vcc, s0, v2
	v_cmp_gt_u32_e64 s[0:1], s4, v2
	v_mov_b64_e32 v[0:1], 0
                                        ; implicit-def: $vgpr8
	s_and_saveexec_b64 s[6:7], s[0:1]
	s_cbranch_execz .LBB170_119
; %bb.116:
	v_mul_u32_u24_e32 v0, 36, v2
	ds_read_b32 v0, v0 offset:32
	v_add_u32_e32 v8, 1, v2
	v_cmp_ne_u32_e64 s[4:5], s4, v8
	v_mov_b32_e32 v1, 0xc00
	s_and_saveexec_b64 s[8:9], s[4:5]
; %bb.117:
	v_mul_u32_u24_e32 v1, 36, v8
	ds_read_b32 v1, v1 offset:32
; %bb.118:
	s_or_b64 exec, exec, s[8:9]
	s_waitcnt lgkmcnt(0)
	v_sub_u32_e32 v8, v1, v0
	v_mov_b32_e32 v1, 0
.LBB170_119:
	s_or_b64 exec, exec, s[6:7]
	s_waitcnt lgkmcnt(5)
	v_add_u32_e32 v24, v9, v5
	s_waitcnt lgkmcnt(4)
	v_add3_u32 v22, v7, v12, v10
	s_waitcnt lgkmcnt(3)
	v_add3_u32 v18, v17, v16, v13
	;; [unrolled: 2-line block ×5, first 2 shown]
	s_barrier
	ds_write_b8 v24, v3 offset:2048
	ds_write_b8 v22, v11 offset:2048
	;; [unrolled: 1-line block ×6, first 2 shown]
	v_mov_b32_e32 v11, 0
	v_mov_b32_e32 v3, v11
	v_lshlrev_b32_e32 v5, 3, v2
	s_waitcnt lgkmcnt(0)
	s_barrier
	s_and_saveexec_b64 s[4:5], s[0:1]
	s_cbranch_execz .LBB170_129
; %bb.120:
	v_lshl_add_u32 v10, s2, 8, v2
	v_lshl_add_u64 v[12:13], v[10:11], 2, s[48:49]
	v_or_b32_e32 v7, 2.0, v8
	global_store_dword v[12:13], v7, off sc1
	s_mov_b64 s[6:7], 0
	s_brev_b32 s13, -4
	s_mov_b32 s14, s2
	v_mov_b32_e32 v7, 0
                                        ; implicit-def: $sgpr0_sgpr1
	s_branch .LBB170_123
.LBB170_121:                            ;   in Loop: Header=BB170_123 Depth=1
	s_or_b64 exec, exec, s[10:11]
.LBB170_122:                            ;   in Loop: Header=BB170_123 Depth=1
	s_or_b64 exec, exec, s[8:9]
	v_and_b32_e32 v14, 0x3fffffff, v10
	v_add_u32_e32 v7, v14, v7
	v_cmp_gt_i32_e64 s[0:1], -2.0, v10
	s_and_b64 s[8:9], exec, s[0:1]
	s_or_b64 s[6:7], s[8:9], s[6:7]
	s_andn2_b64 exec, exec, s[6:7]
	s_cbranch_execz .LBB170_128
.LBB170_123:                            ; =>This Loop Header: Depth=1
                                        ;     Child Loop BB170_126 Depth 2
	s_or_b64 s[0:1], s[0:1], exec
	s_cmp_eq_u32 s14, 0
	s_cbranch_scc1 .LBB170_127
; %bb.124:                              ;   in Loop: Header=BB170_123 Depth=1
	s_add_i32 s14, s14, -1
	v_lshl_or_b32 v10, s14, 8, v2
	v_lshl_add_u64 v[14:15], v[10:11], 2, s[48:49]
	global_load_dword v10, v[14:15], off sc1
	s_waitcnt vmcnt(0)
	v_cmp_gt_u32_e64 s[0:1], 2.0, v10
	s_and_saveexec_b64 s[8:9], s[0:1]
	s_cbranch_execz .LBB170_122
; %bb.125:                              ;   in Loop: Header=BB170_123 Depth=1
	s_mov_b64 s[10:11], 0
.LBB170_126:                            ;   Parent Loop BB170_123 Depth=1
                                        ; =>  This Inner Loop Header: Depth=2
	global_load_dword v10, v[14:15], off sc1
	s_waitcnt vmcnt(0)
	v_cmp_lt_u32_e64 s[0:1], s13, v10
	s_or_b64 s[10:11], s[0:1], s[10:11]
	s_andn2_b64 exec, exec, s[10:11]
	s_cbranch_execnz .LBB170_126
	s_branch .LBB170_121
.LBB170_127:                            ;   in Loop: Header=BB170_123 Depth=1
                                        ; implicit-def: $sgpr14
	s_and_b64 s[8:9], exec, s[0:1]
	s_or_b64 s[6:7], s[8:9], s[6:7]
	s_andn2_b64 exec, exec, s[6:7]
	s_cbranch_execnz .LBB170_123
.LBB170_128:
	s_or_b64 exec, exec, s[6:7]
	v_add_u32_e32 v11, v7, v8
	v_or_b32_e32 v11, 0x80000000, v11
	v_lshlrev_b32_e32 v10, 3, v2
	global_store_dword v[12:13], v11, off sc1
	global_load_dwordx2 v[10:11], v10, s[28:29]
	v_sub_co_u32_e64 v12, s[0:1], v7, v0
	s_nop 1
	v_subb_co_u32_e64 v13, s[0:1], 0, v1, s[0:1]
	s_waitcnt vmcnt(0)
	v_lshl_add_u64 v[10:11], v[12:13], 0, v[10:11]
	ds_write_b64 v5, v[10:11]
.LBB170_129:
	s_or_b64 exec, exec, s[4:5]
	s_lshl_b64 s[0:1], s[34:35], 3
	s_add_u32 s0, s40, s0
	s_addc_u32 s1, s41, s1
	v_lshlrev_b32_e32 v6, 3, v6
	v_mov_b32_e32 v7, 0
	v_lshl_add_u64 v[10:11], s[0:1], 0, v[6:7]
	v_lshlrev_b32_e32 v6, 3, v4
	v_lshl_add_u64 v[10:11], v[10:11], 0, v[6:7]
	s_waitcnt lgkmcnt(0)
	s_barrier
	global_load_dwordx2 v[12:13], v[10:11], off
	global_load_dwordx2 v[14:15], v[10:11], off offset:512
	global_load_dwordx2 v[20:21], v[10:11], off offset:1024
	;; [unrolled: 1-line block ×5, first 2 shown]
	ds_read_u8 v4, v2 offset:2048
	ds_read_u8 v6, v2 offset:2560
	;; [unrolled: 1-line block ×6, first 2 shown]
	v_lshlrev_b32_e32 v38, 3, v18
	s_waitcnt lgkmcnt(5)
	v_and_b32_e32 v18, 1, v4
	v_lshlrev_b32_e32 v36, 3, v24
	v_lshlrev_b32_e32 v37, 3, v22
	s_waitcnt lgkmcnt(4)
	v_and_b32_e32 v22, 1, v6
	s_waitcnt lgkmcnt(3)
	v_and_b32_e32 v24, 1, v10
	v_xor_b32_e32 v39, 1, v10
	s_waitcnt lgkmcnt(2)
	v_and_b32_e32 v10, 1, v11
	v_xor_b32_e32 v40, 1, v11
	;; [unrolled: 3-line block ×3, first 2 shown]
	s_waitcnt lgkmcnt(0)
	v_and_b32_e32 v19, 1, v23
	v_lshrrev_b32_e32 v18, s44, v18
	v_xor_b32_e32 v42, 1, v23
	v_lshrrev_b32_e32 v22, s44, v22
	v_lshrrev_b32_e32 v23, s44, v24
	;; [unrolled: 1-line block ×5, first 2 shown]
	v_and_b32_e32 v18, s12, v18
	v_and_b32_e32 v22, s12, v22
	;; [unrolled: 1-line block ×6, first 2 shown]
	v_lshlrev_b32_e32 v43, 3, v18
	v_lshlrev_b32_e32 v44, 3, v22
	;; [unrolled: 1-line block ×6, first 2 shown]
	ds_read_b64 v[10:11], v43
	ds_read_b64 v[18:19], v44
	;; [unrolled: 1-line block ×6, first 2 shown]
	s_waitcnt lgkmcnt(5)
	v_lshl_add_u64 v[10:11], s[38:39], 0, v[10:11]
	s_waitcnt lgkmcnt(4)
	v_lshl_add_u64 v[18:19], s[38:39], 0, v[18:19]
	;; [unrolled: 2-line block ×6, first 2 shown]
	v_xor_b32_e32 v4, 1, v4
	v_lshl_add_u64 v[10:11], v[10:11], 0, v[2:3]
	v_lshl_add_u64 v[18:19], v[18:19], 0, v[2:3]
	;; [unrolled: 1-line block ×6, first 2 shown]
	v_lshlrev_b32_e32 v3, 3, v17
	v_xor_b32_e32 v6, 1, v6
	global_store_byte v[10:11], v4, off
	global_store_byte v[18:19], v6, off offset:512
	global_store_byte v[22:23], v39, off offset:1024
	;; [unrolled: 1-line block ×5, first 2 shown]
	s_barrier
	v_mad_u32_u24 v4, v2, 7, v2
	v_lshlrev_b32_e32 v6, 3, v2
	s_add_i32 s3, s3, -1
	s_cmp_eq_u32 s2, s3
	s_cselect_b64 s[0:1], -1, 0
	s_xor_b64 s[2:3], vcc, -1
	s_and_b64 s[0:1], s[2:3], s[0:1]
	s_waitcnt vmcnt(11)
	ds_write_b64 v36, v[12:13] offset:2048
	s_waitcnt vmcnt(10)
	ds_write_b64 v37, v[14:15] offset:2048
	;; [unrolled: 2-line block ×4, first 2 shown]
	v_lshlrev_b32_e32 v3, 3, v16
	s_waitcnt vmcnt(7)
	ds_write_b64 v3, v[28:29] offset:2048
	v_lshlrev_b32_e32 v3, 3, v9
	s_waitcnt vmcnt(6)
	ds_write_b64 v3, v[30:31] offset:2048
	s_waitcnt lgkmcnt(0)
	s_barrier
	ds_read_b64 v[14:15], v43
	ds_read2st64_b64 v[10:13], v4 offset0:4 offset1:12
	ds_read_b64 v[16:17], v44
	ds_read_b64 v[18:19], v45
	ds_read_b64 v[20:21], v46
	s_waitcnt lgkmcnt(4)
	v_lshl_add_u64 v[14:15], v[14:15], 3, s[42:43]
	v_lshl_add_u64 v[2:3], v[14:15], 0, v[6:7]
	s_waitcnt lgkmcnt(3)
	global_store_dwordx2 v[2:3], v[10:11], off
	s_waitcnt lgkmcnt(2)
	v_lshl_add_u64 v[2:3], v[16:17], 3, s[42:43]
	v_add_u32_e32 v10, 0x1000, v5
	v_mov_b32_e32 v11, v7
	v_lshl_add_u64 v[2:3], v[2:3], 0, v[10:11]
	global_store_dwordx2 v[2:3], v[12:13], off
	ds_read2st64_b64 v[10:13], v4 offset0:20 offset1:28
	s_waitcnt lgkmcnt(2)
	v_lshl_add_u64 v[2:3], v[18:19], 3, s[42:43]
	v_or_b32_e32 v14, 0x2000, v5
	v_mov_b32_e32 v15, v7
	v_lshl_add_u64 v[2:3], v[2:3], 0, v[14:15]
	s_waitcnt lgkmcnt(0)
	global_store_dwordx2 v[2:3], v[10:11], off
	v_lshl_add_u64 v[2:3], v[20:21], 3, s[42:43]
	v_add_u32_e32 v10, 0x3000, v5
	v_mov_b32_e32 v11, v7
	ds_read_b64 v[14:15], v47
	v_lshl_add_u64 v[2:3], v[2:3], 0, v[10:11]
	global_store_dwordx2 v[2:3], v[12:13], off
	ds_read2st64_b64 v[10:13], v4 offset0:36 offset1:44
	ds_read_b64 v[2:3], v48
	v_or_b32_e32 v16, 0x4000, v5
	s_waitcnt lgkmcnt(2)
	v_lshl_add_u64 v[14:15], v[14:15], 3, s[42:43]
	v_mov_b32_e32 v17, v7
	v_lshl_add_u64 v[14:15], v[14:15], 0, v[16:17]
	s_waitcnt lgkmcnt(1)
	global_store_dwordx2 v[14:15], v[10:11], off
	s_waitcnt lgkmcnt(0)
	v_lshl_add_u64 v[2:3], v[2:3], 3, s[42:43]
	v_add_u32_e32 v10, 0x5000, v5
	v_mov_b32_e32 v11, v7
	v_lshl_add_u64 v[2:3], v[2:3], 0, v[10:11]
	global_store_dwordx2 v[2:3], v[12:13], off
	s_and_saveexec_b64 s[2:3], s[0:1]
	s_cbranch_execz .LBB170_131
; %bb.130:
	ds_read_b64 v[2:3], v5
	v_mov_b32_e32 v9, v7
	v_lshl_add_u64 v[0:1], v[0:1], 0, v[8:9]
	s_waitcnt lgkmcnt(0)
	v_lshl_add_u64 v[0:1], v[0:1], 0, v[2:3]
	global_store_dwordx2 v6, v[0:1], s[30:31]
.LBB170_131:
	s_endpgm
	.section	.rodata,"a",@progbits
	.p2align	6, 0x0
	.amdhsa_kernel _ZN7rocprim17ROCPRIM_304000_NS6detail25onesweep_iteration_kernelINS1_34wrapped_radix_sort_onesweep_configINS0_14default_configEbN2at4cuda3cub6detail10OpaqueTypeILi8EEEEELb1EPKbPbPKSA_PSA_mNS0_19identity_decomposerEEEvT1_T2_T3_T4_jPT5_SO_PNS1_23onesweep_lookback_stateET6_jjj
		.amdhsa_group_segment_fixed_size 26624
		.amdhsa_private_segment_fixed_size 0
		.amdhsa_kernarg_size 336
		.amdhsa_user_sgpr_count 2
		.amdhsa_user_sgpr_dispatch_ptr 0
		.amdhsa_user_sgpr_queue_ptr 0
		.amdhsa_user_sgpr_kernarg_segment_ptr 1
		.amdhsa_user_sgpr_dispatch_id 0
		.amdhsa_user_sgpr_kernarg_preload_length 0
		.amdhsa_user_sgpr_kernarg_preload_offset 0
		.amdhsa_user_sgpr_private_segment_size 0
		.amdhsa_uses_dynamic_stack 0
		.amdhsa_enable_private_segment 0
		.amdhsa_system_sgpr_workgroup_id_x 1
		.amdhsa_system_sgpr_workgroup_id_y 0
		.amdhsa_system_sgpr_workgroup_id_z 0
		.amdhsa_system_sgpr_workgroup_info 0
		.amdhsa_system_vgpr_workitem_id 2
		.amdhsa_next_free_vgpr 49
		.amdhsa_next_free_sgpr 51
		.amdhsa_accum_offset 52
		.amdhsa_reserve_vcc 1
		.amdhsa_float_round_mode_32 0
		.amdhsa_float_round_mode_16_64 0
		.amdhsa_float_denorm_mode_32 3
		.amdhsa_float_denorm_mode_16_64 3
		.amdhsa_dx10_clamp 1
		.amdhsa_ieee_mode 1
		.amdhsa_fp16_overflow 0
		.amdhsa_tg_split 0
		.amdhsa_exception_fp_ieee_invalid_op 0
		.amdhsa_exception_fp_denorm_src 0
		.amdhsa_exception_fp_ieee_div_zero 0
		.amdhsa_exception_fp_ieee_overflow 0
		.amdhsa_exception_fp_ieee_underflow 0
		.amdhsa_exception_fp_ieee_inexact 0
		.amdhsa_exception_int_div_zero 0
	.end_amdhsa_kernel
	.section	.text._ZN7rocprim17ROCPRIM_304000_NS6detail25onesweep_iteration_kernelINS1_34wrapped_radix_sort_onesweep_configINS0_14default_configEbN2at4cuda3cub6detail10OpaqueTypeILi8EEEEELb1EPKbPbPKSA_PSA_mNS0_19identity_decomposerEEEvT1_T2_T3_T4_jPT5_SO_PNS1_23onesweep_lookback_stateET6_jjj,"axG",@progbits,_ZN7rocprim17ROCPRIM_304000_NS6detail25onesweep_iteration_kernelINS1_34wrapped_radix_sort_onesweep_configINS0_14default_configEbN2at4cuda3cub6detail10OpaqueTypeILi8EEEEELb1EPKbPbPKSA_PSA_mNS0_19identity_decomposerEEEvT1_T2_T3_T4_jPT5_SO_PNS1_23onesweep_lookback_stateET6_jjj,comdat
.Lfunc_end170:
	.size	_ZN7rocprim17ROCPRIM_304000_NS6detail25onesweep_iteration_kernelINS1_34wrapped_radix_sort_onesweep_configINS0_14default_configEbN2at4cuda3cub6detail10OpaqueTypeILi8EEEEELb1EPKbPbPKSA_PSA_mNS0_19identity_decomposerEEEvT1_T2_T3_T4_jPT5_SO_PNS1_23onesweep_lookback_stateET6_jjj, .Lfunc_end170-_ZN7rocprim17ROCPRIM_304000_NS6detail25onesweep_iteration_kernelINS1_34wrapped_radix_sort_onesweep_configINS0_14default_configEbN2at4cuda3cub6detail10OpaqueTypeILi8EEEEELb1EPKbPbPKSA_PSA_mNS0_19identity_decomposerEEEvT1_T2_T3_T4_jPT5_SO_PNS1_23onesweep_lookback_stateET6_jjj
                                        ; -- End function
	.set _ZN7rocprim17ROCPRIM_304000_NS6detail25onesweep_iteration_kernelINS1_34wrapped_radix_sort_onesweep_configINS0_14default_configEbN2at4cuda3cub6detail10OpaqueTypeILi8EEEEELb1EPKbPbPKSA_PSA_mNS0_19identity_decomposerEEEvT1_T2_T3_T4_jPT5_SO_PNS1_23onesweep_lookback_stateET6_jjj.num_vgpr, 49
	.set _ZN7rocprim17ROCPRIM_304000_NS6detail25onesweep_iteration_kernelINS1_34wrapped_radix_sort_onesweep_configINS0_14default_configEbN2at4cuda3cub6detail10OpaqueTypeILi8EEEEELb1EPKbPbPKSA_PSA_mNS0_19identity_decomposerEEEvT1_T2_T3_T4_jPT5_SO_PNS1_23onesweep_lookback_stateET6_jjj.num_agpr, 0
	.set _ZN7rocprim17ROCPRIM_304000_NS6detail25onesweep_iteration_kernelINS1_34wrapped_radix_sort_onesweep_configINS0_14default_configEbN2at4cuda3cub6detail10OpaqueTypeILi8EEEEELb1EPKbPbPKSA_PSA_mNS0_19identity_decomposerEEEvT1_T2_T3_T4_jPT5_SO_PNS1_23onesweep_lookback_stateET6_jjj.numbered_sgpr, 51
	.set _ZN7rocprim17ROCPRIM_304000_NS6detail25onesweep_iteration_kernelINS1_34wrapped_radix_sort_onesweep_configINS0_14default_configEbN2at4cuda3cub6detail10OpaqueTypeILi8EEEEELb1EPKbPbPKSA_PSA_mNS0_19identity_decomposerEEEvT1_T2_T3_T4_jPT5_SO_PNS1_23onesweep_lookback_stateET6_jjj.num_named_barrier, 0
	.set _ZN7rocprim17ROCPRIM_304000_NS6detail25onesweep_iteration_kernelINS1_34wrapped_radix_sort_onesweep_configINS0_14default_configEbN2at4cuda3cub6detail10OpaqueTypeILi8EEEEELb1EPKbPbPKSA_PSA_mNS0_19identity_decomposerEEEvT1_T2_T3_T4_jPT5_SO_PNS1_23onesweep_lookback_stateET6_jjj.private_seg_size, 0
	.set _ZN7rocprim17ROCPRIM_304000_NS6detail25onesweep_iteration_kernelINS1_34wrapped_radix_sort_onesweep_configINS0_14default_configEbN2at4cuda3cub6detail10OpaqueTypeILi8EEEEELb1EPKbPbPKSA_PSA_mNS0_19identity_decomposerEEEvT1_T2_T3_T4_jPT5_SO_PNS1_23onesweep_lookback_stateET6_jjj.uses_vcc, 1
	.set _ZN7rocprim17ROCPRIM_304000_NS6detail25onesweep_iteration_kernelINS1_34wrapped_radix_sort_onesweep_configINS0_14default_configEbN2at4cuda3cub6detail10OpaqueTypeILi8EEEEELb1EPKbPbPKSA_PSA_mNS0_19identity_decomposerEEEvT1_T2_T3_T4_jPT5_SO_PNS1_23onesweep_lookback_stateET6_jjj.uses_flat_scratch, 0
	.set _ZN7rocprim17ROCPRIM_304000_NS6detail25onesweep_iteration_kernelINS1_34wrapped_radix_sort_onesweep_configINS0_14default_configEbN2at4cuda3cub6detail10OpaqueTypeILi8EEEEELb1EPKbPbPKSA_PSA_mNS0_19identity_decomposerEEEvT1_T2_T3_T4_jPT5_SO_PNS1_23onesweep_lookback_stateET6_jjj.has_dyn_sized_stack, 0
	.set _ZN7rocprim17ROCPRIM_304000_NS6detail25onesweep_iteration_kernelINS1_34wrapped_radix_sort_onesweep_configINS0_14default_configEbN2at4cuda3cub6detail10OpaqueTypeILi8EEEEELb1EPKbPbPKSA_PSA_mNS0_19identity_decomposerEEEvT1_T2_T3_T4_jPT5_SO_PNS1_23onesweep_lookback_stateET6_jjj.has_recursion, 0
	.set _ZN7rocprim17ROCPRIM_304000_NS6detail25onesweep_iteration_kernelINS1_34wrapped_radix_sort_onesweep_configINS0_14default_configEbN2at4cuda3cub6detail10OpaqueTypeILi8EEEEELb1EPKbPbPKSA_PSA_mNS0_19identity_decomposerEEEvT1_T2_T3_T4_jPT5_SO_PNS1_23onesweep_lookback_stateET6_jjj.has_indirect_call, 0
	.section	.AMDGPU.csdata,"",@progbits
; Kernel info:
; codeLenInByte = 7740
; TotalNumSgprs: 57
; NumVgprs: 49
; NumAgprs: 0
; TotalNumVgprs: 49
; ScratchSize: 0
; MemoryBound: 0
; FloatMode: 240
; IeeeMode: 1
; LDSByteSize: 26624 bytes/workgroup (compile time only)
; SGPRBlocks: 7
; VGPRBlocks: 6
; NumSGPRsForWavesPerEU: 57
; NumVGPRsForWavesPerEU: 49
; AccumOffset: 52
; Occupancy: 8
; WaveLimiterHint : 1
; COMPUTE_PGM_RSRC2:SCRATCH_EN: 0
; COMPUTE_PGM_RSRC2:USER_SGPR: 2
; COMPUTE_PGM_RSRC2:TRAP_HANDLER: 0
; COMPUTE_PGM_RSRC2:TGID_X_EN: 1
; COMPUTE_PGM_RSRC2:TGID_Y_EN: 0
; COMPUTE_PGM_RSRC2:TGID_Z_EN: 0
; COMPUTE_PGM_RSRC2:TIDIG_COMP_CNT: 2
; COMPUTE_PGM_RSRC3_GFX90A:ACCUM_OFFSET: 12
; COMPUTE_PGM_RSRC3_GFX90A:TG_SPLIT: 0
	.section	.text._ZN7rocprim17ROCPRIM_304000_NS6detail25onesweep_iteration_kernelINS1_34wrapped_radix_sort_onesweep_configINS0_14default_configEbN2at4cuda3cub6detail10OpaqueTypeILi8EEEEELb1EPbSC_PSA_SD_mNS0_19identity_decomposerEEEvT1_T2_T3_T4_jPT5_SK_PNS1_23onesweep_lookback_stateET6_jjj,"axG",@progbits,_ZN7rocprim17ROCPRIM_304000_NS6detail25onesweep_iteration_kernelINS1_34wrapped_radix_sort_onesweep_configINS0_14default_configEbN2at4cuda3cub6detail10OpaqueTypeILi8EEEEELb1EPbSC_PSA_SD_mNS0_19identity_decomposerEEEvT1_T2_T3_T4_jPT5_SK_PNS1_23onesweep_lookback_stateET6_jjj,comdat
	.protected	_ZN7rocprim17ROCPRIM_304000_NS6detail25onesweep_iteration_kernelINS1_34wrapped_radix_sort_onesweep_configINS0_14default_configEbN2at4cuda3cub6detail10OpaqueTypeILi8EEEEELb1EPbSC_PSA_SD_mNS0_19identity_decomposerEEEvT1_T2_T3_T4_jPT5_SK_PNS1_23onesweep_lookback_stateET6_jjj ; -- Begin function _ZN7rocprim17ROCPRIM_304000_NS6detail25onesweep_iteration_kernelINS1_34wrapped_radix_sort_onesweep_configINS0_14default_configEbN2at4cuda3cub6detail10OpaqueTypeILi8EEEEELb1EPbSC_PSA_SD_mNS0_19identity_decomposerEEEvT1_T2_T3_T4_jPT5_SK_PNS1_23onesweep_lookback_stateET6_jjj
	.globl	_ZN7rocprim17ROCPRIM_304000_NS6detail25onesweep_iteration_kernelINS1_34wrapped_radix_sort_onesweep_configINS0_14default_configEbN2at4cuda3cub6detail10OpaqueTypeILi8EEEEELb1EPbSC_PSA_SD_mNS0_19identity_decomposerEEEvT1_T2_T3_T4_jPT5_SK_PNS1_23onesweep_lookback_stateET6_jjj
	.p2align	8
	.type	_ZN7rocprim17ROCPRIM_304000_NS6detail25onesweep_iteration_kernelINS1_34wrapped_radix_sort_onesweep_configINS0_14default_configEbN2at4cuda3cub6detail10OpaqueTypeILi8EEEEELb1EPbSC_PSA_SD_mNS0_19identity_decomposerEEEvT1_T2_T3_T4_jPT5_SK_PNS1_23onesweep_lookback_stateET6_jjj,@function
_ZN7rocprim17ROCPRIM_304000_NS6detail25onesweep_iteration_kernelINS1_34wrapped_radix_sort_onesweep_configINS0_14default_configEbN2at4cuda3cub6detail10OpaqueTypeILi8EEEEELb1EPbSC_PSA_SD_mNS0_19identity_decomposerEEEvT1_T2_T3_T4_jPT5_SK_PNS1_23onesweep_lookback_stateET6_jjj: ; @_ZN7rocprim17ROCPRIM_304000_NS6detail25onesweep_iteration_kernelINS1_34wrapped_radix_sort_onesweep_configINS0_14default_configEbN2at4cuda3cub6detail10OpaqueTypeILi8EEEEELb1EPbSC_PSA_SD_mNS0_19identity_decomposerEEEvT1_T2_T3_T4_jPT5_SK_PNS1_23onesweep_lookback_stateET6_jjj
; %bb.0:
	s_load_dwordx4 s[44:47], s[0:1], 0x44
	s_load_dwordx8 s[36:43], s[0:1], 0x0
	s_load_dwordx4 s[28:31], s[0:1], 0x28
	s_load_dwordx2 s[48:49], s[0:1], 0x38
	s_mov_b64 s[4:5], -1
	s_waitcnt lgkmcnt(0)
	s_cmp_ge_u32 s2, s46
	s_mul_i32 s34, s2, 0xc00
	v_mbcnt_lo_u32_b32 v1, -1, 0
	s_cbranch_scc0 .LBB171_96
; %bb.1:
	s_load_dword s3, s[0:1], 0x20
	s_mul_i32 s33, s46, 0xfffff400
	v_and_b32_e32 v3, 0x1c0, v0
	v_mbcnt_hi_u32_b32 v6, -1, v1
	v_mul_u32_u24_e32 v4, 6, v3
	s_waitcnt lgkmcnt(0)
	s_add_i32 s33, s33, s3
	s_add_u32 s4, s36, s34
	s_addc_u32 s5, s37, 0
	v_mov_b32_e32 v7, 0
	v_lshl_add_u64 v[8:9], s[4:5], 0, v[6:7]
	v_mov_b32_e32 v5, v7
	v_or_b32_e32 v14, v6, v4
	s_mov_b32 s35, 0
	v_lshl_add_u64 v[8:9], v[8:9], 0, v[4:5]
	v_cmp_gt_u32_e32 vcc, s33, v14
	v_mov_b32_e32 v12, v7
	v_mov_b32_e32 v10, v7
	;; [unrolled: 1-line block ×3, first 2 shown]
	s_and_saveexec_b64 s[4:5], vcc
	s_cbranch_execz .LBB171_3
; %bb.2:
	global_load_ubyte v12, v[8:9], off
	v_mov_b32_e32 v5, v7
	v_mov_b32_e32 v10, v7
	;; [unrolled: 1-line block ×3, first 2 shown]
.LBB171_3:
	s_or_b64 exec, exec, s[4:5]
	v_add_u32_e32 v2, 64, v14
	v_cmp_gt_u32_e64 s[26:27], s33, v2
	v_mov_b32_e32 v13, v7
	s_and_saveexec_b64 s[4:5], s[26:27]
	s_cbranch_execz .LBB171_5
; %bb.4:
	global_load_ubyte v13, v[8:9], off offset:64
.LBB171_5:
	s_or_b64 exec, exec, s[4:5]
	v_add_u32_e32 v2, 0x80, v14
	v_cmp_gt_u32_e64 s[4:5], s33, v2
	s_and_saveexec_b64 s[6:7], s[4:5]
	s_cbranch_execz .LBB171_7
; %bb.6:
	global_load_ubyte v7, v[8:9], off offset:128
.LBB171_7:
	s_or_b64 exec, exec, s[6:7]
	v_add_u32_e32 v2, 0xc0, v14
	v_cmp_gt_u32_e64 s[6:7], s33, v2
	;; [unrolled: 8-line block ×3, first 2 shown]
	s_and_saveexec_b64 s[10:11], s[8:9]
	s_cbranch_execz .LBB171_11
; %bb.10:
	global_load_ubyte v10, v[8:9], off offset:256
.LBB171_11:
	s_or_b64 exec, exec, s[10:11]
	v_add_u32_e32 v14, 0x140, v14
	v_and_b32_e32 v2, 0x3ff, v0
	v_cmp_gt_u32_e64 s[10:11], s33, v14
	s_and_saveexec_b64 s[12:13], s[10:11]
	s_cbranch_execz .LBB171_13
; %bb.12:
	global_load_ubyte v11, v[8:9], off offset:320
.LBB171_13:
	s_or_b64 exec, exec, s[12:13]
	s_load_dword s3, s[0:1], 0x50
	s_load_dword s14, s[0:1], 0x5c
	s_waitcnt vmcnt(0)
	v_and_b32_e32 v8, 1, v12
	v_cmp_eq_u32_e64 s[12:13], 1, v8
	s_xor_b64 s[22:23], s[12:13], -1
	s_add_u32 s12, s0, 0x50
	s_addc_u32 s13, s1, 0
	s_waitcnt lgkmcnt(0)
	s_lshr_b32 s24, s14, 16
	s_cmp_lt_u32 s2, s3
	s_cselect_b32 s14, 12, 18
	s_add_u32 s12, s12, s14
	s_addc_u32 s13, s13, 0
	v_mov_b32_e32 v9, 0
	global_load_ushort v14, v9, s[12:13]
	v_and_b32_e32 v5, 1, v5
	v_and_b32_e32 v7, 1, v7
	v_cmp_eq_u32_e64 s[16:17], 1, v5
	v_cndmask_b32_e64 v5, 0, 1, s[22:23]
	v_and_b32_e32 v8, 1, v13
	v_cmp_eq_u32_e64 s[18:19], 1, v7
	v_lshrrev_b32_e32 v7, s44, v5
	s_lshl_b32 s22, -1, s45
	v_and_b32_e32 v10, 1, v10
	v_and_b32_e32 v11, 1, v11
	v_cmp_eq_u32_e64 s[20:21], 1, v8
	v_bitop3_b32 v8, v7, s22, v7 bitop3:0x30
	v_cmp_eq_u32_e64 s[14:15], 1, v10
	v_cmp_eq_u32_e64 s[12:13], 1, v11
	s_not_b32 s50, s22
	v_cmp_ne_u32_e64 s[22:23], 0, v8
	v_lshl_add_u64 v[10:11], v[8:9], 0, -1
	v_bfe_u32 v13, v0, 10, 10
	v_bfe_u32 v15, v0, 20, 10
	v_mul_u32_u24_e32 v16, 36, v8
	v_xor_b32_e32 v8, s22, v10
	v_mad_u32_u24 v13, v15, s24, v13
	v_xor_b32_e32 v7, s23, v11
	v_and_b32_e32 v10, exec_lo, v8
	v_and_b32_e32 v11, exec_hi, v7
	v_mbcnt_lo_u32_b32 v7, v10, 0
	v_mbcnt_hi_u32_b32 v7, v11, v7
	v_cmp_ne_u64_e64 s[22:23], 0, v[10:11]
	v_cmp_eq_u32_e64 s[24:25], 0, v7
	v_mul_u32_u24_e32 v12, 20, v2
	s_and_b64 s[24:25], s[22:23], s[24:25]
	ds_write2_b32 v12, v9, v9 offset0:8 offset1:9
	ds_write2_b32 v12, v9, v9 offset0:10 offset1:11
	ds_write_b32 v12, v9 offset:48
	s_waitcnt lgkmcnt(0)
	s_barrier
	s_waitcnt vmcnt(0)
	; wave barrier
	v_mad_u64_u32 v[14:15], s[46:47], v13, v14, v[2:3]
	v_lshrrev_b32_e32 v8, 4, v14
	v_and_b32_e32 v26, 0xffffffc, v8
	v_add_u32_e32 v17, v26, v16
	s_and_saveexec_b64 s[22:23], s[24:25]
; %bb.14:
	v_bcnt_u32_b32 v8, v10, 0
	v_bcnt_u32_b32 v8, v11, v8
	ds_write_b32 v17, v8 offset:32
; %bb.15:
	s_or_b64 exec, exec, s[22:23]
	s_xor_b64 s[20:21], s[20:21], -1
	v_cndmask_b32_e64 v13, 0, 1, s[20:21]
	v_lshrrev_b32_e32 v8, s44, v13
	v_and_b32_e32 v8, s50, v8
	v_mul_u32_u24_e32 v10, 36, v8
	v_mad_u32_u24 v11, v8, 36, v26
	v_cmp_ne_u32_e64 s[20:21], 0, v8
	v_lshl_add_u64 v[8:9], v[8:9], 0, -1
	s_nop 0
	v_xor_b32_e32 v8, s20, v8
	; wave barrier
	ds_read_b32 v14, v11 offset:32
	v_xor_b32_e32 v9, s21, v9
	v_and_b32_e32 v8, exec_lo, v8
	v_and_b32_e32 v9, exec_hi, v9
	v_mbcnt_lo_u32_b32 v11, v8, 0
	v_mbcnt_hi_u32_b32 v15, v9, v11
	v_cmp_eq_u32_e64 s[20:21], 0, v15
	v_cmp_ne_u64_e64 s[22:23], 0, v[8:9]
	s_and_b64 s[22:23], s[22:23], s[20:21]
	v_add_u32_e32 v21, v26, v10
	; wave barrier
	s_and_saveexec_b64 s[20:21], s[22:23]
	s_cbranch_execz .LBB171_17
; %bb.16:
	v_bcnt_u32_b32 v8, v8, 0
	v_bcnt_u32_b32 v8, v9, v8
	s_waitcnt lgkmcnt(0)
	v_add_u32_e32 v8, v14, v8
	ds_write_b32 v21, v8 offset:32
.LBB171_17:
	s_or_b64 exec, exec, s[20:21]
	s_xor_b64 s[18:19], s[18:19], -1
	v_cndmask_b32_e64 v16, 0, 1, s[18:19]
	v_lshrrev_b32_e32 v8, s44, v16
	v_and_b32_e32 v8, s50, v8
	v_mad_u32_u24 v9, v8, 36, v26
	; wave barrier
	ds_read_b32 v18, v9 offset:32
	v_mov_b32_e32 v9, 0
	v_cmp_ne_u32_e64 s[18:19], 0, v8
	v_lshl_add_u64 v[10:11], v[8:9], 0, -1
	v_mul_u32_u24_e32 v20, 36, v8
	v_xor_b32_e32 v10, s18, v10
	v_xor_b32_e32 v8, s19, v11
	v_and_b32_e32 v10, exec_lo, v10
	v_and_b32_e32 v11, exec_hi, v8
	v_mbcnt_lo_u32_b32 v8, v10, 0
	v_mbcnt_hi_u32_b32 v19, v11, v8
	v_cmp_eq_u32_e64 s[18:19], 0, v19
	v_cmp_ne_u64_e64 s[20:21], 0, v[10:11]
	s_and_b64 s[20:21], s[20:21], s[18:19]
	v_add_u32_e32 v24, v26, v20
	; wave barrier
	s_and_saveexec_b64 s[18:19], s[20:21]
	s_cbranch_execz .LBB171_19
; %bb.18:
	v_bcnt_u32_b32 v8, v10, 0
	v_bcnt_u32_b32 v8, v11, v8
	s_waitcnt lgkmcnt(0)
	v_add_u32_e32 v8, v18, v8
	ds_write_b32 v24, v8 offset:32
.LBB171_19:
	s_or_b64 exec, exec, s[18:19]
	s_xor_b64 s[16:17], s[16:17], -1
	v_cndmask_b32_e64 v20, 0, 1, s[16:17]
	v_lshrrev_b32_e32 v8, s44, v20
	v_and_b32_e32 v8, s50, v8
	v_mul_u32_u24_e32 v10, 36, v8
	v_mad_u32_u24 v11, v8, 36, v26
	v_cmp_ne_u32_e64 s[16:17], 0, v8
	v_lshl_add_u64 v[8:9], v[8:9], 0, -1
	s_nop 0
	v_xor_b32_e32 v8, s16, v8
	; wave barrier
	ds_read_b32 v22, v11 offset:32
	v_xor_b32_e32 v9, s17, v9
	v_and_b32_e32 v8, exec_lo, v8
	v_and_b32_e32 v9, exec_hi, v9
	v_mbcnt_lo_u32_b32 v11, v8, 0
	v_mbcnt_hi_u32_b32 v23, v9, v11
	v_cmp_eq_u32_e64 s[16:17], 0, v23
	v_cmp_ne_u64_e64 s[18:19], 0, v[8:9]
	s_and_b64 s[18:19], s[18:19], s[16:17]
	v_add_u32_e32 v25, v26, v10
	; wave barrier
	s_and_saveexec_b64 s[16:17], s[18:19]
	s_cbranch_execz .LBB171_21
; %bb.20:
	v_bcnt_u32_b32 v8, v8, 0
	v_bcnt_u32_b32 v8, v9, v8
	s_waitcnt lgkmcnt(0)
	v_add_u32_e32 v8, v22, v8
	ds_write_b32 v25, v8 offset:32
.LBB171_21:
	s_or_b64 exec, exec, s[16:17]
	s_xor_b64 s[14:15], s[14:15], -1
	v_cndmask_b32_e64 v28, 0, 1, s[14:15]
	v_lshrrev_b32_e32 v8, s44, v28
	v_and_b32_e32 v8, s50, v8
	v_mad_u32_u24 v9, v8, 36, v26
	; wave barrier
	ds_read_b32 v29, v9 offset:32
	v_mov_b32_e32 v9, 0
	v_cmp_ne_u32_e64 s[14:15], 0, v8
	v_lshl_add_u64 v[10:11], v[8:9], 0, -1
	v_mul_u32_u24_e32 v27, 36, v8
	v_xor_b32_e32 v10, s14, v10
	v_xor_b32_e32 v8, s15, v11
	v_and_b32_e32 v10, exec_lo, v10
	v_and_b32_e32 v11, exec_hi, v8
	v_mbcnt_lo_u32_b32 v8, v10, 0
	v_mbcnt_hi_u32_b32 v30, v11, v8
	v_cmp_eq_u32_e64 s[14:15], 0, v30
	v_cmp_ne_u64_e64 s[16:17], 0, v[10:11]
	s_and_b64 s[16:17], s[16:17], s[14:15]
	v_add_u32_e32 v27, v26, v27
	; wave barrier
	s_and_saveexec_b64 s[14:15], s[16:17]
	s_cbranch_execz .LBB171_23
; %bb.22:
	v_bcnt_u32_b32 v8, v10, 0
	v_bcnt_u32_b32 v8, v11, v8
	s_waitcnt lgkmcnt(0)
	v_add_u32_e32 v8, v29, v8
	ds_write_b32 v27, v8 offset:32
.LBB171_23:
	s_or_b64 exec, exec, s[14:15]
	s_xor_b64 s[12:13], s[12:13], -1
	v_cndmask_b32_e64 v31, 0, 1, s[12:13]
	v_lshrrev_b32_e32 v8, s44, v31
	v_and_b32_e32 v8, s50, v8
	v_mul_u32_u24_e32 v10, 36, v8
	v_mad_u32_u24 v11, v8, 36, v26
	v_cmp_ne_u32_e64 s[12:13], 0, v8
	v_lshl_add_u64 v[8:9], v[8:9], 0, -1
	s_nop 0
	v_xor_b32_e32 v8, s12, v8
	; wave barrier
	ds_read_b32 v32, v11 offset:32
	v_xor_b32_e32 v9, s13, v9
	v_and_b32_e32 v8, exec_lo, v8
	v_and_b32_e32 v9, exec_hi, v9
	v_mbcnt_lo_u32_b32 v11, v8, 0
	v_mbcnt_hi_u32_b32 v33, v9, v11
	v_cmp_eq_u32_e64 s[12:13], 0, v33
	v_cmp_ne_u64_e64 s[14:15], 0, v[8:9]
	s_and_b64 s[14:15], s[14:15], s[12:13]
	v_add_u32_e32 v26, v26, v10
	; wave barrier
	s_and_saveexec_b64 s[12:13], s[14:15]
	s_cbranch_execz .LBB171_25
; %bb.24:
	v_bcnt_u32_b32 v8, v8, 0
	v_bcnt_u32_b32 v8, v9, v8
	s_waitcnt lgkmcnt(0)
	v_add_u32_e32 v8, v32, v8
	ds_write_b32 v26, v8 offset:32
.LBB171_25:
	s_or_b64 exec, exec, s[12:13]
	; wave barrier
	s_waitcnt lgkmcnt(0)
	s_barrier
	ds_read2_b32 v[10:11], v12 offset0:8 offset1:9
	ds_read2_b32 v[8:9], v12 offset0:10 offset1:11
	ds_read_b32 v34, v12 offset:48
	v_min_u32_e32 v3, 0x1c0, v3
	v_or_b32_e32 v3, 63, v3
	s_waitcnt lgkmcnt(1)
	v_add3_u32 v35, v11, v10, v8
	s_waitcnt lgkmcnt(0)
	v_add3_u32 v34, v35, v9, v34
	v_and_b32_e32 v35, 15, v6
	v_cmp_ne_u32_e64 s[12:13], 0, v35
	v_mov_b32_dpp v36, v34 row_shr:1 row_mask:0xf bank_mask:0xf
	s_nop 0
	v_cndmask_b32_e64 v36, 0, v36, s[12:13]
	v_add_u32_e32 v34, v36, v34
	v_cmp_lt_u32_e64 s[12:13], 1, v35
	s_nop 0
	v_mov_b32_dpp v36, v34 row_shr:2 row_mask:0xf bank_mask:0xf
	v_cndmask_b32_e64 v36, 0, v36, s[12:13]
	v_add_u32_e32 v34, v34, v36
	v_cmp_lt_u32_e64 s[12:13], 3, v35
	s_nop 0
	v_mov_b32_dpp v36, v34 row_shr:4 row_mask:0xf bank_mask:0xf
	;; [unrolled: 5-line block ×3, first 2 shown]
	v_cndmask_b32_e64 v35, 0, v36, s[12:13]
	v_add_u32_e32 v34, v34, v35
	v_bfe_i32 v36, v6, 4, 1
	v_cmp_lt_u32_e64 s[12:13], 31, v6
	v_mov_b32_dpp v35, v34 row_bcast:15 row_mask:0xf bank_mask:0xf
	v_and_b32_e32 v35, v36, v35
	v_add_u32_e32 v34, v34, v35
	s_nop 1
	v_mov_b32_dpp v35, v34 row_bcast:31 row_mask:0xf bank_mask:0xf
	v_cndmask_b32_e64 v35, 0, v35, s[12:13]
	v_add_u32_e32 v34, v34, v35
	v_lshrrev_b32_e32 v35, 6, v2
	v_cmp_eq_u32_e64 s[12:13], v2, v3
	s_and_saveexec_b64 s[14:15], s[12:13]
; %bb.26:
	v_lshlrev_b32_e32 v3, 2, v35
	ds_write_b32 v3, v34
; %bb.27:
	s_or_b64 exec, exec, s[14:15]
	v_cmp_gt_u32_e64 s[12:13], 8, v2
	s_waitcnt lgkmcnt(0)
	s_barrier
	s_and_saveexec_b64 s[14:15], s[12:13]
	s_cbranch_execz .LBB171_29
; %bb.28:
	v_lshlrev_b32_e32 v3, 2, v2
	ds_read_b32 v36, v3
	v_and_b32_e32 v37, 7, v6
	v_cmp_ne_u32_e64 s[12:13], 0, v37
	s_waitcnt lgkmcnt(0)
	v_mov_b32_dpp v38, v36 row_shr:1 row_mask:0xf bank_mask:0xf
	v_cndmask_b32_e64 v38, 0, v38, s[12:13]
	v_add_u32_e32 v36, v38, v36
	v_cmp_lt_u32_e64 s[12:13], 1, v37
	s_nop 0
	v_mov_b32_dpp v38, v36 row_shr:2 row_mask:0xf bank_mask:0xf
	v_cndmask_b32_e64 v38, 0, v38, s[12:13]
	v_add_u32_e32 v36, v36, v38
	v_cmp_lt_u32_e64 s[12:13], 3, v37
	s_nop 0
	v_mov_b32_dpp v38, v36 row_shr:4 row_mask:0xf bank_mask:0xf
	v_cndmask_b32_e64 v37, 0, v38, s[12:13]
	v_add_u32_e32 v36, v36, v37
	ds_write_b32 v3, v36
.LBB171_29:
	s_or_b64 exec, exec, s[14:15]
	v_cmp_lt_u32_e64 s[12:13], 63, v2
	v_mov_b32_e32 v3, 0
	s_waitcnt lgkmcnt(0)
	s_barrier
	s_and_saveexec_b64 s[14:15], s[12:13]
; %bb.30:
	v_lshl_add_u32 v3, v35, 2, -4
	ds_read_b32 v3, v3
; %bb.31:
	s_or_b64 exec, exec, s[14:15]
	v_subrev_co_u32_e64 v35, s[12:13], 1, v6
	v_and_b32_e32 v36, 64, v6
	v_cmp_lt_i32_e64 s[14:15], v35, v36
	s_waitcnt lgkmcnt(0)
	v_add_u32_e32 v34, v3, v34
	s_movk_i32 s16, 0x100
	v_cndmask_b32_e64 v35, v35, v6, s[14:15]
	v_lshlrev_b32_e32 v35, 2, v35
	ds_bpermute_b32 v34, v35, v34
	v_cmp_gt_u32_e64 s[14:15], s16, v2
	s_waitcnt lgkmcnt(0)
	v_cndmask_b32_e64 v3, v34, v3, s[12:13]
	v_cmp_ne_u32_e64 s[12:13], 0, v2
	s_nop 1
	v_cndmask_b32_e64 v3, 0, v3, s[12:13]
	v_add_u32_e32 v10, v3, v10
	v_add_u32_e32 v11, v10, v11
	v_add_u32_e32 v8, v11, v8
	v_add_u32_e32 v9, v8, v9
	ds_write2_b32 v12, v3, v10 offset0:8 offset1:9
	ds_write2_b32 v12, v11, v8 offset0:10 offset1:11
	ds_write_b32 v12, v9 offset:48
	s_waitcnt lgkmcnt(0)
	s_barrier
	ds_read_b32 v3, v17 offset:32
	ds_read_b32 v11, v21 offset:32
	;; [unrolled: 1-line block ×6, first 2 shown]
	s_movk_i32 s12, 0xff
	v_cmp_lt_u32_e64 s[12:13], s12, v2
	v_mov_b64_e32 v[8:9], 0
                                        ; implicit-def: $vgpr10
	s_and_saveexec_b64 s[18:19], s[14:15]
	s_cbranch_execz .LBB171_35
; %bb.32:
	v_mul_u32_u24_e32 v8, 36, v2
	ds_read_b32 v8, v8 offset:32
	v_add_u32_e32 v10, 1, v2
	v_cmp_ne_u32_e64 s[16:17], s16, v10
	v_mov_b32_e32 v9, 0xc00
	s_and_saveexec_b64 s[20:21], s[16:17]
; %bb.33:
	v_mul_u32_u24_e32 v9, 36, v10
	ds_read_b32 v9, v9 offset:32
; %bb.34:
	s_or_b64 exec, exec, s[20:21]
	s_waitcnt lgkmcnt(0)
	v_sub_u32_e32 v10, v9, v8
	v_mov_b32_e32 v9, 0
.LBB171_35:
	s_or_b64 exec, exec, s[18:19]
	s_waitcnt lgkmcnt(5)
	v_add_u32_e32 v27, v3, v7
	s_waitcnt lgkmcnt(4)
	v_add3_u32 v26, v15, v14, v11
	s_waitcnt lgkmcnt(3)
	v_add3_u32 v25, v19, v18, v12
	;; [unrolled: 2-line block ×5, first 2 shown]
	s_barrier
	ds_write_b8 v27, v5 offset:2048
	ds_write_b8 v26, v13 offset:2048
	;; [unrolled: 1-line block ×6, first 2 shown]
	v_mov_b32_e32 v13, 0
	v_mov_b32_e32 v3, v13
	v_lshlrev_b32_e32 v11, 3, v2
	s_waitcnt lgkmcnt(0)
	s_barrier
	s_and_saveexec_b64 s[16:17], s[14:15]
	s_cbranch_execz .LBB171_45
; %bb.36:
	v_lshl_add_u32 v12, s2, 8, v2
	v_lshl_add_u64 v[14:15], v[12:13], 2, s[48:49]
	v_or_b32_e32 v5, 2.0, v10
	global_store_dword v[14:15], v5, off sc1
	s_mov_b64 s[18:19], 0
	s_brev_b32 s24, -4
	s_mov_b32 s25, s2
	v_mov_b32_e32 v5, 0
                                        ; implicit-def: $sgpr14_sgpr15
	s_branch .LBB171_39
.LBB171_37:                             ;   in Loop: Header=BB171_39 Depth=1
	s_or_b64 exec, exec, s[22:23]
.LBB171_38:                             ;   in Loop: Header=BB171_39 Depth=1
	s_or_b64 exec, exec, s[20:21]
	v_and_b32_e32 v12, 0x3fffffff, v7
	v_add_u32_e32 v5, v12, v5
	v_cmp_gt_i32_e64 s[14:15], -2.0, v7
	s_and_b64 s[20:21], exec, s[14:15]
	s_or_b64 s[18:19], s[20:21], s[18:19]
	s_andn2_b64 exec, exec, s[18:19]
	s_cbranch_execz .LBB171_44
.LBB171_39:                             ; =>This Loop Header: Depth=1
                                        ;     Child Loop BB171_42 Depth 2
	s_or_b64 s[14:15], s[14:15], exec
	s_cmp_eq_u32 s25, 0
	s_cbranch_scc1 .LBB171_43
; %bb.40:                               ;   in Loop: Header=BB171_39 Depth=1
	s_add_i32 s25, s25, -1
	v_lshl_or_b32 v12, s25, 8, v2
	v_lshl_add_u64 v[16:17], v[12:13], 2, s[48:49]
	global_load_dword v7, v[16:17], off sc1
	s_waitcnt vmcnt(0)
	v_cmp_gt_u32_e64 s[14:15], 2.0, v7
	s_and_saveexec_b64 s[20:21], s[14:15]
	s_cbranch_execz .LBB171_38
; %bb.41:                               ;   in Loop: Header=BB171_39 Depth=1
	s_mov_b64 s[22:23], 0
.LBB171_42:                             ;   Parent Loop BB171_39 Depth=1
                                        ; =>  This Inner Loop Header: Depth=2
	global_load_dword v7, v[16:17], off sc1
	s_waitcnt vmcnt(0)
	v_cmp_lt_u32_e64 s[14:15], s24, v7
	s_or_b64 s[22:23], s[14:15], s[22:23]
	s_andn2_b64 exec, exec, s[22:23]
	s_cbranch_execnz .LBB171_42
	s_branch .LBB171_37
.LBB171_43:                             ;   in Loop: Header=BB171_39 Depth=1
                                        ; implicit-def: $sgpr25
	s_and_b64 s[20:21], exec, s[14:15]
	s_or_b64 s[18:19], s[20:21], s[18:19]
	s_andn2_b64 exec, exec, s[18:19]
	s_cbranch_execnz .LBB171_39
.LBB171_44:
	s_or_b64 exec, exec, s[18:19]
	v_add_u32_e32 v12, v5, v10
	v_or_b32_e32 v12, 0x80000000, v12
	v_lshlrev_b32_e32 v7, 3, v2
	global_store_dword v[14:15], v12, off sc1
	global_load_dwordx2 v[12:13], v7, s[28:29]
	v_sub_co_u32_e64 v14, s[14:15], v5, v8
	s_nop 1
	v_subb_co_u32_e64 v15, s[14:15], 0, v9, s[14:15]
	s_waitcnt vmcnt(0)
	v_lshl_add_u64 v[12:13], v[14:15], 0, v[12:13]
	ds_write_b64 v11, v[12:13]
.LBB171_45:
	s_or_b64 exec, exec, s[16:17]
	v_cmp_gt_u32_e64 s[14:15], s33, v2
	s_waitcnt lgkmcnt(0)
	s_barrier
	s_and_saveexec_b64 s[16:17], s[14:15]
	s_cbranch_execz .LBB171_47
; %bb.46:
	ds_read_u8 v5, v2 offset:2048
	s_waitcnt lgkmcnt(0)
	v_and_b32_e32 v7, 1, v5
	v_lshrrev_b32_e32 v7, s44, v7
	v_and_b32_e32 v7, s50, v7
	v_lshlrev_b32_e32 v7, 3, v7
	ds_read_b64 v[12:13], v7
	v_xor_b32_e32 v5, 1, v5
	s_waitcnt lgkmcnt(0)
	v_lshl_add_u64 v[12:13], s[38:39], 0, v[12:13]
	v_lshl_add_u64 v[12:13], v[12:13], 0, v[2:3]
	global_store_byte v[12:13], v5, off
.LBB171_47:
	s_or_b64 exec, exec, s[16:17]
	v_add_u32_e32 v28, 0x200, v2
	v_cmp_gt_u32_e64 s[16:17], s33, v28
	s_and_saveexec_b64 s[18:19], s[16:17]
	s_cbranch_execz .LBB171_49
; %bb.48:
	ds_read_u8 v5, v2 offset:2560
	s_waitcnt lgkmcnt(0)
	v_and_b32_e32 v7, 1, v5
	v_lshrrev_b32_e32 v7, s44, v7
	v_and_b32_e32 v7, s50, v7
	v_lshlrev_b32_e32 v7, 3, v7
	ds_read_b64 v[12:13], v7
	v_xor_b32_e32 v5, 1, v5
	s_waitcnt lgkmcnt(0)
	v_lshl_add_u64 v[12:13], s[38:39], 0, v[12:13]
	v_lshl_add_u64 v[12:13], v[12:13], 0, v[2:3]
	global_store_byte v[12:13], v5, off offset:512
.LBB171_49:
	s_or_b64 exec, exec, s[18:19]
	v_or_b32_e32 v29, 0x400, v2
	v_cmp_gt_u32_e64 s[18:19], s33, v29
	s_and_saveexec_b64 s[20:21], s[18:19]
	s_cbranch_execz .LBB171_51
; %bb.50:
	ds_read_u8 v5, v2 offset:3072
	s_waitcnt lgkmcnt(0)
	v_and_b32_e32 v7, 1, v5
	v_lshrrev_b32_e32 v7, s44, v7
	v_and_b32_e32 v7, s50, v7
	v_lshlrev_b32_e32 v7, 3, v7
	ds_read_b64 v[12:13], v7
	v_xor_b32_e32 v5, 1, v5
	s_waitcnt lgkmcnt(0)
	v_lshl_add_u64 v[12:13], s[38:39], 0, v[12:13]
	v_lshl_add_u64 v[12:13], v[12:13], 0, v[2:3]
	global_store_byte v[12:13], v5, off offset:1024
.LBB171_51:
	s_or_b64 exec, exec, s[20:21]
	v_add_u32_e32 v30, 0x600, v2
	v_cmp_gt_u32_e64 s[20:21], s33, v30
	s_and_saveexec_b64 s[22:23], s[20:21]
	s_cbranch_execz .LBB171_53
; %bb.52:
	ds_read_u8 v5, v2 offset:3584
	s_waitcnt lgkmcnt(0)
	v_and_b32_e32 v7, 1, v5
	v_lshrrev_b32_e32 v7, s44, v7
	v_and_b32_e32 v7, s50, v7
	v_lshlrev_b32_e32 v7, 3, v7
	ds_read_b64 v[12:13], v7
	v_xor_b32_e32 v5, 1, v5
	s_waitcnt lgkmcnt(0)
	v_lshl_add_u64 v[12:13], s[38:39], 0, v[12:13]
	v_lshl_add_u64 v[12:13], v[12:13], 0, v[2:3]
	global_store_byte v[12:13], v5, off offset:1536
.LBB171_53:
	s_or_b64 exec, exec, s[22:23]
	v_or_b32_e32 v31, 0x800, v2
	v_cmp_gt_u32_e64 s[22:23], s33, v31
	s_and_saveexec_b64 s[24:25], s[22:23]
	s_cbranch_execz .LBB171_55
; %bb.54:
	ds_read_u8 v5, v2 offset:4096
	s_waitcnt lgkmcnt(0)
	v_and_b32_e32 v7, 1, v5
	v_lshrrev_b32_e32 v7, s44, v7
	v_and_b32_e32 v7, s50, v7
	v_lshlrev_b32_e32 v7, 3, v7
	ds_read_b64 v[12:13], v7
	v_xor_b32_e32 v5, 1, v5
	s_waitcnt lgkmcnt(0)
	v_lshl_add_u64 v[12:13], s[38:39], 0, v[12:13]
	v_lshl_add_u64 v[12:13], v[12:13], 0, v[2:3]
	global_store_byte v[12:13], v5, off offset:2048
.LBB171_55:
	s_or_b64 exec, exec, s[24:25]
	v_add_u32_e32 v32, 0xa00, v2
	v_cmp_gt_u32_e64 s[24:25], s33, v32
	s_and_saveexec_b64 s[46:47], s[24:25]
	s_cbranch_execz .LBB171_57
; %bb.56:
	ds_read_u8 v5, v2 offset:4608
	s_waitcnt lgkmcnt(0)
	v_and_b32_e32 v7, 1, v5
	v_lshrrev_b32_e32 v7, s44, v7
	v_and_b32_e32 v7, s50, v7
	v_lshlrev_b32_e32 v7, 3, v7
	ds_read_b64 v[12:13], v7
	v_xor_b32_e32 v5, 1, v5
	s_waitcnt lgkmcnt(0)
	v_lshl_add_u64 v[12:13], s[38:39], 0, v[12:13]
	v_lshl_add_u64 v[12:13], v[12:13], 0, v[2:3]
	global_store_byte v[12:13], v5, off offset:2560
.LBB171_57:
	s_or_b64 exec, exec, s[46:47]
	s_lshl_b64 s[46:47], s[34:35], 3
	s_add_u32 s46, s40, s46
	s_addc_u32 s47, s41, s47
	v_lshlrev_b32_e32 v6, 3, v6
	v_mov_b32_e32 v7, 0
	v_lshl_add_u64 v[12:13], s[46:47], 0, v[6:7]
	v_lshlrev_b32_e32 v6, 3, v4
	v_lshl_add_u64 v[20:21], v[12:13], 0, v[6:7]
                                        ; implicit-def: $vgpr4_vgpr5
	s_and_saveexec_b64 s[46:47], vcc
	s_xor_b64 s[46:47], exec, s[46:47]
	s_cbranch_execz .LBB171_63
; %bb.58:
	global_load_dwordx2 v[4:5], v[20:21], off
	s_or_b64 exec, exec, s[46:47]
                                        ; implicit-def: $vgpr6_vgpr7
	s_and_saveexec_b64 s[46:47], s[26:27]
	s_cbranch_execnz .LBB171_64
.LBB171_59:
	s_or_b64 exec, exec, s[46:47]
                                        ; implicit-def: $vgpr12_vgpr13
	s_and_saveexec_b64 s[26:27], s[4:5]
	s_cbranch_execz .LBB171_65
.LBB171_60:
	global_load_dwordx2 v[12:13], v[20:21], off offset:1024
	s_or_b64 exec, exec, s[26:27]
                                        ; implicit-def: $vgpr14_vgpr15
	s_and_saveexec_b64 s[4:5], s[6:7]
	s_cbranch_execnz .LBB171_66
.LBB171_61:
	s_or_b64 exec, exec, s[4:5]
                                        ; implicit-def: $vgpr16_vgpr17
	s_and_saveexec_b64 s[4:5], s[8:9]
	s_cbranch_execz .LBB171_67
.LBB171_62:
	global_load_dwordx2 v[16:17], v[20:21], off offset:2048
	s_or_b64 exec, exec, s[4:5]
                                        ; implicit-def: $vgpr18_vgpr19
	s_and_saveexec_b64 s[4:5], s[10:11]
	s_cbranch_execnz .LBB171_68
	s_branch .LBB171_69
.LBB171_63:
	s_or_b64 exec, exec, s[46:47]
                                        ; implicit-def: $vgpr6_vgpr7
	s_and_saveexec_b64 s[46:47], s[26:27]
	s_cbranch_execz .LBB171_59
.LBB171_64:
	global_load_dwordx2 v[6:7], v[20:21], off offset:512
	s_or_b64 exec, exec, s[46:47]
                                        ; implicit-def: $vgpr12_vgpr13
	s_and_saveexec_b64 s[26:27], s[4:5]
	s_cbranch_execnz .LBB171_60
.LBB171_65:
	s_or_b64 exec, exec, s[26:27]
                                        ; implicit-def: $vgpr14_vgpr15
	s_and_saveexec_b64 s[4:5], s[6:7]
	s_cbranch_execz .LBB171_61
.LBB171_66:
	global_load_dwordx2 v[14:15], v[20:21], off offset:1536
	s_or_b64 exec, exec, s[4:5]
                                        ; implicit-def: $vgpr16_vgpr17
	s_and_saveexec_b64 s[4:5], s[8:9]
	s_cbranch_execnz .LBB171_62
.LBB171_67:
	s_or_b64 exec, exec, s[4:5]
                                        ; implicit-def: $vgpr18_vgpr19
	s_and_saveexec_b64 s[4:5], s[10:11]
	s_cbranch_execz .LBB171_69
.LBB171_68:
	global_load_dwordx2 v[18:19], v[20:21], off offset:2560
.LBB171_69:
	s_or_b64 exec, exec, s[4:5]
	v_mov_b32_e32 v34, 0
	v_mov_b32_e32 v3, 0
	s_and_saveexec_b64 s[4:5], s[14:15]
	s_cbranch_execz .LBB171_71
; %bb.70:
	ds_read_u8 v3, v2 offset:2048
	s_waitcnt lgkmcnt(0)
	v_lshrrev_b32_e32 v3, s44, v3
	v_and_b32_e32 v3, s50, v3
.LBB171_71:
	s_or_b64 exec, exec, s[4:5]
	s_and_saveexec_b64 s[4:5], s[16:17]
	s_cbranch_execz .LBB171_73
; %bb.72:
	ds_read_u8 v20, v2 offset:2560
	s_waitcnt lgkmcnt(0)
	v_lshrrev_b32_e32 v20, s44, v20
	v_and_b32_e32 v34, s50, v20
.LBB171_73:
	s_or_b64 exec, exec, s[4:5]
	v_mov_b32_e32 v21, 0
	v_mov_b32_e32 v35, 0
	s_and_saveexec_b64 s[4:5], s[18:19]
	s_cbranch_execz .LBB171_75
; %bb.74:
	ds_read_u8 v20, v2 offset:3072
	s_waitcnt lgkmcnt(0)
	v_lshrrev_b32_e32 v20, s44, v20
	v_and_b32_e32 v35, s50, v20
.LBB171_75:
	s_or_b64 exec, exec, s[4:5]
	s_and_saveexec_b64 s[4:5], s[20:21]
	s_cbranch_execz .LBB171_77
; %bb.76:
	ds_read_u8 v20, v2 offset:3584
	s_waitcnt lgkmcnt(0)
	v_lshrrev_b32_e32 v20, s44, v20
	v_and_b32_e32 v21, s50, v20
.LBB171_77:
	;; [unrolled: 20-line block ×3, first 2 shown]
	s_or_b64 exec, exec, s[4:5]
	v_lshlrev_b32_e32 v27, 3, v27
	s_barrier
	s_waitcnt vmcnt(0)
	ds_write_b64 v27, v[4:5] offset:2048
	v_lshlrev_b32_e32 v4, 3, v26
	ds_write_b64 v4, v[6:7] offset:2048
	v_lshlrev_b32_e32 v4, 3, v25
	;; [unrolled: 2-line block ×5, first 2 shown]
	v_lshlrev_b32_e32 v2, 3, v2
	ds_write_b64 v4, v[18:19] offset:2048
	s_waitcnt lgkmcnt(0)
	s_barrier
	s_and_saveexec_b64 s[4:5], s[14:15]
	s_cbranch_execz .LBB171_87
; %bb.82:
	v_lshlrev_b32_e32 v3, 3, v3
	ds_read_b64 v[4:5], v3
	ds_read_b64 v[6:7], v11 offset:2048
	v_mov_b32_e32 v3, 0
	s_waitcnt lgkmcnt(1)
	v_lshl_add_u64 v[4:5], v[4:5], 3, s[42:43]
	v_lshl_add_u64 v[4:5], v[4:5], 0, v[2:3]
	s_waitcnt lgkmcnt(0)
	global_store_dwordx2 v[4:5], v[6:7], off
	s_or_b64 exec, exec, s[4:5]
	s_and_saveexec_b64 s[4:5], s[16:17]
	s_cbranch_execnz .LBB171_88
.LBB171_83:
	s_or_b64 exec, exec, s[4:5]
	s_and_saveexec_b64 s[4:5], s[18:19]
	s_cbranch_execz .LBB171_89
.LBB171_84:
	v_lshlrev_b32_e32 v3, 3, v35
	ds_read_b64 v[4:5], v3
	ds_read_b64 v[6:7], v11 offset:10240
	v_lshlrev_b32_e32 v12, 3, v29
	v_mov_b32_e32 v13, 0
	s_waitcnt lgkmcnt(1)
	v_lshl_add_u64 v[4:5], v[4:5], 3, s[42:43]
	v_lshl_add_u64 v[4:5], v[4:5], 0, v[12:13]
	s_waitcnt lgkmcnt(0)
	global_store_dwordx2 v[4:5], v[6:7], off
	s_or_b64 exec, exec, s[4:5]
	s_and_saveexec_b64 s[4:5], s[20:21]
	s_cbranch_execnz .LBB171_90
.LBB171_85:
	s_or_b64 exec, exec, s[4:5]
	s_and_saveexec_b64 s[4:5], s[22:23]
	s_cbranch_execz .LBB171_91
.LBB171_86:
	v_lshlrev_b32_e32 v3, 3, v33
	ds_read_b64 v[4:5], v3
	ds_read_b64 v[6:7], v11 offset:18432
	v_lshlrev_b32_e32 v12, 3, v31
	v_mov_b32_e32 v13, 0
	s_waitcnt lgkmcnt(1)
	v_lshl_add_u64 v[4:5], v[4:5], 3, s[42:43]
	v_lshl_add_u64 v[4:5], v[4:5], 0, v[12:13]
	s_waitcnt lgkmcnt(0)
	global_store_dwordx2 v[4:5], v[6:7], off
	s_or_b64 exec, exec, s[4:5]
	s_and_saveexec_b64 s[4:5], s[24:25]
	s_cbranch_execnz .LBB171_92
	s_branch .LBB171_93
.LBB171_87:
	s_or_b64 exec, exec, s[4:5]
	s_and_saveexec_b64 s[4:5], s[16:17]
	s_cbranch_execz .LBB171_83
.LBB171_88:
	v_lshlrev_b32_e32 v3, 3, v34
	ds_read_b64 v[4:5], v3
	ds_read_b64 v[6:7], v11 offset:6144
	v_lshlrev_b32_e32 v12, 3, v28
	v_mov_b32_e32 v13, 0
	s_waitcnt lgkmcnt(1)
	v_lshl_add_u64 v[4:5], v[4:5], 3, s[42:43]
	v_lshl_add_u64 v[4:5], v[4:5], 0, v[12:13]
	s_waitcnt lgkmcnt(0)
	global_store_dwordx2 v[4:5], v[6:7], off
	s_or_b64 exec, exec, s[4:5]
	s_and_saveexec_b64 s[4:5], s[18:19]
	s_cbranch_execnz .LBB171_84
.LBB171_89:
	s_or_b64 exec, exec, s[4:5]
	s_and_saveexec_b64 s[4:5], s[20:21]
	s_cbranch_execz .LBB171_85
.LBB171_90:
	v_lshlrev_b32_e32 v3, 3, v21
	ds_read_b64 v[4:5], v3
	ds_read_b64 v[6:7], v11 offset:14336
	v_lshlrev_b32_e32 v12, 3, v30
	v_mov_b32_e32 v13, 0
	s_waitcnt lgkmcnt(1)
	v_lshl_add_u64 v[4:5], v[4:5], 3, s[42:43]
	v_lshl_add_u64 v[4:5], v[4:5], 0, v[12:13]
	s_waitcnt lgkmcnt(0)
	global_store_dwordx2 v[4:5], v[6:7], off
	s_or_b64 exec, exec, s[4:5]
	s_and_saveexec_b64 s[4:5], s[22:23]
	s_cbranch_execnz .LBB171_86
.LBB171_91:
	s_or_b64 exec, exec, s[4:5]
	s_and_saveexec_b64 s[4:5], s[24:25]
	s_cbranch_execz .LBB171_93
.LBB171_92:
	v_lshlrev_b32_e32 v3, 3, v20
	ds_read_b64 v[4:5], v3
	ds_read_b64 v[6:7], v11 offset:22528
	v_lshlrev_b32_e32 v12, 3, v32
	v_mov_b32_e32 v13, 0
	s_waitcnt lgkmcnt(1)
	v_lshl_add_u64 v[4:5], v[4:5], 3, s[42:43]
	v_lshl_add_u64 v[4:5], v[4:5], 0, v[12:13]
	s_waitcnt lgkmcnt(0)
	global_store_dwordx2 v[4:5], v[6:7], off
.LBB171_93:
	s_or_b64 exec, exec, s[4:5]
	s_add_i32 s3, s3, -1
	s_cmp_eq_u32 s2, s3
	s_cselect_b64 s[4:5], -1, 0
	s_xor_b64 s[6:7], s[12:13], -1
	s_and_b64 s[6:7], s[6:7], s[4:5]
	s_and_saveexec_b64 s[4:5], s[6:7]
	s_cbranch_execz .LBB171_95
; %bb.94:
	ds_read_b64 v[4:5], v11
	v_mov_b32_e32 v11, 0
	v_lshl_add_u64 v[6:7], v[8:9], 0, v[10:11]
	s_waitcnt lgkmcnt(0)
	v_lshl_add_u64 v[4:5], v[6:7], 0, v[4:5]
	global_store_dwordx2 v2, v[4:5], s[30:31]
.LBB171_95:
	s_or_b64 exec, exec, s[4:5]
	s_mov_b64 s[4:5], 0
.LBB171_96:
	s_and_b64 vcc, exec, s[4:5]
	s_cbranch_vccz .LBB171_131
; %bb.97:
	s_add_u32 s4, s36, s34
	s_addc_u32 s5, s37, 0
	v_mbcnt_hi_u32_b32 v6, -1, v1
	v_and_b32_e32 v13, 0x1c0, v0
	v_mov_b32_e32 v7, 0
	v_mul_u32_u24_e32 v4, 6, v13
	v_lshl_add_u64 v[2:3], s[4:5], 0, v[6:7]
	v_mov_b32_e32 v5, v7
	v_lshl_add_u64 v[2:3], v[2:3], 0, v[4:5]
	global_load_ubyte v1, v[2:3], off
	s_load_dword s3, s[0:1], 0x50
	s_load_dword s6, s[0:1], 0x5c
	global_load_ubyte v9, v[2:3], off offset:64
	global_load_ubyte v8, v[2:3], off offset:128
	;; [unrolled: 1-line block ×5, first 2 shown]
	v_and_b32_e32 v2, 0x3ff, v0
	v_bfe_u32 v5, v0, 10, 10
	v_bfe_u32 v0, v0, 20, 10
	s_mov_b32 s35, 0
	v_mul_u32_u24_e32 v10, 20, v2
	s_waitcnt vmcnt(5)
	v_and_b32_e32 v1, 1, v1
	v_cmp_eq_u32_e32 vcc, 1, v1
	s_xor_b64 s[4:5], vcc, -1
	s_add_u32 s0, s0, 0x50
	s_addc_u32 s1, s1, 0
	s_waitcnt lgkmcnt(0)
	s_lshr_b32 s6, s6, 16
	s_cmp_lt_u32 s2, s3
	s_cselect_b32 s7, 12, 18
	s_add_u32 s0, s0, s7
	s_addc_u32 s1, s1, 0
	global_load_ushort v11, v7, s[0:1]
	v_cndmask_b32_e64 v3, 0, 1, s[4:5]
	v_lshrrev_b32_e32 v12, s44, v3
	s_lshl_b32 s0, -1, s45
	v_mov_b32_e32 v1, v7
	v_mad_u32_u24 v14, v0, s6, v5
	v_bitop3_b32 v0, v12, s0, v12 bitop3:0x30
	v_mul_u32_u24_e32 v12, 36, v0
	v_cmp_ne_u32_e32 vcc, 0, v0
	v_lshl_add_u64 v[0:1], v[0:1], 0, -1
	s_not_b32 s12, s0
	v_xor_b32_e32 v0, vcc_lo, v0
	v_xor_b32_e32 v1, vcc_hi, v1
	v_and_b32_e32 v0, exec_lo, v0
	v_and_b32_e32 v1, exec_hi, v1
	v_mbcnt_lo_u32_b32 v5, v0, 0
	v_mbcnt_hi_u32_b32 v5, v1, v5
	v_cmp_ne_u64_e32 vcc, 0, v[0:1]
	v_cmp_eq_u32_e64 s[0:1], 0, v5
	ds_write2_b32 v10, v7, v7 offset0:8 offset1:9
	ds_write2_b32 v10, v7, v7 offset0:10 offset1:11
	ds_write_b32 v10, v7 offset:48
	s_waitcnt lgkmcnt(0)
	s_barrier
	s_waitcnt vmcnt(0)
	; wave barrier
	v_mad_u64_u32 v[14:15], s[4:5], v14, v11, v[2:3]
	v_lshrrev_b32_e32 v11, 4, v14
	v_and_b32_e32 v27, 0xffffffc, v11
	s_and_b64 s[4:5], vcc, s[0:1]
	v_add_u32_e32 v15, v27, v12
	s_and_saveexec_b64 s[0:1], s[4:5]
; %bb.98:
	v_bcnt_u32_b32 v0, v0, 0
	v_bcnt_u32_b32 v0, v1, v0
	ds_write_b32 v15, v0 offset:32
; %bb.99:
	s_or_b64 exec, exec, s[0:1]
	v_and_b32_e32 v0, 1, v9
	v_cmp_eq_u32_e32 vcc, 1, v0
	s_xor_b64 s[0:1], vcc, -1
	v_cndmask_b32_e64 v11, 0, 1, s[0:1]
	v_lshrrev_b32_e32 v0, s44, v11
	v_and_b32_e32 v0, s12, v0
	v_mad_u32_u24 v1, v0, 36, v27
	; wave barrier
	ds_read_b32 v12, v1 offset:32
	v_mov_b32_e32 v1, v7
	v_mul_u32_u24_e32 v9, 36, v0
	v_cmp_ne_u32_e32 vcc, 0, v0
	v_lshl_add_u64 v[0:1], v[0:1], 0, -1
	v_add_u32_e32 v18, v27, v9
	v_xor_b32_e32 v0, vcc_lo, v0
	v_xor_b32_e32 v1, vcc_hi, v1
	v_and_b32_e32 v0, exec_lo, v0
	v_and_b32_e32 v1, exec_hi, v1
	v_mbcnt_lo_u32_b32 v7, v0, 0
	v_mbcnt_hi_u32_b32 v7, v1, v7
	v_cmp_eq_u32_e32 vcc, 0, v7
	v_cmp_ne_u64_e64 s[0:1], 0, v[0:1]
	s_and_b64 s[4:5], s[0:1], vcc
	; wave barrier
	s_and_saveexec_b64 s[0:1], s[4:5]
	s_cbranch_execz .LBB171_101
; %bb.100:
	v_bcnt_u32_b32 v0, v0, 0
	v_bcnt_u32_b32 v0, v1, v0
	s_waitcnt lgkmcnt(0)
	v_add_u32_e32 v0, v12, v0
	ds_write_b32 v18, v0 offset:32
.LBB171_101:
	s_or_b64 exec, exec, s[0:1]
	v_and_b32_e32 v0, 1, v8
	v_cmp_eq_u32_e32 vcc, 1, v0
	s_xor_b64 s[0:1], vcc, -1
	v_cndmask_b32_e64 v14, 0, 1, s[0:1]
	v_lshrrev_b32_e32 v0, s44, v14
	v_and_b32_e32 v0, s12, v0
	v_mad_u32_u24 v1, v0, 36, v27
	; wave barrier
	ds_read_b32 v16, v1 offset:32
	v_mov_b32_e32 v1, 0
	v_cmp_ne_u32_e32 vcc, 0, v0
	v_lshl_add_u64 v[8:9], v[0:1], 0, -1
	v_mul_u32_u24_e32 v20, 36, v0
	v_xor_b32_e32 v8, vcc_lo, v8
	v_xor_b32_e32 v0, vcc_hi, v9
	v_and_b32_e32 v8, exec_lo, v8
	v_and_b32_e32 v9, exec_hi, v0
	v_mbcnt_lo_u32_b32 v0, v8, 0
	v_mbcnt_hi_u32_b32 v17, v9, v0
	v_cmp_eq_u32_e32 vcc, 0, v17
	v_cmp_ne_u64_e64 s[0:1], 0, v[8:9]
	s_and_b64 s[4:5], s[0:1], vcc
	v_add_u32_e32 v24, v27, v20
	; wave barrier
	s_and_saveexec_b64 s[0:1], s[4:5]
	s_cbranch_execz .LBB171_103
; %bb.102:
	v_bcnt_u32_b32 v0, v8, 0
	v_bcnt_u32_b32 v0, v9, v0
	s_waitcnt lgkmcnt(0)
	v_add_u32_e32 v0, v16, v0
	ds_write_b32 v24, v0 offset:32
.LBB171_103:
	s_or_b64 exec, exec, s[0:1]
	v_and_b32_e32 v0, 1, v19
	v_cmp_eq_u32_e32 vcc, 1, v0
	s_xor_b64 s[0:1], vcc, -1
	v_cndmask_b32_e64 v19, 0, 1, s[0:1]
	v_lshrrev_b32_e32 v0, s44, v19
	v_and_b32_e32 v0, s12, v0
	v_mul_u32_u24_e32 v8, 36, v0
	v_mad_u32_u24 v9, v0, 36, v27
	v_cmp_ne_u32_e32 vcc, 0, v0
	v_lshl_add_u64 v[0:1], v[0:1], 0, -1
	s_nop 0
	v_xor_b32_e32 v0, vcc_lo, v0
	; wave barrier
	ds_read_b32 v20, v9 offset:32
	v_xor_b32_e32 v1, vcc_hi, v1
	v_and_b32_e32 v0, exec_lo, v0
	v_and_b32_e32 v1, exec_hi, v1
	v_mbcnt_lo_u32_b32 v9, v0, 0
	v_mbcnt_hi_u32_b32 v21, v1, v9
	v_cmp_eq_u32_e32 vcc, 0, v21
	v_cmp_ne_u64_e64 s[0:1], 0, v[0:1]
	s_and_b64 s[4:5], s[0:1], vcc
	v_add_u32_e32 v28, v27, v8
	; wave barrier
	s_and_saveexec_b64 s[0:1], s[4:5]
	s_cbranch_execz .LBB171_105
; %bb.104:
	v_bcnt_u32_b32 v0, v0, 0
	v_bcnt_u32_b32 v0, v1, v0
	s_waitcnt lgkmcnt(0)
	v_add_u32_e32 v0, v20, v0
	ds_write_b32 v28, v0 offset:32
.LBB171_105:
	s_or_b64 exec, exec, s[0:1]
	v_and_b32_e32 v0, 1, v23
	v_cmp_eq_u32_e32 vcc, 1, v0
	s_xor_b64 s[0:1], vcc, -1
	v_cndmask_b32_e64 v23, 0, 1, s[0:1]
	v_lshrrev_b32_e32 v0, s44, v23
	v_and_b32_e32 v0, s12, v0
	v_mad_u32_u24 v1, v0, 36, v27
	; wave barrier
	ds_read_b32 v25, v1 offset:32
	v_mov_b32_e32 v1, 0
	v_cmp_ne_u32_e32 vcc, 0, v0
	v_lshl_add_u64 v[8:9], v[0:1], 0, -1
	v_mul_u32_u24_e32 v29, 36, v0
	v_xor_b32_e32 v8, vcc_lo, v8
	v_xor_b32_e32 v0, vcc_hi, v9
	v_and_b32_e32 v8, exec_lo, v8
	v_and_b32_e32 v9, exec_hi, v0
	v_mbcnt_lo_u32_b32 v0, v8, 0
	v_mbcnt_hi_u32_b32 v26, v9, v0
	v_cmp_eq_u32_e32 vcc, 0, v26
	v_cmp_ne_u64_e64 s[0:1], 0, v[8:9]
	s_and_b64 s[4:5], s[0:1], vcc
	v_add_u32_e32 v32, v27, v29
	; wave barrier
	s_and_saveexec_b64 s[0:1], s[4:5]
	s_cbranch_execz .LBB171_107
; %bb.106:
	v_bcnt_u32_b32 v0, v8, 0
	v_bcnt_u32_b32 v0, v9, v0
	s_waitcnt lgkmcnt(0)
	v_add_u32_e32 v0, v25, v0
	ds_write_b32 v32, v0 offset:32
.LBB171_107:
	s_or_b64 exec, exec, s[0:1]
	v_and_b32_e32 v0, 1, v22
	v_cmp_eq_u32_e32 vcc, 1, v0
	s_xor_b64 s[0:1], vcc, -1
	v_cndmask_b32_e64 v29, 0, 1, s[0:1]
	v_lshrrev_b32_e32 v0, s44, v29
	v_and_b32_e32 v0, s12, v0
	v_mul_u32_u24_e32 v8, 36, v0
	v_mad_u32_u24 v9, v0, 36, v27
	v_cmp_ne_u32_e32 vcc, 0, v0
	v_lshl_add_u64 v[0:1], v[0:1], 0, -1
	s_nop 0
	v_xor_b32_e32 v0, vcc_lo, v0
	; wave barrier
	ds_read_b32 v30, v9 offset:32
	v_xor_b32_e32 v1, vcc_hi, v1
	v_and_b32_e32 v0, exec_lo, v0
	v_and_b32_e32 v1, exec_hi, v1
	v_mbcnt_lo_u32_b32 v9, v0, 0
	v_mbcnt_hi_u32_b32 v31, v1, v9
	v_cmp_eq_u32_e32 vcc, 0, v31
	v_cmp_ne_u64_e64 s[0:1], 0, v[0:1]
	s_and_b64 s[4:5], s[0:1], vcc
	v_add_u32_e32 v22, v27, v8
	; wave barrier
	s_and_saveexec_b64 s[0:1], s[4:5]
	s_cbranch_execz .LBB171_109
; %bb.108:
	v_bcnt_u32_b32 v0, v0, 0
	v_bcnt_u32_b32 v0, v1, v0
	s_waitcnt lgkmcnt(0)
	v_add_u32_e32 v0, v30, v0
	ds_write_b32 v22, v0 offset:32
.LBB171_109:
	s_or_b64 exec, exec, s[0:1]
	; wave barrier
	s_waitcnt lgkmcnt(0)
	s_barrier
	ds_read2_b32 v[8:9], v10 offset0:8 offset1:9
	ds_read2_b32 v[0:1], v10 offset0:10 offset1:11
	ds_read_b32 v27, v10 offset:48
	v_min_u32_e32 v13, 0x1c0, v13
	v_or_b32_e32 v13, 63, v13
	s_waitcnt lgkmcnt(1)
	v_add3_u32 v33, v9, v8, v0
	s_waitcnt lgkmcnt(0)
	v_add3_u32 v27, v33, v1, v27
	v_and_b32_e32 v33, 15, v6
	v_cmp_ne_u32_e32 vcc, 0, v33
	v_mov_b32_dpp v34, v27 row_shr:1 row_mask:0xf bank_mask:0xf
	s_nop 0
	v_cndmask_b32_e32 v34, 0, v34, vcc
	v_add_u32_e32 v27, v34, v27
	v_cmp_lt_u32_e32 vcc, 1, v33
	s_nop 0
	v_mov_b32_dpp v34, v27 row_shr:2 row_mask:0xf bank_mask:0xf
	v_cndmask_b32_e32 v34, 0, v34, vcc
	v_add_u32_e32 v27, v27, v34
	v_cmp_lt_u32_e32 vcc, 3, v33
	s_nop 0
	v_mov_b32_dpp v34, v27 row_shr:4 row_mask:0xf bank_mask:0xf
	;; [unrolled: 5-line block ×3, first 2 shown]
	v_cndmask_b32_e32 v33, 0, v34, vcc
	v_add_u32_e32 v27, v27, v33
	v_bfe_i32 v34, v6, 4, 1
	v_cmp_lt_u32_e32 vcc, 31, v6
	v_mov_b32_dpp v33, v27 row_bcast:15 row_mask:0xf bank_mask:0xf
	v_and_b32_e32 v33, v34, v33
	v_add_u32_e32 v27, v27, v33
	s_nop 1
	v_mov_b32_dpp v33, v27 row_bcast:31 row_mask:0xf bank_mask:0xf
	v_cndmask_b32_e32 v33, 0, v33, vcc
	v_add_u32_e32 v27, v27, v33
	v_lshrrev_b32_e32 v33, 6, v2
	v_cmp_eq_u32_e32 vcc, v2, v13
	s_and_saveexec_b64 s[0:1], vcc
; %bb.110:
	v_lshlrev_b32_e32 v13, 2, v33
	ds_write_b32 v13, v27
; %bb.111:
	s_or_b64 exec, exec, s[0:1]
	v_cmp_gt_u32_e32 vcc, 8, v2
	s_waitcnt lgkmcnt(0)
	s_barrier
	s_and_saveexec_b64 s[0:1], vcc
	s_cbranch_execz .LBB171_113
; %bb.112:
	v_lshlrev_b32_e32 v13, 2, v2
	ds_read_b32 v34, v13
	v_and_b32_e32 v35, 7, v6
	v_cmp_ne_u32_e32 vcc, 0, v35
	s_waitcnt lgkmcnt(0)
	v_mov_b32_dpp v36, v34 row_shr:1 row_mask:0xf bank_mask:0xf
	v_cndmask_b32_e32 v36, 0, v36, vcc
	v_add_u32_e32 v34, v36, v34
	v_cmp_lt_u32_e32 vcc, 1, v35
	s_nop 0
	v_mov_b32_dpp v36, v34 row_shr:2 row_mask:0xf bank_mask:0xf
	v_cndmask_b32_e32 v36, 0, v36, vcc
	v_add_u32_e32 v34, v34, v36
	v_cmp_lt_u32_e32 vcc, 3, v35
	s_nop 0
	v_mov_b32_dpp v36, v34 row_shr:4 row_mask:0xf bank_mask:0xf
	v_cndmask_b32_e32 v35, 0, v36, vcc
	v_add_u32_e32 v34, v34, v35
	ds_write_b32 v13, v34
.LBB171_113:
	s_or_b64 exec, exec, s[0:1]
	v_cmp_lt_u32_e32 vcc, 63, v2
	v_mov_b32_e32 v13, 0
	s_waitcnt lgkmcnt(0)
	s_barrier
	s_and_saveexec_b64 s[0:1], vcc
; %bb.114:
	v_lshl_add_u32 v13, v33, 2, -4
	ds_read_b32 v13, v13
; %bb.115:
	s_or_b64 exec, exec, s[0:1]
	v_subrev_co_u32_e32 v33, vcc, 1, v6
	v_and_b32_e32 v34, 64, v6
	v_cmp_lt_i32_e64 s[0:1], v33, v34
	s_waitcnt lgkmcnt(0)
	v_add_u32_e32 v27, v13, v27
	s_movk_i32 s4, 0x100
	v_cndmask_b32_e64 v33, v33, v6, s[0:1]
	v_lshlrev_b32_e32 v33, 2, v33
	ds_bpermute_b32 v27, v33, v27
	s_movk_i32 s0, 0xff
	s_waitcnt lgkmcnt(0)
	v_cndmask_b32_e32 v13, v27, v13, vcc
	v_cmp_ne_u32_e32 vcc, 0, v2
	s_nop 1
	v_cndmask_b32_e32 v13, 0, v13, vcc
	v_add_u32_e32 v8, v13, v8
	v_add_u32_e32 v9, v8, v9
	;; [unrolled: 1-line block ×4, first 2 shown]
	ds_write2_b32 v10, v13, v8 offset0:8 offset1:9
	ds_write2_b32 v10, v9, v0 offset0:10 offset1:11
	ds_write_b32 v10, v1 offset:48
	s_waitcnt lgkmcnt(0)
	s_barrier
	ds_read_b32 v9, v15 offset:32
	ds_read_b32 v10, v18 offset:32
	;; [unrolled: 1-line block ×6, first 2 shown]
	v_cmp_lt_u32_e32 vcc, s0, v2
	v_cmp_gt_u32_e64 s[0:1], s4, v2
	v_mov_b64_e32 v[0:1], 0
                                        ; implicit-def: $vgpr8
	s_and_saveexec_b64 s[6:7], s[0:1]
	s_cbranch_execz .LBB171_119
; %bb.116:
	v_mul_u32_u24_e32 v0, 36, v2
	ds_read_b32 v0, v0 offset:32
	v_add_u32_e32 v8, 1, v2
	v_cmp_ne_u32_e64 s[4:5], s4, v8
	v_mov_b32_e32 v1, 0xc00
	s_and_saveexec_b64 s[8:9], s[4:5]
; %bb.117:
	v_mul_u32_u24_e32 v1, 36, v8
	ds_read_b32 v1, v1 offset:32
; %bb.118:
	s_or_b64 exec, exec, s[8:9]
	s_waitcnt lgkmcnt(0)
	v_sub_u32_e32 v8, v1, v0
	v_mov_b32_e32 v1, 0
.LBB171_119:
	s_or_b64 exec, exec, s[6:7]
	s_waitcnt lgkmcnt(5)
	v_add_u32_e32 v24, v9, v5
	s_waitcnt lgkmcnt(4)
	v_add3_u32 v22, v7, v12, v10
	s_waitcnt lgkmcnt(3)
	v_add3_u32 v18, v17, v16, v13
	;; [unrolled: 2-line block ×5, first 2 shown]
	s_barrier
	ds_write_b8 v24, v3 offset:2048
	ds_write_b8 v22, v11 offset:2048
	ds_write_b8 v18, v14 offset:2048
	ds_write_b8 v17, v19 offset:2048
	ds_write_b8 v16, v23 offset:2048
	ds_write_b8 v9, v29 offset:2048
	v_mov_b32_e32 v11, 0
	v_mov_b32_e32 v3, v11
	v_lshlrev_b32_e32 v5, 3, v2
	s_waitcnt lgkmcnt(0)
	s_barrier
	s_and_saveexec_b64 s[4:5], s[0:1]
	s_cbranch_execz .LBB171_129
; %bb.120:
	v_lshl_add_u32 v10, s2, 8, v2
	v_lshl_add_u64 v[12:13], v[10:11], 2, s[48:49]
	v_or_b32_e32 v7, 2.0, v8
	global_store_dword v[12:13], v7, off sc1
	s_mov_b64 s[6:7], 0
	s_brev_b32 s13, -4
	s_mov_b32 s14, s2
	v_mov_b32_e32 v7, 0
                                        ; implicit-def: $sgpr0_sgpr1
	s_branch .LBB171_123
.LBB171_121:                            ;   in Loop: Header=BB171_123 Depth=1
	s_or_b64 exec, exec, s[10:11]
.LBB171_122:                            ;   in Loop: Header=BB171_123 Depth=1
	s_or_b64 exec, exec, s[8:9]
	v_and_b32_e32 v14, 0x3fffffff, v10
	v_add_u32_e32 v7, v14, v7
	v_cmp_gt_i32_e64 s[0:1], -2.0, v10
	s_and_b64 s[8:9], exec, s[0:1]
	s_or_b64 s[6:7], s[8:9], s[6:7]
	s_andn2_b64 exec, exec, s[6:7]
	s_cbranch_execz .LBB171_128
.LBB171_123:                            ; =>This Loop Header: Depth=1
                                        ;     Child Loop BB171_126 Depth 2
	s_or_b64 s[0:1], s[0:1], exec
	s_cmp_eq_u32 s14, 0
	s_cbranch_scc1 .LBB171_127
; %bb.124:                              ;   in Loop: Header=BB171_123 Depth=1
	s_add_i32 s14, s14, -1
	v_lshl_or_b32 v10, s14, 8, v2
	v_lshl_add_u64 v[14:15], v[10:11], 2, s[48:49]
	global_load_dword v10, v[14:15], off sc1
	s_waitcnt vmcnt(0)
	v_cmp_gt_u32_e64 s[0:1], 2.0, v10
	s_and_saveexec_b64 s[8:9], s[0:1]
	s_cbranch_execz .LBB171_122
; %bb.125:                              ;   in Loop: Header=BB171_123 Depth=1
	s_mov_b64 s[10:11], 0
.LBB171_126:                            ;   Parent Loop BB171_123 Depth=1
                                        ; =>  This Inner Loop Header: Depth=2
	global_load_dword v10, v[14:15], off sc1
	s_waitcnt vmcnt(0)
	v_cmp_lt_u32_e64 s[0:1], s13, v10
	s_or_b64 s[10:11], s[0:1], s[10:11]
	s_andn2_b64 exec, exec, s[10:11]
	s_cbranch_execnz .LBB171_126
	s_branch .LBB171_121
.LBB171_127:                            ;   in Loop: Header=BB171_123 Depth=1
                                        ; implicit-def: $sgpr14
	s_and_b64 s[8:9], exec, s[0:1]
	s_or_b64 s[6:7], s[8:9], s[6:7]
	s_andn2_b64 exec, exec, s[6:7]
	s_cbranch_execnz .LBB171_123
.LBB171_128:
	s_or_b64 exec, exec, s[6:7]
	v_add_u32_e32 v11, v7, v8
	v_or_b32_e32 v11, 0x80000000, v11
	v_lshlrev_b32_e32 v10, 3, v2
	global_store_dword v[12:13], v11, off sc1
	global_load_dwordx2 v[10:11], v10, s[28:29]
	v_sub_co_u32_e64 v12, s[0:1], v7, v0
	s_nop 1
	v_subb_co_u32_e64 v13, s[0:1], 0, v1, s[0:1]
	s_waitcnt vmcnt(0)
	v_lshl_add_u64 v[10:11], v[12:13], 0, v[10:11]
	ds_write_b64 v5, v[10:11]
.LBB171_129:
	s_or_b64 exec, exec, s[4:5]
	s_lshl_b64 s[0:1], s[34:35], 3
	s_add_u32 s0, s40, s0
	s_addc_u32 s1, s41, s1
	v_lshlrev_b32_e32 v6, 3, v6
	v_mov_b32_e32 v7, 0
	v_lshl_add_u64 v[10:11], s[0:1], 0, v[6:7]
	v_lshlrev_b32_e32 v6, 3, v4
	v_lshl_add_u64 v[10:11], v[10:11], 0, v[6:7]
	s_waitcnt lgkmcnt(0)
	s_barrier
	global_load_dwordx2 v[12:13], v[10:11], off
	global_load_dwordx2 v[14:15], v[10:11], off offset:512
	global_load_dwordx2 v[20:21], v[10:11], off offset:1024
	;; [unrolled: 1-line block ×5, first 2 shown]
	ds_read_u8 v4, v2 offset:2048
	ds_read_u8 v6, v2 offset:2560
	;; [unrolled: 1-line block ×6, first 2 shown]
	v_lshlrev_b32_e32 v38, 3, v18
	s_waitcnt lgkmcnt(5)
	v_and_b32_e32 v18, 1, v4
	v_lshlrev_b32_e32 v36, 3, v24
	v_lshlrev_b32_e32 v37, 3, v22
	s_waitcnt lgkmcnt(4)
	v_and_b32_e32 v22, 1, v6
	s_waitcnt lgkmcnt(3)
	v_and_b32_e32 v24, 1, v10
	v_xor_b32_e32 v39, 1, v10
	s_waitcnt lgkmcnt(2)
	v_and_b32_e32 v10, 1, v11
	v_xor_b32_e32 v40, 1, v11
	;; [unrolled: 3-line block ×3, first 2 shown]
	s_waitcnt lgkmcnt(0)
	v_and_b32_e32 v19, 1, v23
	v_lshrrev_b32_e32 v18, s44, v18
	v_xor_b32_e32 v42, 1, v23
	v_lshrrev_b32_e32 v22, s44, v22
	v_lshrrev_b32_e32 v23, s44, v24
	;; [unrolled: 1-line block ×5, first 2 shown]
	v_and_b32_e32 v18, s12, v18
	v_and_b32_e32 v22, s12, v22
	;; [unrolled: 1-line block ×6, first 2 shown]
	v_lshlrev_b32_e32 v43, 3, v18
	v_lshlrev_b32_e32 v44, 3, v22
	;; [unrolled: 1-line block ×6, first 2 shown]
	ds_read_b64 v[10:11], v43
	ds_read_b64 v[18:19], v44
	;; [unrolled: 1-line block ×6, first 2 shown]
	s_waitcnt lgkmcnt(5)
	v_lshl_add_u64 v[10:11], s[38:39], 0, v[10:11]
	s_waitcnt lgkmcnt(4)
	v_lshl_add_u64 v[18:19], s[38:39], 0, v[18:19]
	;; [unrolled: 2-line block ×6, first 2 shown]
	v_xor_b32_e32 v4, 1, v4
	v_lshl_add_u64 v[10:11], v[10:11], 0, v[2:3]
	v_lshl_add_u64 v[18:19], v[18:19], 0, v[2:3]
	;; [unrolled: 1-line block ×6, first 2 shown]
	v_lshlrev_b32_e32 v3, 3, v17
	v_xor_b32_e32 v6, 1, v6
	global_store_byte v[10:11], v4, off
	global_store_byte v[18:19], v6, off offset:512
	global_store_byte v[22:23], v39, off offset:1024
	global_store_byte v[24:25], v40, off offset:1536
	global_store_byte v[32:33], v41, off offset:2048
	global_store_byte v[34:35], v42, off offset:2560
	s_barrier
	v_mad_u32_u24 v4, v2, 7, v2
	v_lshlrev_b32_e32 v6, 3, v2
	s_add_i32 s3, s3, -1
	s_cmp_eq_u32 s2, s3
	s_cselect_b64 s[0:1], -1, 0
	s_xor_b64 s[2:3], vcc, -1
	s_and_b64 s[0:1], s[2:3], s[0:1]
	s_waitcnt vmcnt(11)
	ds_write_b64 v36, v[12:13] offset:2048
	s_waitcnt vmcnt(10)
	ds_write_b64 v37, v[14:15] offset:2048
	;; [unrolled: 2-line block ×4, first 2 shown]
	v_lshlrev_b32_e32 v3, 3, v16
	s_waitcnt vmcnt(7)
	ds_write_b64 v3, v[28:29] offset:2048
	v_lshlrev_b32_e32 v3, 3, v9
	s_waitcnt vmcnt(6)
	ds_write_b64 v3, v[30:31] offset:2048
	s_waitcnt lgkmcnt(0)
	s_barrier
	ds_read_b64 v[14:15], v43
	ds_read2st64_b64 v[10:13], v4 offset0:4 offset1:12
	ds_read_b64 v[16:17], v44
	ds_read_b64 v[18:19], v45
	;; [unrolled: 1-line block ×3, first 2 shown]
	s_waitcnt lgkmcnt(4)
	v_lshl_add_u64 v[14:15], v[14:15], 3, s[42:43]
	v_lshl_add_u64 v[2:3], v[14:15], 0, v[6:7]
	s_waitcnt lgkmcnt(3)
	global_store_dwordx2 v[2:3], v[10:11], off
	s_waitcnt lgkmcnt(2)
	v_lshl_add_u64 v[2:3], v[16:17], 3, s[42:43]
	v_add_u32_e32 v10, 0x1000, v5
	v_mov_b32_e32 v11, v7
	v_lshl_add_u64 v[2:3], v[2:3], 0, v[10:11]
	global_store_dwordx2 v[2:3], v[12:13], off
	ds_read2st64_b64 v[10:13], v4 offset0:20 offset1:28
	s_waitcnt lgkmcnt(2)
	v_lshl_add_u64 v[2:3], v[18:19], 3, s[42:43]
	v_or_b32_e32 v14, 0x2000, v5
	v_mov_b32_e32 v15, v7
	v_lshl_add_u64 v[2:3], v[2:3], 0, v[14:15]
	s_waitcnt lgkmcnt(0)
	global_store_dwordx2 v[2:3], v[10:11], off
	v_lshl_add_u64 v[2:3], v[20:21], 3, s[42:43]
	v_add_u32_e32 v10, 0x3000, v5
	v_mov_b32_e32 v11, v7
	ds_read_b64 v[14:15], v47
	v_lshl_add_u64 v[2:3], v[2:3], 0, v[10:11]
	global_store_dwordx2 v[2:3], v[12:13], off
	ds_read2st64_b64 v[10:13], v4 offset0:36 offset1:44
	ds_read_b64 v[2:3], v48
	v_or_b32_e32 v16, 0x4000, v5
	s_waitcnt lgkmcnt(2)
	v_lshl_add_u64 v[14:15], v[14:15], 3, s[42:43]
	v_mov_b32_e32 v17, v7
	v_lshl_add_u64 v[14:15], v[14:15], 0, v[16:17]
	s_waitcnt lgkmcnt(1)
	global_store_dwordx2 v[14:15], v[10:11], off
	s_waitcnt lgkmcnt(0)
	v_lshl_add_u64 v[2:3], v[2:3], 3, s[42:43]
	v_add_u32_e32 v10, 0x5000, v5
	v_mov_b32_e32 v11, v7
	v_lshl_add_u64 v[2:3], v[2:3], 0, v[10:11]
	global_store_dwordx2 v[2:3], v[12:13], off
	s_and_saveexec_b64 s[2:3], s[0:1]
	s_cbranch_execz .LBB171_131
; %bb.130:
	ds_read_b64 v[2:3], v5
	v_mov_b32_e32 v9, v7
	v_lshl_add_u64 v[0:1], v[0:1], 0, v[8:9]
	s_waitcnt lgkmcnt(0)
	v_lshl_add_u64 v[0:1], v[0:1], 0, v[2:3]
	global_store_dwordx2 v6, v[0:1], s[30:31]
.LBB171_131:
	s_endpgm
	.section	.rodata,"a",@progbits
	.p2align	6, 0x0
	.amdhsa_kernel _ZN7rocprim17ROCPRIM_304000_NS6detail25onesweep_iteration_kernelINS1_34wrapped_radix_sort_onesweep_configINS0_14default_configEbN2at4cuda3cub6detail10OpaqueTypeILi8EEEEELb1EPbSC_PSA_SD_mNS0_19identity_decomposerEEEvT1_T2_T3_T4_jPT5_SK_PNS1_23onesweep_lookback_stateET6_jjj
		.amdhsa_group_segment_fixed_size 26624
		.amdhsa_private_segment_fixed_size 0
		.amdhsa_kernarg_size 336
		.amdhsa_user_sgpr_count 2
		.amdhsa_user_sgpr_dispatch_ptr 0
		.amdhsa_user_sgpr_queue_ptr 0
		.amdhsa_user_sgpr_kernarg_segment_ptr 1
		.amdhsa_user_sgpr_dispatch_id 0
		.amdhsa_user_sgpr_kernarg_preload_length 0
		.amdhsa_user_sgpr_kernarg_preload_offset 0
		.amdhsa_user_sgpr_private_segment_size 0
		.amdhsa_uses_dynamic_stack 0
		.amdhsa_enable_private_segment 0
		.amdhsa_system_sgpr_workgroup_id_x 1
		.amdhsa_system_sgpr_workgroup_id_y 0
		.amdhsa_system_sgpr_workgroup_id_z 0
		.amdhsa_system_sgpr_workgroup_info 0
		.amdhsa_system_vgpr_workitem_id 2
		.amdhsa_next_free_vgpr 49
		.amdhsa_next_free_sgpr 51
		.amdhsa_accum_offset 52
		.amdhsa_reserve_vcc 1
		.amdhsa_float_round_mode_32 0
		.amdhsa_float_round_mode_16_64 0
		.amdhsa_float_denorm_mode_32 3
		.amdhsa_float_denorm_mode_16_64 3
		.amdhsa_dx10_clamp 1
		.amdhsa_ieee_mode 1
		.amdhsa_fp16_overflow 0
		.amdhsa_tg_split 0
		.amdhsa_exception_fp_ieee_invalid_op 0
		.amdhsa_exception_fp_denorm_src 0
		.amdhsa_exception_fp_ieee_div_zero 0
		.amdhsa_exception_fp_ieee_overflow 0
		.amdhsa_exception_fp_ieee_underflow 0
		.amdhsa_exception_fp_ieee_inexact 0
		.amdhsa_exception_int_div_zero 0
	.end_amdhsa_kernel
	.section	.text._ZN7rocprim17ROCPRIM_304000_NS6detail25onesweep_iteration_kernelINS1_34wrapped_radix_sort_onesweep_configINS0_14default_configEbN2at4cuda3cub6detail10OpaqueTypeILi8EEEEELb1EPbSC_PSA_SD_mNS0_19identity_decomposerEEEvT1_T2_T3_T4_jPT5_SK_PNS1_23onesweep_lookback_stateET6_jjj,"axG",@progbits,_ZN7rocprim17ROCPRIM_304000_NS6detail25onesweep_iteration_kernelINS1_34wrapped_radix_sort_onesweep_configINS0_14default_configEbN2at4cuda3cub6detail10OpaqueTypeILi8EEEEELb1EPbSC_PSA_SD_mNS0_19identity_decomposerEEEvT1_T2_T3_T4_jPT5_SK_PNS1_23onesweep_lookback_stateET6_jjj,comdat
.Lfunc_end171:
	.size	_ZN7rocprim17ROCPRIM_304000_NS6detail25onesweep_iteration_kernelINS1_34wrapped_radix_sort_onesweep_configINS0_14default_configEbN2at4cuda3cub6detail10OpaqueTypeILi8EEEEELb1EPbSC_PSA_SD_mNS0_19identity_decomposerEEEvT1_T2_T3_T4_jPT5_SK_PNS1_23onesweep_lookback_stateET6_jjj, .Lfunc_end171-_ZN7rocprim17ROCPRIM_304000_NS6detail25onesweep_iteration_kernelINS1_34wrapped_radix_sort_onesweep_configINS0_14default_configEbN2at4cuda3cub6detail10OpaqueTypeILi8EEEEELb1EPbSC_PSA_SD_mNS0_19identity_decomposerEEEvT1_T2_T3_T4_jPT5_SK_PNS1_23onesweep_lookback_stateET6_jjj
                                        ; -- End function
	.set _ZN7rocprim17ROCPRIM_304000_NS6detail25onesweep_iteration_kernelINS1_34wrapped_radix_sort_onesweep_configINS0_14default_configEbN2at4cuda3cub6detail10OpaqueTypeILi8EEEEELb1EPbSC_PSA_SD_mNS0_19identity_decomposerEEEvT1_T2_T3_T4_jPT5_SK_PNS1_23onesweep_lookback_stateET6_jjj.num_vgpr, 49
	.set _ZN7rocprim17ROCPRIM_304000_NS6detail25onesweep_iteration_kernelINS1_34wrapped_radix_sort_onesweep_configINS0_14default_configEbN2at4cuda3cub6detail10OpaqueTypeILi8EEEEELb1EPbSC_PSA_SD_mNS0_19identity_decomposerEEEvT1_T2_T3_T4_jPT5_SK_PNS1_23onesweep_lookback_stateET6_jjj.num_agpr, 0
	.set _ZN7rocprim17ROCPRIM_304000_NS6detail25onesweep_iteration_kernelINS1_34wrapped_radix_sort_onesweep_configINS0_14default_configEbN2at4cuda3cub6detail10OpaqueTypeILi8EEEEELb1EPbSC_PSA_SD_mNS0_19identity_decomposerEEEvT1_T2_T3_T4_jPT5_SK_PNS1_23onesweep_lookback_stateET6_jjj.numbered_sgpr, 51
	.set _ZN7rocprim17ROCPRIM_304000_NS6detail25onesweep_iteration_kernelINS1_34wrapped_radix_sort_onesweep_configINS0_14default_configEbN2at4cuda3cub6detail10OpaqueTypeILi8EEEEELb1EPbSC_PSA_SD_mNS0_19identity_decomposerEEEvT1_T2_T3_T4_jPT5_SK_PNS1_23onesweep_lookback_stateET6_jjj.num_named_barrier, 0
	.set _ZN7rocprim17ROCPRIM_304000_NS6detail25onesweep_iteration_kernelINS1_34wrapped_radix_sort_onesweep_configINS0_14default_configEbN2at4cuda3cub6detail10OpaqueTypeILi8EEEEELb1EPbSC_PSA_SD_mNS0_19identity_decomposerEEEvT1_T2_T3_T4_jPT5_SK_PNS1_23onesweep_lookback_stateET6_jjj.private_seg_size, 0
	.set _ZN7rocprim17ROCPRIM_304000_NS6detail25onesweep_iteration_kernelINS1_34wrapped_radix_sort_onesweep_configINS0_14default_configEbN2at4cuda3cub6detail10OpaqueTypeILi8EEEEELb1EPbSC_PSA_SD_mNS0_19identity_decomposerEEEvT1_T2_T3_T4_jPT5_SK_PNS1_23onesweep_lookback_stateET6_jjj.uses_vcc, 1
	.set _ZN7rocprim17ROCPRIM_304000_NS6detail25onesweep_iteration_kernelINS1_34wrapped_radix_sort_onesweep_configINS0_14default_configEbN2at4cuda3cub6detail10OpaqueTypeILi8EEEEELb1EPbSC_PSA_SD_mNS0_19identity_decomposerEEEvT1_T2_T3_T4_jPT5_SK_PNS1_23onesweep_lookback_stateET6_jjj.uses_flat_scratch, 0
	.set _ZN7rocprim17ROCPRIM_304000_NS6detail25onesweep_iteration_kernelINS1_34wrapped_radix_sort_onesweep_configINS0_14default_configEbN2at4cuda3cub6detail10OpaqueTypeILi8EEEEELb1EPbSC_PSA_SD_mNS0_19identity_decomposerEEEvT1_T2_T3_T4_jPT5_SK_PNS1_23onesweep_lookback_stateET6_jjj.has_dyn_sized_stack, 0
	.set _ZN7rocprim17ROCPRIM_304000_NS6detail25onesweep_iteration_kernelINS1_34wrapped_radix_sort_onesweep_configINS0_14default_configEbN2at4cuda3cub6detail10OpaqueTypeILi8EEEEELb1EPbSC_PSA_SD_mNS0_19identity_decomposerEEEvT1_T2_T3_T4_jPT5_SK_PNS1_23onesweep_lookback_stateET6_jjj.has_recursion, 0
	.set _ZN7rocprim17ROCPRIM_304000_NS6detail25onesweep_iteration_kernelINS1_34wrapped_radix_sort_onesweep_configINS0_14default_configEbN2at4cuda3cub6detail10OpaqueTypeILi8EEEEELb1EPbSC_PSA_SD_mNS0_19identity_decomposerEEEvT1_T2_T3_T4_jPT5_SK_PNS1_23onesweep_lookback_stateET6_jjj.has_indirect_call, 0
	.section	.AMDGPU.csdata,"",@progbits
; Kernel info:
; codeLenInByte = 7740
; TotalNumSgprs: 57
; NumVgprs: 49
; NumAgprs: 0
; TotalNumVgprs: 49
; ScratchSize: 0
; MemoryBound: 0
; FloatMode: 240
; IeeeMode: 1
; LDSByteSize: 26624 bytes/workgroup (compile time only)
; SGPRBlocks: 7
; VGPRBlocks: 6
; NumSGPRsForWavesPerEU: 57
; NumVGPRsForWavesPerEU: 49
; AccumOffset: 52
; Occupancy: 8
; WaveLimiterHint : 1
; COMPUTE_PGM_RSRC2:SCRATCH_EN: 0
; COMPUTE_PGM_RSRC2:USER_SGPR: 2
; COMPUTE_PGM_RSRC2:TRAP_HANDLER: 0
; COMPUTE_PGM_RSRC2:TGID_X_EN: 1
; COMPUTE_PGM_RSRC2:TGID_Y_EN: 0
; COMPUTE_PGM_RSRC2:TGID_Z_EN: 0
; COMPUTE_PGM_RSRC2:TIDIG_COMP_CNT: 2
; COMPUTE_PGM_RSRC3_GFX90A:ACCUM_OFFSET: 12
; COMPUTE_PGM_RSRC3_GFX90A:TG_SPLIT: 0
	.section	.text._ZN7rocprim17ROCPRIM_304000_NS6detail28radix_sort_block_sort_kernelINS1_36wrapped_radix_sort_block_sort_configINS0_13kernel_configILj256ELj4ELj4294967295EEEbN2at4cuda3cub6detail10OpaqueTypeILi8EEEEELb0EPKbPbPKSB_PSB_NS0_19identity_decomposerEEEvT1_T2_T3_T4_jT5_jj,"axG",@progbits,_ZN7rocprim17ROCPRIM_304000_NS6detail28radix_sort_block_sort_kernelINS1_36wrapped_radix_sort_block_sort_configINS0_13kernel_configILj256ELj4ELj4294967295EEEbN2at4cuda3cub6detail10OpaqueTypeILi8EEEEELb0EPKbPbPKSB_PSB_NS0_19identity_decomposerEEEvT1_T2_T3_T4_jT5_jj,comdat
	.protected	_ZN7rocprim17ROCPRIM_304000_NS6detail28radix_sort_block_sort_kernelINS1_36wrapped_radix_sort_block_sort_configINS0_13kernel_configILj256ELj4ELj4294967295EEEbN2at4cuda3cub6detail10OpaqueTypeILi8EEEEELb0EPKbPbPKSB_PSB_NS0_19identity_decomposerEEEvT1_T2_T3_T4_jT5_jj ; -- Begin function _ZN7rocprim17ROCPRIM_304000_NS6detail28radix_sort_block_sort_kernelINS1_36wrapped_radix_sort_block_sort_configINS0_13kernel_configILj256ELj4ELj4294967295EEEbN2at4cuda3cub6detail10OpaqueTypeILi8EEEEELb0EPKbPbPKSB_PSB_NS0_19identity_decomposerEEEvT1_T2_T3_T4_jT5_jj
	.globl	_ZN7rocprim17ROCPRIM_304000_NS6detail28radix_sort_block_sort_kernelINS1_36wrapped_radix_sort_block_sort_configINS0_13kernel_configILj256ELj4ELj4294967295EEEbN2at4cuda3cub6detail10OpaqueTypeILi8EEEEELb0EPKbPbPKSB_PSB_NS0_19identity_decomposerEEEvT1_T2_T3_T4_jT5_jj
	.p2align	8
	.type	_ZN7rocprim17ROCPRIM_304000_NS6detail28radix_sort_block_sort_kernelINS1_36wrapped_radix_sort_block_sort_configINS0_13kernel_configILj256ELj4ELj4294967295EEEbN2at4cuda3cub6detail10OpaqueTypeILi8EEEEELb0EPKbPbPKSB_PSB_NS0_19identity_decomposerEEEvT1_T2_T3_T4_jT5_jj,@function
_ZN7rocprim17ROCPRIM_304000_NS6detail28radix_sort_block_sort_kernelINS1_36wrapped_radix_sort_block_sort_configINS0_13kernel_configILj256ELj4ELj4294967295EEEbN2at4cuda3cub6detail10OpaqueTypeILi8EEEEELb0EPKbPbPKSB_PSB_NS0_19identity_decomposerEEEvT1_T2_T3_T4_jT5_jj: ; @_ZN7rocprim17ROCPRIM_304000_NS6detail28radix_sort_block_sort_kernelINS1_36wrapped_radix_sort_block_sort_configINS0_13kernel_configILj256ELj4ELj4294967295EEEbN2at4cuda3cub6detail10OpaqueTypeILi8EEEEELb0EPKbPbPKSB_PSB_NS0_19identity_decomposerEEEvT1_T2_T3_T4_jT5_jj
; %bb.0:
	s_load_dword s4, s[0:1], 0x20
	s_load_dwordx8 s[36:43], s[0:1], 0x0
	s_lshl_b32 s28, s2, 10
	v_and_b32_e32 v8, 0x3ff, v0
	v_mbcnt_lo_u32_b32 v1, -1, 0
	s_waitcnt lgkmcnt(0)
	s_lshr_b32 s3, s4, 10
	s_cmp_lg_u32 s2, s3
	s_cselect_b64 s[30:31], -1, 0
	s_add_u32 s6, s36, s28
	s_addc_u32 s7, s37, 0
	v_mbcnt_hi_u32_b32 v2, -1, v1
	v_lshlrev_b32_e32 v1, 2, v8
	v_mov_b32_e32 v3, 0
	v_and_b32_e32 v12, 0x300, v1
	v_lshl_add_u64 v[4:5], s[6:7], 0, v[2:3]
	v_mov_b32_e32 v13, v3
	s_mov_b32 s29, 0
	s_cmp_eq_u32 s2, s3
	v_lshl_add_u64 v[10:11], v[4:5], 0, v[12:13]
	v_lshlrev_b32_e32 v6, 3, v2
	v_lshlrev_b32_e32 v4, 3, v12
	v_add_u32_e32 v13, v2, v12
	s_cbranch_scc1 .LBB172_2
; %bb.1:
	s_lshl_b64 s[2:3], s[28:29], 3
	s_add_u32 s2, s40, s2
	s_addc_u32 s3, s41, s3
	v_mov_b32_e32 v7, v3
	v_lshl_add_u64 v[14:15], s[2:3], 0, v[6:7]
	v_mov_b32_e32 v5, v3
	v_lshl_add_u64 v[14:15], v[14:15], 0, v[4:5]
	global_load_ubyte v21, v[10:11], off offset:192
	global_load_ubyte v9, v[10:11], off offset:128
	;; [unrolled: 1-line block ×3, first 2 shown]
	global_load_ubyte v20, v[10:11], off
	global_load_dwordx2 v[40:41], v[14:15], off
	global_load_dwordx2 v[42:43], v[14:15], off offset:512
	global_load_dwordx2 v[44:45], v[14:15], off offset:1024
	;; [unrolled: 1-line block ×3, first 2 shown]
	v_add_u32_e32 v26, v2, v12
	v_add_u32_e32 v23, 64, v26
	;; [unrolled: 1-line block ×4, first 2 shown]
	s_sub_i32 s33, s4, s28
	s_cbranch_execz .LBB172_3
	s_branch .LBB172_17
.LBB172_2:
                                        ; implicit-def: $vgpr20
                                        ; implicit-def: $vgpr22
                                        ; implicit-def: $vgpr9
                                        ; implicit-def: $vgpr21
                                        ; implicit-def: $vgpr40_vgpr41
                                        ; implicit-def: $vgpr42_vgpr43
                                        ; implicit-def: $vgpr44_vgpr45
                                        ; implicit-def: $vgpr50_vgpr51
                                        ; implicit-def: $vgpr26
                                        ; implicit-def: $vgpr23
                                        ; implicit-def: $vgpr24
                                        ; implicit-def: $vgpr25
	s_sub_i32 s33, s4, s28
.LBB172_3:
	v_cmp_gt_u32_e32 vcc, s33, v13
	s_waitcnt vmcnt(6)
	v_mov_b32_e32 v9, 1
	s_waitcnt vmcnt(4)
	v_mov_b32_e32 v20, 1
	v_mov_b32_e32 v21, 1
	s_and_saveexec_b64 s[2:3], vcc
	s_cbranch_execz .LBB172_5
; %bb.4:
	global_load_ubyte v20, v[10:11], off
	v_mov_b32_e32 v21, 1
.LBB172_5:
	s_or_b64 exec, exec, s[2:3]
	v_add_u32_e32 v23, 64, v13
	v_cmp_gt_u32_e64 s[2:3], s33, v23
	v_mov_b32_e32 v22, v9
	s_and_saveexec_b64 s[4:5], s[2:3]
	s_cbranch_execz .LBB172_7
; %bb.6:
	global_load_ubyte v22, v[10:11], off offset:64
.LBB172_7:
	s_or_b64 exec, exec, s[4:5]
	v_add_u32_e32 v24, 0x80, v13
	v_cmp_gt_u32_e64 s[4:5], s33, v24
	s_and_saveexec_b64 s[6:7], s[4:5]
	s_cbranch_execz .LBB172_9
; %bb.8:
	global_load_ubyte v9, v[10:11], off offset:128
.LBB172_9:
	s_or_b64 exec, exec, s[6:7]
	v_add_u32_e32 v25, 0xc0, v13
	v_cmp_gt_u32_e64 s[6:7], s33, v25
	s_and_saveexec_b64 s[8:9], s[6:7]
	s_cbranch_execz .LBB172_11
; %bb.10:
	global_load_ubyte v21, v[10:11], off offset:192
.LBB172_11:
	s_or_b64 exec, exec, s[8:9]
	s_lshl_b64 s[8:9], s[28:29], 3
	s_add_u32 s8, s40, s8
	s_addc_u32 s9, s41, s9
	v_mov_b32_e32 v7, 0
	v_lshl_add_u64 v[10:11], s[8:9], 0, v[6:7]
	v_mov_b32_e32 v5, v7
	v_lshl_add_u64 v[4:5], v[10:11], 0, v[4:5]
                                        ; implicit-def: $vgpr40_vgpr41
	s_and_saveexec_b64 s[8:9], vcc
	s_cbranch_execnz .LBB172_54
; %bb.12:
	s_or_b64 exec, exec, s[8:9]
                                        ; implicit-def: $vgpr42_vgpr43
	s_and_saveexec_b64 s[8:9], s[2:3]
	s_cbranch_execnz .LBB172_55
.LBB172_13:
	s_or_b64 exec, exec, s[8:9]
                                        ; implicit-def: $vgpr44_vgpr45
	s_and_saveexec_b64 s[2:3], s[4:5]
	s_cbranch_execnz .LBB172_56
.LBB172_14:
	s_or_b64 exec, exec, s[2:3]
                                        ; implicit-def: $vgpr50_vgpr51
	s_and_saveexec_b64 s[2:3], s[6:7]
	s_cbranch_execz .LBB172_16
.LBB172_15:
	global_load_dwordx2 v[50:51], v[4:5], off offset:1536
.LBB172_16:
	s_or_b64 exec, exec, s[2:3]
	v_mov_b32_e32 v26, v13
.LBB172_17:
	s_load_dwordx2 s[34:35], s[0:1], 0x28
	s_load_dword s2, s[0:1], 0x3c
	v_bfe_u32 v3, v0, 10, 10
	v_bfe_u32 v0, v0, 20, 10
	v_lshlrev_b32_e32 v27, 2, v1
	v_and_b32_e32 v1, 64, v2
	s_waitcnt lgkmcnt(0)
	s_lshr_b32 s0, s2, 16
	s_and_b32 s1, s2, 0xffff
	v_mad_u32_u24 v0, v0, s0, v3
	s_waitcnt vmcnt(0)
	v_mad_u64_u32 v[4:5], s[0:1], v0, s1, v[8:9]
	v_lshrrev_b32_e32 v0, 4, v4
	v_and_b32_e32 v28, 0xffffffc, v0
	v_and_b32_e32 v0, 15, v2
	v_cmp_eq_u32_e64 s[0:1], 0, v0
	v_cmp_lt_u32_e64 s[2:3], 1, v0
	v_cmp_lt_u32_e64 s[4:5], 3, v0
	;; [unrolled: 1-line block ×3, first 2 shown]
	v_and_b32_e32 v0, 16, v2
	v_cmp_eq_u32_e64 s[8:9], 0, v0
	v_and_b32_e32 v0, 0x3c0, v8
	v_min_u32_e32 v0, 0xc0, v0
	v_or_b32_e32 v0, 63, v0
	v_cmp_eq_u32_e64 s[12:13], v8, v0
	v_subrev_co_u32_e64 v0, s[18:19], 1, v2
	v_cmp_lt_i32_e32 vcc, v0, v1
	s_mov_b32 s26, 0
	v_and_b32_e32 v1, 3, v2
	v_cndmask_b32_e32 v0, v0, v2, vcc
	v_lshlrev_b32_e32 v29, 2, v0
	v_lshrrev_b32_e32 v0, 4, v8
	v_cmp_lt_u32_e64 s[10:11], 31, v2
	v_and_b32_e32 v30, 60, v0
	v_mul_i32_i24_e32 v0, -12, v8
	v_cmp_eq_u32_e64 s[22:23], 0, v1
	v_cmp_lt_u32_e64 s[24:25], 1, v1
	v_mul_lo_u32 v1, v26, 7
	v_mul_lo_u32 v2, v23, 7
	;; [unrolled: 1-line block ×4, first 2 shown]
	s_mov_b32 s27, s26
	s_mov_b32 s40, s26
	;; [unrolled: 1-line block ×3, first 2 shown]
	s_add_i32 s36, s35, s34
	v_cmp_gt_u32_e64 s[14:15], 4, v8
	v_cmp_lt_u32_e64 s[16:17], 63, v8
	v_cmp_eq_u32_e64 s[20:21], 0, v8
	v_add_u32_e32 v31, -4, v30
	v_mov_b64_e32 v[6:7], s[26:27]
	v_mov_b64_e32 v[12:13], s[40:41]
	v_mov_b32_e32 v15, 0
	v_add_u32_e32 v32, v27, v0
	v_add_u32_e32 v33, v26, v1
	;; [unrolled: 1-line block ×5, first 2 shown]
	s_branch .LBB172_19
.LBB172_18:                             ;   in Loop: Header=BB172_19 Depth=1
	s_andn2_b64 vcc, exec, s[26:27]
	s_cbranch_vccz .LBB172_35
.LBB172_19:                             ; =>This Inner Loop Header: Depth=1
	s_min_u32 s26, s35, 8
	s_lshl_b32 s37, -1, s26
	v_lshrrev_b32_sdwa v0, s34, v20 dst_sel:DWORD dst_unused:UNUSED_PAD src0_sel:DWORD src1_sel:BYTE_0
	v_bitop3_b32 v14, v0, s37, v0 bitop3:0x30
	v_cmp_ne_u32_e32 vcc, 0, v14
	v_lshl_add_u64 v[0:1], v[14:15], 0, -1
	v_lshlrev_b32_e32 v2, 4, v14
	v_xor_b32_e32 v0, vcc_lo, v0
	v_xor_b32_e32 v1, vcc_hi, v1
	v_and_b32_e32 v0, exec_lo, v0
	v_and_b32_e32 v1, exec_hi, v1
	v_mbcnt_lo_u32_b32 v3, v0, 0
	v_mbcnt_hi_u32_b32 v37, v1, v3
	v_cmp_eq_u32_e32 vcc, 0, v37
	v_cmp_ne_u64_e64 s[26:27], 0, v[0:1]
	v_mov_b64_e32 v[18:19], v[40:41]
	v_mov_b64_e32 v[16:17], v[42:43]
	;; [unrolled: 1-line block ×4, first 2 shown]
	s_and_b64 s[40:41], s[26:27], vcc
	v_add_u32_e32 v38, v28, v2
	ds_write2_b64 v27, v[6:7], v[12:13] offset0:2 offset1:3
	s_waitcnt lgkmcnt(0)
	s_barrier
	; wave barrier
	s_and_saveexec_b64 s[26:27], s[40:41]
; %bb.20:                               ;   in Loop: Header=BB172_19 Depth=1
	v_bcnt_u32_b32 v0, v0, 0
	v_bcnt_u32_b32 v0, v1, v0
	ds_write_b32 v38, v0 offset:16
; %bb.21:                               ;   in Loop: Header=BB172_19 Depth=1
	s_or_b64 exec, exec, s[26:27]
	s_not_b32 s37, s37
	v_lshrrev_b32_sdwa v0, s34, v22 dst_sel:DWORD dst_unused:UNUSED_PAD src0_sel:DWORD src1_sel:BYTE_0
	v_and_b32_e32 v14, s37, v0
	v_lshlrev_b32_e32 v0, 4, v14
	v_add_u32_e32 v40, v28, v0
	v_cmp_ne_u32_e32 vcc, 0, v14
	v_lshl_add_u64 v[0:1], v[14:15], 0, -1
	s_nop 0
	v_xor_b32_e32 v0, vcc_lo, v0
	; wave barrier
	ds_read_b32 v39, v40 offset:16
	v_xor_b32_e32 v1, vcc_hi, v1
	v_and_b32_e32 v0, exec_lo, v0
	v_and_b32_e32 v1, exec_hi, v1
	v_mbcnt_lo_u32_b32 v2, v0, 0
	v_mbcnt_hi_u32_b32 v41, v1, v2
	v_cmp_eq_u32_e32 vcc, 0, v41
	v_cmp_ne_u64_e64 s[26:27], 0, v[0:1]
	s_and_b64 s[40:41], s[26:27], vcc
	; wave barrier
	s_and_saveexec_b64 s[26:27], s[40:41]
	s_cbranch_execz .LBB172_23
; %bb.22:                               ;   in Loop: Header=BB172_19 Depth=1
	v_bcnt_u32_b32 v0, v0, 0
	v_bcnt_u32_b32 v0, v1, v0
	s_waitcnt lgkmcnt(0)
	v_add_u32_e32 v0, v39, v0
	ds_write_b32 v40, v0 offset:16
.LBB172_23:                             ;   in Loop: Header=BB172_19 Depth=1
	s_or_b64 exec, exec, s[26:27]
	v_lshrrev_b32_sdwa v0, s34, v9 dst_sel:DWORD dst_unused:UNUSED_PAD src0_sel:DWORD src1_sel:BYTE_0
	v_and_b32_e32 v14, s37, v0
	v_lshlrev_b32_e32 v0, 4, v14
	v_add_u32_e32 v43, v28, v0
	v_cmp_ne_u32_e32 vcc, 0, v14
	v_lshl_add_u64 v[0:1], v[14:15], 0, -1
	s_nop 0
	v_xor_b32_e32 v0, vcc_lo, v0
	; wave barrier
	ds_read_b32 v42, v43 offset:16
	v_xor_b32_e32 v1, vcc_hi, v1
	v_and_b32_e32 v0, exec_lo, v0
	v_and_b32_e32 v1, exec_hi, v1
	v_mbcnt_lo_u32_b32 v2, v0, 0
	v_mbcnt_hi_u32_b32 v44, v1, v2
	v_cmp_eq_u32_e32 vcc, 0, v44
	v_cmp_ne_u64_e64 s[26:27], 0, v[0:1]
	s_and_b64 s[40:41], s[26:27], vcc
	; wave barrier
	s_and_saveexec_b64 s[26:27], s[40:41]
	s_cbranch_execz .LBB172_25
; %bb.24:                               ;   in Loop: Header=BB172_19 Depth=1
	v_bcnt_u32_b32 v0, v0, 0
	v_bcnt_u32_b32 v0, v1, v0
	s_waitcnt lgkmcnt(0)
	v_add_u32_e32 v0, v42, v0
	ds_write_b32 v43, v0 offset:16
.LBB172_25:                             ;   in Loop: Header=BB172_19 Depth=1
	s_or_b64 exec, exec, s[26:27]
	;; [unrolled: 29-line block ×3, first 2 shown]
	; wave barrier
	s_waitcnt lgkmcnt(0)
	s_barrier
	ds_read2_b64 v[0:3], v27 offset0:2 offset1:3
	s_waitcnt lgkmcnt(0)
	v_add_u32_e32 v14, v1, v0
	v_add3_u32 v3, v14, v2, v3
	s_nop 1
	v_mov_b32_dpp v14, v3 row_shr:1 row_mask:0xf bank_mask:0xf
	v_cndmask_b32_e64 v14, v14, 0, s[0:1]
	v_add_u32_e32 v3, v14, v3
	s_nop 1
	v_mov_b32_dpp v14, v3 row_shr:2 row_mask:0xf bank_mask:0xf
	v_cndmask_b32_e64 v14, 0, v14, s[2:3]
	v_add_u32_e32 v3, v3, v14
	;; [unrolled: 4-line block ×4, first 2 shown]
	s_nop 1
	v_mov_b32_dpp v14, v3 row_bcast:15 row_mask:0xf bank_mask:0xf
	v_cndmask_b32_e64 v14, v14, 0, s[8:9]
	v_add_u32_e32 v3, v3, v14
	s_nop 1
	v_mov_b32_dpp v14, v3 row_bcast:31 row_mask:0xf bank_mask:0xf
	v_cndmask_b32_e64 v14, 0, v14, s[10:11]
	v_add_u32_e32 v3, v3, v14
	s_and_saveexec_b64 s[26:27], s[12:13]
; %bb.28:                               ;   in Loop: Header=BB172_19 Depth=1
	ds_write_b32 v30, v3
; %bb.29:                               ;   in Loop: Header=BB172_19 Depth=1
	s_or_b64 exec, exec, s[26:27]
	s_waitcnt lgkmcnt(0)
	s_barrier
	s_and_saveexec_b64 s[26:27], s[14:15]
	s_cbranch_execz .LBB172_31
; %bb.30:                               ;   in Loop: Header=BB172_19 Depth=1
	ds_read_b32 v14, v32
	s_waitcnt lgkmcnt(0)
	s_nop 0
	v_mov_b32_dpp v47, v14 row_shr:1 row_mask:0xf bank_mask:0xf
	v_cndmask_b32_e64 v47, v47, 0, s[22:23]
	v_add_u32_e32 v14, v47, v14
	s_nop 1
	v_mov_b32_dpp v47, v14 row_shr:2 row_mask:0xf bank_mask:0xf
	v_cndmask_b32_e64 v47, 0, v47, s[24:25]
	v_add_u32_e32 v14, v14, v47
	ds_write_b32 v32, v14
.LBB172_31:                             ;   in Loop: Header=BB172_19 Depth=1
	s_or_b64 exec, exec, s[26:27]
	v_mov_b32_e32 v14, 0
	s_waitcnt lgkmcnt(0)
	s_barrier
	s_and_saveexec_b64 s[26:27], s[16:17]
; %bb.32:                               ;   in Loop: Header=BB172_19 Depth=1
	ds_read_b32 v14, v31
; %bb.33:                               ;   in Loop: Header=BB172_19 Depth=1
	s_or_b64 exec, exec, s[26:27]
	s_waitcnt lgkmcnt(0)
	v_add_u32_e32 v3, v14, v3
	ds_bpermute_b32 v50, v29, v3
	s_add_i32 s34, s34, 8
	v_mov_b32_e32 v3, v20
	v_mov_b32_e32 v47, v22
	v_mov_b32_e32 v48, v9
	s_waitcnt lgkmcnt(0)
	v_cndmask_b32_e64 v14, v50, v14, s[18:19]
	v_cndmask_b32_e64 v50, v14, 0, s[20:21]
	v_add_u32_e32 v51, v50, v0
	v_add_u32_e32 v0, v51, v1
	;; [unrolled: 1-line block ×3, first 2 shown]
	ds_write2_b64 v27, v[50:51], v[0:1] offset0:2 offset1:3
	s_waitcnt lgkmcnt(0)
	s_barrier
	ds_read_b32 v0, v38 offset:16
	ds_read_b32 v2, v40 offset:16
	;; [unrolled: 1-line block ×4, first 2 shown]
	v_mov_b32_e32 v38, v21
	s_waitcnt lgkmcnt(3)
	v_add_u32_e32 v1, v0, v37
	s_waitcnt lgkmcnt(2)
	v_add3_u32 v14, v41, v39, v2
	s_waitcnt lgkmcnt(1)
	v_add3_u32 v2, v44, v42, v40
	;; [unrolled: 2-line block ×3, first 2 shown]
	s_cmp_ge_u32 s34, s36
	v_mul_lo_u32 v37, v1, 7
	s_mov_b64 s[26:27], -1
                                        ; implicit-def: $vgpr40_vgpr41
                                        ; implicit-def: $vgpr42_vgpr43
                                        ; implicit-def: $vgpr44_vgpr45
                                        ; implicit-def: $vgpr50_vgpr51
	s_cbranch_scc1 .LBB172_18
; %bb.34:                               ;   in Loop: Header=BB172_19 Depth=1
	v_add_u32_e32 v39, v1, v37
	v_mad_u64_u32 v[40:41], s[26:27], v14, 7, v[14:15]
	s_barrier
	ds_write_b8 v1, v20
	ds_write_b8 v14, v22
	;; [unrolled: 1-line block ×4, first 2 shown]
	s_waitcnt lgkmcnt(0)
	s_barrier
	ds_read_u8 v21, v25
	ds_read_u8 v9, v24
	;; [unrolled: 1-line block ×4, first 2 shown]
	s_waitcnt lgkmcnt(0)
	s_barrier
	ds_write_b64 v39, v[18:19]
	ds_write_b64 v40, v[16:17]
	v_mad_u64_u32 v[40:41], s[26:27], v2, 7, v[2:3]
	ds_write_b64 v40, v[10:11]
	v_mad_u64_u32 v[40:41], s[26:27], v0, 7, v[0:1]
	ds_write_b64 v40, v[4:5]
	s_waitcnt lgkmcnt(0)
	s_barrier
	ds_read_b64 v[40:41], v33
	ds_read_b64 v[42:43], v34
	;; [unrolled: 1-line block ×4, first 2 shown]
	s_add_i32 s35, s35, -8
	s_mov_b64 s[26:27], 0
	s_waitcnt lgkmcnt(0)
	s_barrier
	s_branch .LBB172_18
.LBB172_35:
	s_barrier
	ds_write_b8 v1, v3
	ds_write_b8 v14, v47
	;; [unrolled: 1-line block ×4, first 2 shown]
	s_waitcnt lgkmcnt(0)
	s_barrier
	ds_read_u8 v22, v8
	ds_read_u8 v21, v8 offset:256
	ds_read_u8 v20, v8 offset:512
	;; [unrolled: 1-line block ×3, first 2 shown]
	v_add_u32_e32 v1, v1, v37
	s_waitcnt lgkmcnt(0)
	s_barrier
	ds_write_b64 v1, v[18:19]
	v_mad_u64_u32 v[6:7], s[0:1], v14, 7, v[14:15]
	v_mad_u64_u32 v[2:3], s[0:1], v2, 7, v[2:3]
	;; [unrolled: 1-line block ×3, first 2 shown]
	ds_write_b64 v6, v[16:17]
	ds_write_b64 v2, v[10:11]
	;; [unrolled: 1-line block ×3, first 2 shown]
	v_mad_u32_u24 v0, v8, 7, v8
	s_waitcnt lgkmcnt(0)
	s_barrier
	ds_read2st64_b64 v[4:7], v0 offset1:4
	ds_read2st64_b64 v[0:3], v0 offset0:8 offset1:12
	s_add_u32 s0, s38, s28
	s_addc_u32 s1, s39, 0
	v_mov_b32_e32 v9, 0
	v_lshl_add_u64 v[12:13], s[0:1], 0, v[8:9]
	s_andn2_b64 vcc, exec, s[30:31]
	v_lshlrev_b32_e32 v10, 3, v8
	s_cbranch_vccnz .LBB172_37
; %bb.36:
	s_lshl_b64 s[0:1], s[28:29], 3
	s_add_u32 s0, s42, s0
	s_addc_u32 s1, s43, s1
	v_mov_b32_e32 v11, v9
	v_lshl_add_u64 v[16:17], s[0:1], 0, v[10:11]
	v_add_co_u32_e32 v16, vcc, 0x1000, v16
	global_store_byte v[12:13], v22, off
	global_store_byte v[12:13], v21, off offset:256
	global_store_byte v[12:13], v20, off offset:512
	;; [unrolled: 1-line block ×3, first 2 shown]
	s_waitcnt lgkmcnt(1)
	global_store_dwordx2 v10, v[4:5], s[0:1]
	global_store_dwordx2 v10, v[6:7], s[0:1] offset:2048
	v_addc_co_u32_e32 v17, vcc, 0, v17, vcc
	s_mov_b64 s[4:5], -1
	s_waitcnt lgkmcnt(0)
	global_store_dwordx2 v[16:17], v[0:1], off
	s_cbranch_execz .LBB172_38
	s_branch .LBB172_51
.LBB172_37:
	s_mov_b64 s[4:5], 0
.LBB172_38:
	v_cmp_gt_u32_e32 vcc, s33, v8
	s_and_saveexec_b64 s[0:1], vcc
	s_cbranch_execz .LBB172_40
; %bb.39:
	global_store_byte v[12:13], v22, off
.LBB172_40:
	s_or_b64 exec, exec, s[0:1]
	v_add_u32_e32 v9, 0x100, v8
	v_cmp_gt_u32_e64 s[0:1], s33, v9
	s_and_saveexec_b64 s[2:3], s[0:1]
	s_cbranch_execz .LBB172_42
; %bb.41:
	global_store_byte v[12:13], v21, off offset:256
.LBB172_42:
	s_or_b64 exec, exec, s[2:3]
	v_add_u32_e32 v9, 0x200, v8
	v_cmp_gt_u32_e64 s[2:3], s33, v9
	s_and_saveexec_b64 s[4:5], s[2:3]
	s_cbranch_execz .LBB172_44
; %bb.43:
	global_store_byte v[12:13], v20, off offset:512
.LBB172_44:
	;; [unrolled: 8-line block ×3, first 2 shown]
	s_or_b64 exec, exec, s[6:7]
	s_lshl_b64 s[6:7], s[28:29], 3
	s_add_u32 s6, s42, s6
	s_addc_u32 s7, s43, s7
	v_mov_b32_e32 v11, 0
	v_lshl_add_u64 v[8:9], s[6:7], 0, v[10:11]
	s_and_saveexec_b64 s[6:7], vcc
	s_cbranch_execnz .LBB172_57
; %bb.47:
	s_or_b64 exec, exec, s[6:7]
	s_and_saveexec_b64 s[6:7], s[0:1]
	s_cbranch_execnz .LBB172_58
.LBB172_48:
	s_or_b64 exec, exec, s[6:7]
	s_and_saveexec_b64 s[0:1], s[2:3]
	s_cbranch_execz .LBB172_50
.LBB172_49:
	s_waitcnt lgkmcnt(1)
	v_add_co_u32_e32 v4, vcc, 0x1000, v8
	s_nop 1
	v_addc_co_u32_e32 v5, vcc, 0, v9, vcc
	s_waitcnt lgkmcnt(0)
	global_store_dwordx2 v[4:5], v[0:1], off
.LBB172_50:
	s_or_b64 exec, exec, s[0:1]
.LBB172_51:
	s_and_saveexec_b64 s[0:1], s[4:5]
	s_cbranch_execnz .LBB172_53
; %bb.52:
	s_endpgm
.LBB172_53:
	s_lshl_b64 s[0:1], s[28:29], 3
	s_add_u32 s0, s42, s0
	s_addc_u32 s1, s43, s1
	v_mov_b32_e32 v11, 0
	s_waitcnt lgkmcnt(0)
	v_lshl_add_u64 v[0:1], s[0:1], 0, v[10:11]
	v_add_co_u32_e32 v0, vcc, 0x1000, v0
	s_nop 1
	v_addc_co_u32_e32 v1, vcc, 0, v1, vcc
	global_store_dwordx2 v[0:1], v[2:3], off offset:2048
	s_endpgm
.LBB172_54:
	global_load_dwordx2 v[40:41], v[4:5], off
	s_or_b64 exec, exec, s[8:9]
                                        ; implicit-def: $vgpr42_vgpr43
	s_and_saveexec_b64 s[8:9], s[2:3]
	s_cbranch_execz .LBB172_13
.LBB172_55:
	global_load_dwordx2 v[42:43], v[4:5], off offset:512
	s_or_b64 exec, exec, s[8:9]
                                        ; implicit-def: $vgpr44_vgpr45
	s_and_saveexec_b64 s[2:3], s[4:5]
	s_cbranch_execz .LBB172_14
.LBB172_56:
	global_load_dwordx2 v[44:45], v[4:5], off offset:1024
	s_or_b64 exec, exec, s[2:3]
                                        ; implicit-def: $vgpr50_vgpr51
	s_and_saveexec_b64 s[2:3], s[6:7]
	s_cbranch_execnz .LBB172_15
	s_branch .LBB172_16
.LBB172_57:
	s_waitcnt lgkmcnt(1)
	global_store_dwordx2 v[8:9], v[4:5], off
	s_or_b64 exec, exec, s[6:7]
	s_and_saveexec_b64 s[6:7], s[0:1]
	s_cbranch_execz .LBB172_48
.LBB172_58:
	s_waitcnt lgkmcnt(1)
	global_store_dwordx2 v[8:9], v[6:7], off offset:2048
	s_or_b64 exec, exec, s[6:7]
	s_and_saveexec_b64 s[0:1], s[2:3]
	s_cbranch_execnz .LBB172_49
	s_branch .LBB172_50
	.section	.rodata,"a",@progbits
	.p2align	6, 0x0
	.amdhsa_kernel _ZN7rocprim17ROCPRIM_304000_NS6detail28radix_sort_block_sort_kernelINS1_36wrapped_radix_sort_block_sort_configINS0_13kernel_configILj256ELj4ELj4294967295EEEbN2at4cuda3cub6detail10OpaqueTypeILi8EEEEELb0EPKbPbPKSB_PSB_NS0_19identity_decomposerEEEvT1_T2_T3_T4_jT5_jj
		.amdhsa_group_segment_fixed_size 8192
		.amdhsa_private_segment_fixed_size 0
		.amdhsa_kernarg_size 304
		.amdhsa_user_sgpr_count 2
		.amdhsa_user_sgpr_dispatch_ptr 0
		.amdhsa_user_sgpr_queue_ptr 0
		.amdhsa_user_sgpr_kernarg_segment_ptr 1
		.amdhsa_user_sgpr_dispatch_id 0
		.amdhsa_user_sgpr_kernarg_preload_length 0
		.amdhsa_user_sgpr_kernarg_preload_offset 0
		.amdhsa_user_sgpr_private_segment_size 0
		.amdhsa_uses_dynamic_stack 0
		.amdhsa_enable_private_segment 0
		.amdhsa_system_sgpr_workgroup_id_x 1
		.amdhsa_system_sgpr_workgroup_id_y 0
		.amdhsa_system_sgpr_workgroup_id_z 0
		.amdhsa_system_sgpr_workgroup_info 0
		.amdhsa_system_vgpr_workitem_id 2
		.amdhsa_next_free_vgpr 52
		.amdhsa_next_free_sgpr 44
		.amdhsa_accum_offset 52
		.amdhsa_reserve_vcc 1
		.amdhsa_float_round_mode_32 0
		.amdhsa_float_round_mode_16_64 0
		.amdhsa_float_denorm_mode_32 3
		.amdhsa_float_denorm_mode_16_64 3
		.amdhsa_dx10_clamp 1
		.amdhsa_ieee_mode 1
		.amdhsa_fp16_overflow 0
		.amdhsa_tg_split 0
		.amdhsa_exception_fp_ieee_invalid_op 0
		.amdhsa_exception_fp_denorm_src 0
		.amdhsa_exception_fp_ieee_div_zero 0
		.amdhsa_exception_fp_ieee_overflow 0
		.amdhsa_exception_fp_ieee_underflow 0
		.amdhsa_exception_fp_ieee_inexact 0
		.amdhsa_exception_int_div_zero 0
	.end_amdhsa_kernel
	.section	.text._ZN7rocprim17ROCPRIM_304000_NS6detail28radix_sort_block_sort_kernelINS1_36wrapped_radix_sort_block_sort_configINS0_13kernel_configILj256ELj4ELj4294967295EEEbN2at4cuda3cub6detail10OpaqueTypeILi8EEEEELb0EPKbPbPKSB_PSB_NS0_19identity_decomposerEEEvT1_T2_T3_T4_jT5_jj,"axG",@progbits,_ZN7rocprim17ROCPRIM_304000_NS6detail28radix_sort_block_sort_kernelINS1_36wrapped_radix_sort_block_sort_configINS0_13kernel_configILj256ELj4ELj4294967295EEEbN2at4cuda3cub6detail10OpaqueTypeILi8EEEEELb0EPKbPbPKSB_PSB_NS0_19identity_decomposerEEEvT1_T2_T3_T4_jT5_jj,comdat
.Lfunc_end172:
	.size	_ZN7rocprim17ROCPRIM_304000_NS6detail28radix_sort_block_sort_kernelINS1_36wrapped_radix_sort_block_sort_configINS0_13kernel_configILj256ELj4ELj4294967295EEEbN2at4cuda3cub6detail10OpaqueTypeILi8EEEEELb0EPKbPbPKSB_PSB_NS0_19identity_decomposerEEEvT1_T2_T3_T4_jT5_jj, .Lfunc_end172-_ZN7rocprim17ROCPRIM_304000_NS6detail28radix_sort_block_sort_kernelINS1_36wrapped_radix_sort_block_sort_configINS0_13kernel_configILj256ELj4ELj4294967295EEEbN2at4cuda3cub6detail10OpaqueTypeILi8EEEEELb0EPKbPbPKSB_PSB_NS0_19identity_decomposerEEEvT1_T2_T3_T4_jT5_jj
                                        ; -- End function
	.set _ZN7rocprim17ROCPRIM_304000_NS6detail28radix_sort_block_sort_kernelINS1_36wrapped_radix_sort_block_sort_configINS0_13kernel_configILj256ELj4ELj4294967295EEEbN2at4cuda3cub6detail10OpaqueTypeILi8EEEEELb0EPKbPbPKSB_PSB_NS0_19identity_decomposerEEEvT1_T2_T3_T4_jT5_jj.num_vgpr, 52
	.set _ZN7rocprim17ROCPRIM_304000_NS6detail28radix_sort_block_sort_kernelINS1_36wrapped_radix_sort_block_sort_configINS0_13kernel_configILj256ELj4ELj4294967295EEEbN2at4cuda3cub6detail10OpaqueTypeILi8EEEEELb0EPKbPbPKSB_PSB_NS0_19identity_decomposerEEEvT1_T2_T3_T4_jT5_jj.num_agpr, 0
	.set _ZN7rocprim17ROCPRIM_304000_NS6detail28radix_sort_block_sort_kernelINS1_36wrapped_radix_sort_block_sort_configINS0_13kernel_configILj256ELj4ELj4294967295EEEbN2at4cuda3cub6detail10OpaqueTypeILi8EEEEELb0EPKbPbPKSB_PSB_NS0_19identity_decomposerEEEvT1_T2_T3_T4_jT5_jj.numbered_sgpr, 44
	.set _ZN7rocprim17ROCPRIM_304000_NS6detail28radix_sort_block_sort_kernelINS1_36wrapped_radix_sort_block_sort_configINS0_13kernel_configILj256ELj4ELj4294967295EEEbN2at4cuda3cub6detail10OpaqueTypeILi8EEEEELb0EPKbPbPKSB_PSB_NS0_19identity_decomposerEEEvT1_T2_T3_T4_jT5_jj.num_named_barrier, 0
	.set _ZN7rocprim17ROCPRIM_304000_NS6detail28radix_sort_block_sort_kernelINS1_36wrapped_radix_sort_block_sort_configINS0_13kernel_configILj256ELj4ELj4294967295EEEbN2at4cuda3cub6detail10OpaqueTypeILi8EEEEELb0EPKbPbPKSB_PSB_NS0_19identity_decomposerEEEvT1_T2_T3_T4_jT5_jj.private_seg_size, 0
	.set _ZN7rocprim17ROCPRIM_304000_NS6detail28radix_sort_block_sort_kernelINS1_36wrapped_radix_sort_block_sort_configINS0_13kernel_configILj256ELj4ELj4294967295EEEbN2at4cuda3cub6detail10OpaqueTypeILi8EEEEELb0EPKbPbPKSB_PSB_NS0_19identity_decomposerEEEvT1_T2_T3_T4_jT5_jj.uses_vcc, 1
	.set _ZN7rocprim17ROCPRIM_304000_NS6detail28radix_sort_block_sort_kernelINS1_36wrapped_radix_sort_block_sort_configINS0_13kernel_configILj256ELj4ELj4294967295EEEbN2at4cuda3cub6detail10OpaqueTypeILi8EEEEELb0EPKbPbPKSB_PSB_NS0_19identity_decomposerEEEvT1_T2_T3_T4_jT5_jj.uses_flat_scratch, 0
	.set _ZN7rocprim17ROCPRIM_304000_NS6detail28radix_sort_block_sort_kernelINS1_36wrapped_radix_sort_block_sort_configINS0_13kernel_configILj256ELj4ELj4294967295EEEbN2at4cuda3cub6detail10OpaqueTypeILi8EEEEELb0EPKbPbPKSB_PSB_NS0_19identity_decomposerEEEvT1_T2_T3_T4_jT5_jj.has_dyn_sized_stack, 0
	.set _ZN7rocprim17ROCPRIM_304000_NS6detail28radix_sort_block_sort_kernelINS1_36wrapped_radix_sort_block_sort_configINS0_13kernel_configILj256ELj4ELj4294967295EEEbN2at4cuda3cub6detail10OpaqueTypeILi8EEEEELb0EPKbPbPKSB_PSB_NS0_19identity_decomposerEEEvT1_T2_T3_T4_jT5_jj.has_recursion, 0
	.set _ZN7rocprim17ROCPRIM_304000_NS6detail28radix_sort_block_sort_kernelINS1_36wrapped_radix_sort_block_sort_configINS0_13kernel_configILj256ELj4ELj4294967295EEEbN2at4cuda3cub6detail10OpaqueTypeILi8EEEEELb0EPKbPbPKSB_PSB_NS0_19identity_decomposerEEEvT1_T2_T3_T4_jT5_jj.has_indirect_call, 0
	.section	.AMDGPU.csdata,"",@progbits
; Kernel info:
; codeLenInByte = 2860
; TotalNumSgprs: 50
; NumVgprs: 52
; NumAgprs: 0
; TotalNumVgprs: 52
; ScratchSize: 0
; MemoryBound: 0
; FloatMode: 240
; IeeeMode: 1
; LDSByteSize: 8192 bytes/workgroup (compile time only)
; SGPRBlocks: 6
; VGPRBlocks: 6
; NumSGPRsForWavesPerEU: 50
; NumVGPRsForWavesPerEU: 52
; AccumOffset: 52
; Occupancy: 8
; WaveLimiterHint : 1
; COMPUTE_PGM_RSRC2:SCRATCH_EN: 0
; COMPUTE_PGM_RSRC2:USER_SGPR: 2
; COMPUTE_PGM_RSRC2:TRAP_HANDLER: 0
; COMPUTE_PGM_RSRC2:TGID_X_EN: 1
; COMPUTE_PGM_RSRC2:TGID_Y_EN: 0
; COMPUTE_PGM_RSRC2:TGID_Z_EN: 0
; COMPUTE_PGM_RSRC2:TIDIG_COMP_CNT: 2
; COMPUTE_PGM_RSRC3_GFX90A:ACCUM_OFFSET: 12
; COMPUTE_PGM_RSRC3_GFX90A:TG_SPLIT: 0
	.section	.text._ZN7rocprim17ROCPRIM_304000_NS6detail45device_block_merge_mergepath_partition_kernelINS1_37wrapped_merge_sort_block_merge_configINS0_14default_configEbN2at4cuda3cub6detail10OpaqueTypeILi8EEEEEPbjNS1_19radix_merge_compareILb0ELb0EbNS0_19identity_decomposerEEEEEvT0_T1_jPSH_T2_SH_,"axG",@progbits,_ZN7rocprim17ROCPRIM_304000_NS6detail45device_block_merge_mergepath_partition_kernelINS1_37wrapped_merge_sort_block_merge_configINS0_14default_configEbN2at4cuda3cub6detail10OpaqueTypeILi8EEEEEPbjNS1_19radix_merge_compareILb0ELb0EbNS0_19identity_decomposerEEEEEvT0_T1_jPSH_T2_SH_,comdat
	.protected	_ZN7rocprim17ROCPRIM_304000_NS6detail45device_block_merge_mergepath_partition_kernelINS1_37wrapped_merge_sort_block_merge_configINS0_14default_configEbN2at4cuda3cub6detail10OpaqueTypeILi8EEEEEPbjNS1_19radix_merge_compareILb0ELb0EbNS0_19identity_decomposerEEEEEvT0_T1_jPSH_T2_SH_ ; -- Begin function _ZN7rocprim17ROCPRIM_304000_NS6detail45device_block_merge_mergepath_partition_kernelINS1_37wrapped_merge_sort_block_merge_configINS0_14default_configEbN2at4cuda3cub6detail10OpaqueTypeILi8EEEEEPbjNS1_19radix_merge_compareILb0ELb0EbNS0_19identity_decomposerEEEEEvT0_T1_jPSH_T2_SH_
	.globl	_ZN7rocprim17ROCPRIM_304000_NS6detail45device_block_merge_mergepath_partition_kernelINS1_37wrapped_merge_sort_block_merge_configINS0_14default_configEbN2at4cuda3cub6detail10OpaqueTypeILi8EEEEEPbjNS1_19radix_merge_compareILb0ELb0EbNS0_19identity_decomposerEEEEEvT0_T1_jPSH_T2_SH_
	.p2align	8
	.type	_ZN7rocprim17ROCPRIM_304000_NS6detail45device_block_merge_mergepath_partition_kernelINS1_37wrapped_merge_sort_block_merge_configINS0_14default_configEbN2at4cuda3cub6detail10OpaqueTypeILi8EEEEEPbjNS1_19radix_merge_compareILb0ELb0EbNS0_19identity_decomposerEEEEEvT0_T1_jPSH_T2_SH_,@function
_ZN7rocprim17ROCPRIM_304000_NS6detail45device_block_merge_mergepath_partition_kernelINS1_37wrapped_merge_sort_block_merge_configINS0_14default_configEbN2at4cuda3cub6detail10OpaqueTypeILi8EEEEEPbjNS1_19radix_merge_compareILb0ELb0EbNS0_19identity_decomposerEEEEEvT0_T1_jPSH_T2_SH_: ; @_ZN7rocprim17ROCPRIM_304000_NS6detail45device_block_merge_mergepath_partition_kernelINS1_37wrapped_merge_sort_block_merge_configINS0_14default_configEbN2at4cuda3cub6detail10OpaqueTypeILi8EEEEEPbjNS1_19radix_merge_compareILb0ELb0EbNS0_19identity_decomposerEEEEEvT0_T1_jPSH_T2_SH_
; %bb.0:
	s_load_dwordx2 s[4:5], s[0:1], 0x8
	v_lshl_or_b32 v0, s2, 7, v0
	s_waitcnt lgkmcnt(0)
	v_cmp_gt_u32_e32 vcc, s5, v0
	s_and_saveexec_b64 s[2:3], vcc
	s_cbranch_execz .LBB173_6
; %bb.1:
	s_load_dword s2, s[0:1], 0x1c
	s_waitcnt lgkmcnt(0)
	s_lshr_b32 s3, s2, 9
	s_and_b32 s3, s3, 0x7ffffe
	s_add_i32 s5, s3, -1
	s_sub_i32 s3, 0, s3
	v_and_b32_e32 v1, s3, v0
	v_and_b32_e32 v2, s5, v0
	v_lshlrev_b32_e32 v1, 10, v1
	v_lshlrev_b32_e32 v3, 10, v2
	v_min_u32_e32 v2, s4, v1
	v_add_u32_e32 v1, s2, v1
	v_min_u32_e32 v4, s4, v1
	v_add_u32_e32 v1, s2, v4
	v_min_u32_e32 v1, s4, v1
	v_sub_u32_e32 v5, v1, v2
	v_min_u32_e32 v10, v5, v3
	v_sub_u32_e32 v3, v4, v2
	v_sub_u32_e32 v1, v1, v4
	v_sub_u32_e64 v1, v10, v1 clamp
	v_min_u32_e32 v11, v10, v3
	v_cmp_lt_u32_e32 vcc, v1, v11
	s_and_saveexec_b64 s[2:3], vcc
	s_cbranch_execz .LBB173_5
; %bb.2:
	s_load_dwordx2 s[4:5], s[0:1], 0x0
	v_mov_b32_e32 v5, 0
	v_mov_b32_e32 v3, v5
	s_waitcnt lgkmcnt(0)
	v_lshl_add_u64 v[6:7], s[4:5], 0, v[2:3]
	v_lshl_add_u64 v[8:9], s[4:5], 0, v[4:5]
	s_mov_b64 s[4:5], 0
.LBB173_3:                              ; =>This Inner Loop Header: Depth=1
	v_add_u32_e32 v3, v11, v1
	v_lshrrev_b32_e32 v4, 1, v3
	v_mov_b32_e32 v13, v5
	v_xad_u32 v12, v4, -1, v10
	v_lshl_add_u64 v[14:15], v[6:7], 0, v[4:5]
	v_lshl_add_u64 v[12:13], v[8:9], 0, v[12:13]
	global_load_ubyte v3, v[14:15], off
	global_load_ubyte v16, v[12:13], off
	v_add_u32_e32 v12, 1, v4
	s_waitcnt vmcnt(0)
	v_cmp_gt_u16_e32 vcc, v3, v16
	s_nop 1
	v_cndmask_b32_e32 v11, v11, v4, vcc
	v_cndmask_b32_e32 v1, v12, v1, vcc
	v_cmp_ge_u32_e32 vcc, v1, v11
	s_or_b64 s[4:5], vcc, s[4:5]
	s_andn2_b64 exec, exec, s[4:5]
	s_cbranch_execnz .LBB173_3
; %bb.4:
	s_or_b64 exec, exec, s[4:5]
.LBB173_5:
	s_or_b64 exec, exec, s[2:3]
	s_load_dwordx2 s[0:1], s[0:1], 0x10
	v_add_u32_e32 v2, v1, v2
	v_mov_b32_e32 v1, 0
	s_waitcnt lgkmcnt(0)
	v_lshl_add_u64 v[0:1], v[0:1], 2, s[0:1]
	global_store_dword v[0:1], v2, off
.LBB173_6:
	s_endpgm
	.section	.rodata,"a",@progbits
	.p2align	6, 0x0
	.amdhsa_kernel _ZN7rocprim17ROCPRIM_304000_NS6detail45device_block_merge_mergepath_partition_kernelINS1_37wrapped_merge_sort_block_merge_configINS0_14default_configEbN2at4cuda3cub6detail10OpaqueTypeILi8EEEEEPbjNS1_19radix_merge_compareILb0ELb0EbNS0_19identity_decomposerEEEEEvT0_T1_jPSH_T2_SH_
		.amdhsa_group_segment_fixed_size 0
		.amdhsa_private_segment_fixed_size 0
		.amdhsa_kernarg_size 32
		.amdhsa_user_sgpr_count 2
		.amdhsa_user_sgpr_dispatch_ptr 0
		.amdhsa_user_sgpr_queue_ptr 0
		.amdhsa_user_sgpr_kernarg_segment_ptr 1
		.amdhsa_user_sgpr_dispatch_id 0
		.amdhsa_user_sgpr_kernarg_preload_length 0
		.amdhsa_user_sgpr_kernarg_preload_offset 0
		.amdhsa_user_sgpr_private_segment_size 0
		.amdhsa_uses_dynamic_stack 0
		.amdhsa_enable_private_segment 0
		.amdhsa_system_sgpr_workgroup_id_x 1
		.amdhsa_system_sgpr_workgroup_id_y 0
		.amdhsa_system_sgpr_workgroup_id_z 0
		.amdhsa_system_sgpr_workgroup_info 0
		.amdhsa_system_vgpr_workitem_id 0
		.amdhsa_next_free_vgpr 17
		.amdhsa_next_free_sgpr 6
		.amdhsa_accum_offset 20
		.amdhsa_reserve_vcc 1
		.amdhsa_float_round_mode_32 0
		.amdhsa_float_round_mode_16_64 0
		.amdhsa_float_denorm_mode_32 3
		.amdhsa_float_denorm_mode_16_64 3
		.amdhsa_dx10_clamp 1
		.amdhsa_ieee_mode 1
		.amdhsa_fp16_overflow 0
		.amdhsa_tg_split 0
		.amdhsa_exception_fp_ieee_invalid_op 0
		.amdhsa_exception_fp_denorm_src 0
		.amdhsa_exception_fp_ieee_div_zero 0
		.amdhsa_exception_fp_ieee_overflow 0
		.amdhsa_exception_fp_ieee_underflow 0
		.amdhsa_exception_fp_ieee_inexact 0
		.amdhsa_exception_int_div_zero 0
	.end_amdhsa_kernel
	.section	.text._ZN7rocprim17ROCPRIM_304000_NS6detail45device_block_merge_mergepath_partition_kernelINS1_37wrapped_merge_sort_block_merge_configINS0_14default_configEbN2at4cuda3cub6detail10OpaqueTypeILi8EEEEEPbjNS1_19radix_merge_compareILb0ELb0EbNS0_19identity_decomposerEEEEEvT0_T1_jPSH_T2_SH_,"axG",@progbits,_ZN7rocprim17ROCPRIM_304000_NS6detail45device_block_merge_mergepath_partition_kernelINS1_37wrapped_merge_sort_block_merge_configINS0_14default_configEbN2at4cuda3cub6detail10OpaqueTypeILi8EEEEEPbjNS1_19radix_merge_compareILb0ELb0EbNS0_19identity_decomposerEEEEEvT0_T1_jPSH_T2_SH_,comdat
.Lfunc_end173:
	.size	_ZN7rocprim17ROCPRIM_304000_NS6detail45device_block_merge_mergepath_partition_kernelINS1_37wrapped_merge_sort_block_merge_configINS0_14default_configEbN2at4cuda3cub6detail10OpaqueTypeILi8EEEEEPbjNS1_19radix_merge_compareILb0ELb0EbNS0_19identity_decomposerEEEEEvT0_T1_jPSH_T2_SH_, .Lfunc_end173-_ZN7rocprim17ROCPRIM_304000_NS6detail45device_block_merge_mergepath_partition_kernelINS1_37wrapped_merge_sort_block_merge_configINS0_14default_configEbN2at4cuda3cub6detail10OpaqueTypeILi8EEEEEPbjNS1_19radix_merge_compareILb0ELb0EbNS0_19identity_decomposerEEEEEvT0_T1_jPSH_T2_SH_
                                        ; -- End function
	.set _ZN7rocprim17ROCPRIM_304000_NS6detail45device_block_merge_mergepath_partition_kernelINS1_37wrapped_merge_sort_block_merge_configINS0_14default_configEbN2at4cuda3cub6detail10OpaqueTypeILi8EEEEEPbjNS1_19radix_merge_compareILb0ELb0EbNS0_19identity_decomposerEEEEEvT0_T1_jPSH_T2_SH_.num_vgpr, 17
	.set _ZN7rocprim17ROCPRIM_304000_NS6detail45device_block_merge_mergepath_partition_kernelINS1_37wrapped_merge_sort_block_merge_configINS0_14default_configEbN2at4cuda3cub6detail10OpaqueTypeILi8EEEEEPbjNS1_19radix_merge_compareILb0ELb0EbNS0_19identity_decomposerEEEEEvT0_T1_jPSH_T2_SH_.num_agpr, 0
	.set _ZN7rocprim17ROCPRIM_304000_NS6detail45device_block_merge_mergepath_partition_kernelINS1_37wrapped_merge_sort_block_merge_configINS0_14default_configEbN2at4cuda3cub6detail10OpaqueTypeILi8EEEEEPbjNS1_19radix_merge_compareILb0ELb0EbNS0_19identity_decomposerEEEEEvT0_T1_jPSH_T2_SH_.numbered_sgpr, 6
	.set _ZN7rocprim17ROCPRIM_304000_NS6detail45device_block_merge_mergepath_partition_kernelINS1_37wrapped_merge_sort_block_merge_configINS0_14default_configEbN2at4cuda3cub6detail10OpaqueTypeILi8EEEEEPbjNS1_19radix_merge_compareILb0ELb0EbNS0_19identity_decomposerEEEEEvT0_T1_jPSH_T2_SH_.num_named_barrier, 0
	.set _ZN7rocprim17ROCPRIM_304000_NS6detail45device_block_merge_mergepath_partition_kernelINS1_37wrapped_merge_sort_block_merge_configINS0_14default_configEbN2at4cuda3cub6detail10OpaqueTypeILi8EEEEEPbjNS1_19radix_merge_compareILb0ELb0EbNS0_19identity_decomposerEEEEEvT0_T1_jPSH_T2_SH_.private_seg_size, 0
	.set _ZN7rocprim17ROCPRIM_304000_NS6detail45device_block_merge_mergepath_partition_kernelINS1_37wrapped_merge_sort_block_merge_configINS0_14default_configEbN2at4cuda3cub6detail10OpaqueTypeILi8EEEEEPbjNS1_19radix_merge_compareILb0ELb0EbNS0_19identity_decomposerEEEEEvT0_T1_jPSH_T2_SH_.uses_vcc, 1
	.set _ZN7rocprim17ROCPRIM_304000_NS6detail45device_block_merge_mergepath_partition_kernelINS1_37wrapped_merge_sort_block_merge_configINS0_14default_configEbN2at4cuda3cub6detail10OpaqueTypeILi8EEEEEPbjNS1_19radix_merge_compareILb0ELb0EbNS0_19identity_decomposerEEEEEvT0_T1_jPSH_T2_SH_.uses_flat_scratch, 0
	.set _ZN7rocprim17ROCPRIM_304000_NS6detail45device_block_merge_mergepath_partition_kernelINS1_37wrapped_merge_sort_block_merge_configINS0_14default_configEbN2at4cuda3cub6detail10OpaqueTypeILi8EEEEEPbjNS1_19radix_merge_compareILb0ELb0EbNS0_19identity_decomposerEEEEEvT0_T1_jPSH_T2_SH_.has_dyn_sized_stack, 0
	.set _ZN7rocprim17ROCPRIM_304000_NS6detail45device_block_merge_mergepath_partition_kernelINS1_37wrapped_merge_sort_block_merge_configINS0_14default_configEbN2at4cuda3cub6detail10OpaqueTypeILi8EEEEEPbjNS1_19radix_merge_compareILb0ELb0EbNS0_19identity_decomposerEEEEEvT0_T1_jPSH_T2_SH_.has_recursion, 0
	.set _ZN7rocprim17ROCPRIM_304000_NS6detail45device_block_merge_mergepath_partition_kernelINS1_37wrapped_merge_sort_block_merge_configINS0_14default_configEbN2at4cuda3cub6detail10OpaqueTypeILi8EEEEEPbjNS1_19radix_merge_compareILb0ELb0EbNS0_19identity_decomposerEEEEEvT0_T1_jPSH_T2_SH_.has_indirect_call, 0
	.section	.AMDGPU.csdata,"",@progbits
; Kernel info:
; codeLenInByte = 320
; TotalNumSgprs: 12
; NumVgprs: 17
; NumAgprs: 0
; TotalNumVgprs: 17
; ScratchSize: 0
; MemoryBound: 0
; FloatMode: 240
; IeeeMode: 1
; LDSByteSize: 0 bytes/workgroup (compile time only)
; SGPRBlocks: 1
; VGPRBlocks: 2
; NumSGPRsForWavesPerEU: 12
; NumVGPRsForWavesPerEU: 17
; AccumOffset: 20
; Occupancy: 8
; WaveLimiterHint : 0
; COMPUTE_PGM_RSRC2:SCRATCH_EN: 0
; COMPUTE_PGM_RSRC2:USER_SGPR: 2
; COMPUTE_PGM_RSRC2:TRAP_HANDLER: 0
; COMPUTE_PGM_RSRC2:TGID_X_EN: 1
; COMPUTE_PGM_RSRC2:TGID_Y_EN: 0
; COMPUTE_PGM_RSRC2:TGID_Z_EN: 0
; COMPUTE_PGM_RSRC2:TIDIG_COMP_CNT: 0
; COMPUTE_PGM_RSRC3_GFX90A:ACCUM_OFFSET: 4
; COMPUTE_PGM_RSRC3_GFX90A:TG_SPLIT: 0
	.section	.text._ZN7rocprim17ROCPRIM_304000_NS6detail35device_block_merge_mergepath_kernelINS1_37wrapped_merge_sort_block_merge_configINS0_14default_configEbN2at4cuda3cub6detail10OpaqueTypeILi8EEEEEPbSC_PSA_SD_jNS1_19radix_merge_compareILb0ELb0EbNS0_19identity_decomposerEEEEEvT0_T1_T2_T3_T4_SL_jT5_PKSL_NS1_7vsmem_tE,"axG",@progbits,_ZN7rocprim17ROCPRIM_304000_NS6detail35device_block_merge_mergepath_kernelINS1_37wrapped_merge_sort_block_merge_configINS0_14default_configEbN2at4cuda3cub6detail10OpaqueTypeILi8EEEEEPbSC_PSA_SD_jNS1_19radix_merge_compareILb0ELb0EbNS0_19identity_decomposerEEEEEvT0_T1_T2_T3_T4_SL_jT5_PKSL_NS1_7vsmem_tE,comdat
	.protected	_ZN7rocprim17ROCPRIM_304000_NS6detail35device_block_merge_mergepath_kernelINS1_37wrapped_merge_sort_block_merge_configINS0_14default_configEbN2at4cuda3cub6detail10OpaqueTypeILi8EEEEEPbSC_PSA_SD_jNS1_19radix_merge_compareILb0ELb0EbNS0_19identity_decomposerEEEEEvT0_T1_T2_T3_T4_SL_jT5_PKSL_NS1_7vsmem_tE ; -- Begin function _ZN7rocprim17ROCPRIM_304000_NS6detail35device_block_merge_mergepath_kernelINS1_37wrapped_merge_sort_block_merge_configINS0_14default_configEbN2at4cuda3cub6detail10OpaqueTypeILi8EEEEEPbSC_PSA_SD_jNS1_19radix_merge_compareILb0ELb0EbNS0_19identity_decomposerEEEEEvT0_T1_T2_T3_T4_SL_jT5_PKSL_NS1_7vsmem_tE
	.globl	_ZN7rocprim17ROCPRIM_304000_NS6detail35device_block_merge_mergepath_kernelINS1_37wrapped_merge_sort_block_merge_configINS0_14default_configEbN2at4cuda3cub6detail10OpaqueTypeILi8EEEEEPbSC_PSA_SD_jNS1_19radix_merge_compareILb0ELb0EbNS0_19identity_decomposerEEEEEvT0_T1_T2_T3_T4_SL_jT5_PKSL_NS1_7vsmem_tE
	.p2align	8
	.type	_ZN7rocprim17ROCPRIM_304000_NS6detail35device_block_merge_mergepath_kernelINS1_37wrapped_merge_sort_block_merge_configINS0_14default_configEbN2at4cuda3cub6detail10OpaqueTypeILi8EEEEEPbSC_PSA_SD_jNS1_19radix_merge_compareILb0ELb0EbNS0_19identity_decomposerEEEEEvT0_T1_T2_T3_T4_SL_jT5_PKSL_NS1_7vsmem_tE,@function
_ZN7rocprim17ROCPRIM_304000_NS6detail35device_block_merge_mergepath_kernelINS1_37wrapped_merge_sort_block_merge_configINS0_14default_configEbN2at4cuda3cub6detail10OpaqueTypeILi8EEEEEPbSC_PSA_SD_jNS1_19radix_merge_compareILb0ELb0EbNS0_19identity_decomposerEEEEEvT0_T1_T2_T3_T4_SL_jT5_PKSL_NS1_7vsmem_tE: ; @_ZN7rocprim17ROCPRIM_304000_NS6detail35device_block_merge_mergepath_kernelINS1_37wrapped_merge_sort_block_merge_configINS0_14default_configEbN2at4cuda3cub6detail10OpaqueTypeILi8EEEEEPbSC_PSA_SD_jNS1_19radix_merge_compareILb0ELb0EbNS0_19identity_decomposerEEEEEvT0_T1_T2_T3_T4_SL_jT5_PKSL_NS1_7vsmem_tE
; %bb.0:
	s_load_dwordx2 s[24:25], s[0:1], 0x40
	s_load_dwordx4 s[12:15], s[0:1], 0x20
	s_add_u32 s22, s0, 64
	s_addc_u32 s23, s1, 0
	s_waitcnt lgkmcnt(0)
	s_mul_i32 s4, s25, s4
	s_add_i32 s3, s4, s3
	s_mul_i32 s3, s3, s24
	s_add_i32 s20, s3, s2
	s_cmp_ge_u32 s20, s14
	s_cbranch_scc1 .LBB174_51
; %bb.1:
	s_load_dwordx8 s[4:11], s[0:1], 0x0
	s_load_dwordx2 s[16:17], s[0:1], 0x30
	s_lshr_b32 s3, s12, 10
	s_cmp_lg_u32 s20, s3
	s_mov_b32 s21, 0
	s_cselect_b64 s[14:15], -1, 0
	s_lshl_b64 s[0:1], s[20:21], 2
	s_waitcnt lgkmcnt(0)
	s_add_u32 s0, s16, s0
	s_addc_u32 s1, s17, s1
	s_load_dwordx2 s[16:17], s[0:1], 0x0
	s_lshr_b32 s0, s13, 9
	s_and_b32 s0, s0, 0x7ffffe
	s_sub_i32 s0, 0, s0
	s_and_b32 s1, s20, s0
	s_lshl_b32 s19, s1, 10
	s_lshl_b32 s25, s20, 10
	s_lshl_b32 s1, s1, 11
	s_sub_i32 s18, s25, s19
	s_add_i32 s1, s1, s13
	s_add_i32 s26, s1, s18
	s_waitcnt lgkmcnt(0)
	s_sub_i32 s18, s26, s16
	s_sub_i32 s26, s26, s17
	;; [unrolled: 1-line block ×3, first 2 shown]
	s_min_u32 s18, s12, s18
	s_addk_i32 s26, 0x400
	s_or_b32 s0, s20, s0
	s_min_u32 s19, s12, s1
	s_add_i32 s1, s1, s13
	s_cmp_eq_u32 s0, -1
	s_cselect_b32 s0, s1, s26
	s_cselect_b32 s1, s19, s17
	s_min_u32 s0, s0, s12
	s_sub_i32 s13, s1, s16
	s_sub_i32 s26, s0, s18
	s_add_u32 s27, s4, s16
	s_addc_u32 s28, s5, 0
	s_add_u32 s4, s4, s18
	s_addc_u32 s5, s5, 0
	s_cmp_lt_u32 s2, s24
	v_mov_b32_e32 v3, 0
	s_cselect_b32 s0, 12, 18
	global_load_dword v1, v3, s[22:23] offset:14
	s_add_u32 s0, s22, s0
	s_addc_u32 s1, s23, 0
	global_load_ushort v2, v3, s[0:1]
	s_mov_b32 s19, s21
	s_mov_b32 s17, s21
	s_cmp_eq_u32 s20, s3
	v_cmp_gt_u32_e32 vcc, s13, v0
	s_waitcnt vmcnt(1)
	v_lshrrev_b32_e32 v4, 16, v1
	v_and_b32_e32 v1, 0xffff, v1
	v_mul_lo_u32 v1, v1, v4
	s_waitcnt vmcnt(0)
	v_mul_lo_u32 v4, v1, v2
	v_add_u32_e32 v1, v4, v0
	s_cbranch_scc1 .LBB174_3
; %bb.2:
	v_mov_b32_e32 v5, s5
	v_mov_b32_e32 v6, s28
	v_subrev_u32_e32 v2, s13, v0
	v_cndmask_b32_e32 v7, v5, v6, vcc
	v_mov_b32_e32 v5, s4
	v_mov_b32_e32 v6, s27
	v_min_u32_e32 v2, v0, v2
	v_cndmask_b32_e32 v6, v5, v6, vcc
	v_lshl_add_u64 v[2:3], v[6:7], 0, v[2:3]
	global_load_ubyte v6, v[2:3], off
	s_add_i32 s20, s26, s13
	v_add_u32_e32 v2, v4, v0
	s_mov_b64 s[0:1], -1
	v_mov_b32_e32 v7, s20
	s_cbranch_execz .LBB174_4
	s_branch .LBB174_7
.LBB174_3:
	s_mov_b64 s[0:1], 0
                                        ; implicit-def: $vgpr2
                                        ; implicit-def: $vgpr6
                                        ; implicit-def: $vgpr7
.LBB174_4:
	s_add_i32 s2, s26, s13
	v_cmp_gt_u32_e32 vcc, s2, v0
	s_waitcnt vmcnt(0)
	v_mov_b32_e32 v6, 0
	s_and_saveexec_b64 s[0:1], vcc
	s_cbranch_execz .LBB174_6
; %bb.5:
	v_mov_b32_e32 v2, s5
	v_mov_b32_e32 v3, s28
	v_cmp_gt_u32_e32 vcc, s13, v0
	v_mov_b32_e32 v4, s27
	v_mov_b32_e32 v5, 0
	v_cndmask_b32_e32 v3, v2, v3, vcc
	v_mov_b32_e32 v2, s4
	v_cndmask_b32_e32 v2, v2, v4, vcc
	v_subrev_u32_e32 v4, s13, v0
	v_min_u32_e32 v4, v0, v4
	v_lshl_add_u64 v[2:3], v[2:3], 0, v[4:5]
	global_load_ubyte v6, v[2:3], off
.LBB174_6:
	s_or_b64 exec, exec, s[0:1]
	v_cmp_gt_u32_e64 s[0:1], s2, v1
	v_mov_b32_e32 v7, s2
	v_mov_b32_e32 v2, v1
.LBB174_7:
	s_and_saveexec_b64 s[2:3], s[0:1]
	s_cbranch_execz .LBB174_9
; %bb.8:
	v_subrev_u32_e32 v1, s13, v2
	v_min_u32_e32 v4, v2, v1
	v_mov_b32_e32 v1, s5
	v_mov_b32_e32 v3, s28
	v_cmp_gt_u32_e32 vcc, s13, v2
	v_mov_b32_e32 v2, s27
	v_mov_b32_e32 v5, 0
	v_cndmask_b32_e32 v3, v1, v3, vcc
	v_mov_b32_e32 v1, s4
	v_cndmask_b32_e32 v2, v1, v2, vcc
	v_lshl_add_u64 v[2:3], v[2:3], 0, v[4:5]
	global_load_ubyte v1, v[2:3], off
	s_mov_b32 s0, 0xc0c0004
	s_waitcnt vmcnt(0)
	v_perm_b32 v6, v6, v1, s0
.LBB174_9:
	s_or_b64 exec, exec, s[2:3]
	v_lshlrev_b32_e32 v8, 1, v0
	s_waitcnt vmcnt(0)
	v_lshrrev_b16_e32 v1, 8, v6
	v_min_u32_e32 v2, v7, v8
	ds_write_b8 v0, v1 offset:512
	v_sub_u32_e64 v1, v2, s26 clamp
	v_min_u32_e32 v3, s13, v2
	v_cmp_lt_u32_e32 vcc, v1, v3
	ds_write_b8 v0, v6
	s_waitcnt lgkmcnt(0)
	s_barrier
	s_and_saveexec_b64 s[0:1], vcc
	s_cbranch_execz .LBB174_13
; %bb.10:
	v_add_u32_e32 v4, s13, v2
	s_mov_b64 s[2:3], 0
.LBB174_11:                             ; =>This Inner Loop Header: Depth=1
	v_add_u32_e32 v5, v3, v1
	v_lshrrev_b32_e32 v5, 1, v5
	v_xad_u32 v9, v5, -1, v4
	ds_read_u8 v10, v5
	ds_read_u8 v9, v9
	v_add_u32_e32 v11, 1, v5
	s_waitcnt lgkmcnt(0)
	v_cmp_gt_u16_e32 vcc, v10, v9
	s_nop 1
	v_cndmask_b32_e32 v3, v3, v5, vcc
	v_cndmask_b32_e32 v1, v11, v1, vcc
	v_cmp_ge_u32_e32 vcc, v1, v3
	s_or_b64 s[2:3], vcc, s[2:3]
	s_andn2_b64 exec, exec, s[2:3]
	s_cbranch_execnz .LBB174_11
; %bb.12:
	s_or_b64 exec, exec, s[2:3]
.LBB174_13:
	s_or_b64 exec, exec, s[0:1]
	v_sub_u32_e32 v2, v2, v1
	v_add_u32_e32 v2, s13, v2
	v_cmp_ge_u32_e32 vcc, s13, v1
	v_cmp_le_u32_e64 s[0:1], v2, v7
	s_or_b64 s[0:1], vcc, s[0:1]
	v_mov_b32_e32 v9, 0
	v_mov_b32_e32 v10, 0
	s_and_saveexec_b64 s[4:5], s[0:1]
	s_cbranch_execz .LBB174_19
; %bb.14:
	v_cmp_gt_u32_e32 vcc, s13, v1
                                        ; implicit-def: $vgpr3
	s_and_saveexec_b64 s[0:1], vcc
; %bb.15:
	ds_read_u8 v3, v1
; %bb.16:
	s_or_b64 exec, exec, s[0:1]
	v_cmp_ge_u32_e64 s[0:1], v2, v7
	v_cmp_lt_u32_e64 s[2:3], v2, v7
                                        ; implicit-def: $vgpr4
	s_and_saveexec_b64 s[20:21], s[2:3]
; %bb.17:
	ds_read_u8 v4, v2
; %bb.18:
	s_or_b64 exec, exec, s[20:21]
	s_waitcnt lgkmcnt(0)
	v_cmp_le_u16_sdwa s[2:3], v3, v4 src0_sel:BYTE_0 src1_sel:BYTE_0
	s_and_b64 s[2:3], vcc, s[2:3]
	s_or_b64 vcc, s[0:1], s[2:3]
	v_mov_b32_e32 v5, s13
	v_cndmask_b32_e32 v10, v2, v1, vcc
	v_cndmask_b32_e32 v5, v7, v5, vcc
	v_add_u32_e32 v6, 1, v10
	v_add_u32_e32 v5, -1, v5
	v_min_u32_e32 v5, v6, v5
	ds_read_u8 v5, v5
	v_cndmask_b32_e32 v11, v4, v3, vcc
	v_cndmask_b32_e32 v1, v1, v6, vcc
	;; [unrolled: 1-line block ×3, first 2 shown]
	v_cmp_gt_u32_e64 s[0:1], s13, v1
	s_waitcnt lgkmcnt(0)
	v_cndmask_b32_e32 v4, v5, v4, vcc
	v_cndmask_b32_e32 v3, v3, v5, vcc
	v_cmp_le_u16_sdwa s[2:3], v3, v4 src0_sel:BYTE_0 src1_sel:BYTE_0
	v_cmp_ge_u32_e32 vcc, v2, v7
	s_and_b64 s[0:1], s[0:1], s[2:3]
	s_or_b64 vcc, vcc, s[0:1]
	s_movk_i32 s20, 0xff
	v_cndmask_b32_e32 v9, v2, v1, vcc
	v_cndmask_b32_sdwa v1, v4, v3, vcc dst_sel:BYTE_1 dst_unused:UNUSED_PAD src0_sel:DWORD src1_sel:DWORD
	s_nop 0
	v_bitop3_b16 v1, v11, v1, s20 bitop3:0xec
	v_and_b32_e32 v6, 0xffff, v1
.LBB174_19:
	s_or_b64 exec, exec, s[4:5]
	s_lshl_b64 s[0:1], s[16:17], 3
	s_add_u32 s16, s8, s0
	s_addc_u32 s17, s9, s1
	s_lshl_b64 s[0:1], s[18:19], 3
	s_add_u32 s8, s8, s0
	v_cndmask_b32_e64 v2, 0, 1, s[14:15]
	v_mov_b32_e32 v1, 0
	s_addc_u32 s9, s9, s1
	v_cmp_gt_u32_e64 s[4:5], s13, v0
	v_cmp_ne_u32_e64 s[0:1], 1, v2
	s_andn2_b64 vcc, exec, s[14:15]
	v_cmp_le_u32_e64 s[2:3], s13, v0
	s_barrier
	s_cbranch_vccnz .LBB174_21
; %bb.20:
	v_subrev_u32_e32 v4, s13, v0
	v_lshlrev_b32_e32 v2, 3, v0
	v_mov_b32_e32 v3, v1
	v_lshlrev_b32_e32 v4, 3, v4
	v_mov_b32_e32 v5, v1
	v_lshl_add_u64 v[2:3], s[16:17], 0, v[2:3]
	v_lshl_add_u64 v[4:5], s[8:9], 0, v[4:5]
	v_cndmask_b32_e64 v3, v5, v3, s[4:5]
	v_cndmask_b32_e64 v2, v4, v2, s[4:5]
	global_load_dwordx2 v[12:13], v[2:3], off
	v_or_b32_e32 v11, 0x200, v0
	v_mov_b32_e32 v2, s9
	v_mov_b32_e32 v3, s17
	;; [unrolled: 1-line block ×4, first 2 shown]
	v_subrev_u32_e32 v4, s13, v11
	v_cmp_gt_u32_e32 vcc, s13, v11
	v_mad_u32_u24 v5, v0, 7, v0
	s_nop 0
	v_cndmask_b32_e32 v3, v2, v3, vcc
	v_min_u32_e32 v4, v11, v4
	v_cndmask_b32_e32 v2, v14, v15, vcc
	s_mov_b64 s[4:5], -1
	s_waitcnt vmcnt(0)
	ds_write_b64 v5, v[12:13]
	s_cbranch_execz .LBB174_22
	s_branch .LBB174_31
.LBB174_21:
	s_mov_b64 s[4:5], 0
                                        ; implicit-def: $vgpr11
                                        ; implicit-def: $vgpr2_vgpr3
                                        ; implicit-def: $vgpr4
.LBB174_22:
	s_and_saveexec_b64 s[4:5], s[2:3]
	s_xor_b64 s[2:3], exec, s[4:5]
	s_cbranch_execz .LBB174_26
; %bb.23:
	v_subrev_u32_e32 v2, s13, v0
	v_cmp_gt_u32_e32 vcc, s26, v2
	s_and_saveexec_b64 s[4:5], vcc
	s_cbranch_execz .LBB174_25
; %bb.24:
	v_lshlrev_b32_e32 v2, 3, v2
	global_load_dwordx2 v[2:3], v2, s[8:9]
	v_mad_u32_u24 v4, v0, 7, v0
	s_waitcnt vmcnt(0)
	ds_write_b64 v4, v[2:3]
.LBB174_25:
	s_or_b64 exec, exec, s[4:5]
.LBB174_26:
	s_andn2_saveexec_b64 s[2:3], s[2:3]
	s_cbranch_execz .LBB174_28
; %bb.27:
	v_lshlrev_b32_e32 v2, 3, v0
	global_load_dwordx2 v[2:3], v2, s[16:17]
	v_mad_u32_u24 v4, v0, 7, v0
	s_waitcnt vmcnt(0)
	ds_write_b64 v4, v[2:3]
.LBB174_28:
	s_or_b64 exec, exec, s[2:3]
	v_or_b32_e32 v11, 0x200, v0
	v_cmp_le_u32_e32 vcc, s13, v11
	s_mov_b64 s[4:5], -1
	v_mov_b64_e32 v[2:3], s[16:17]
	v_mov_b32_e32 v4, v11
	s_and_saveexec_b64 s[2:3], vcc
; %bb.29:
	v_subrev_u32_e32 v4, s13, v11
	v_cmp_gt_u32_e32 vcc, s26, v4
	v_mov_b64_e32 v[2:3], s[8:9]
	s_orn2_b64 s[4:5], vcc, exec
; %bb.30:
	s_or_b64 exec, exec, s[2:3]
.LBB174_31:
	s_and_saveexec_b64 s[2:3], s[4:5]
	s_cbranch_execz .LBB174_33
; %bb.32:
	v_mov_b32_e32 v5, 0
	v_lshl_add_u64 v[2:3], v[4:5], 3, v[2:3]
	global_load_dwordx2 v[2:3], v[2:3], off
	v_lshlrev_b32_e32 v4, 3, v11
	s_waitcnt vmcnt(0)
	ds_write_b64 v4, v[2:3]
.LBB174_33:
	s_or_b64 exec, exec, s[2:3]
	s_and_b64 vcc, exec, s[0:1]
	v_add_u32_e32 v2, s25, v8
	s_waitcnt lgkmcnt(0)
	s_barrier
	s_cbranch_vccnz .LBB174_35
; %bb.34:
	v_lshlrev_b32_e32 v3, 3, v10
	ds_read_b64 v[4:5], v3
	v_mov_b32_e32 v3, 0
	v_lshl_add_u64 v[12:13], v[2:3], 3, s[10:11]
	s_mov_b64 s[0:1], -1
	s_waitcnt lgkmcnt(0)
	global_store_dwordx2 v[12:13], v[4:5], off
	s_cbranch_execz .LBB174_36
	s_branch .LBB174_41
.LBB174_35:
	s_mov_b64 s[0:1], 0
.LBB174_36:
	v_cmp_lt_u32_e32 vcc, v8, v7
	s_and_saveexec_b64 s[2:3], vcc
	s_cbranch_execz .LBB174_38
; %bb.37:
	v_lshlrev_b32_e32 v3, 3, v10
	ds_read_b64 v[4:5], v3
	v_mov_b32_e32 v3, 0
	v_lshl_add_u64 v[10:11], v[2:3], 3, s[10:11]
	s_waitcnt lgkmcnt(0)
	global_store_dwordx2 v[10:11], v[4:5], off
.LBB174_38:
	s_or_b64 exec, exec, s[2:3]
	v_or_b32_e32 v3, 1, v8
	v_cmp_lt_u32_e32 vcc, v3, v7
	s_and_saveexec_b64 s[2:3], vcc
; %bb.39:
	v_mov_b32_e32 v3, 0
	s_or_b64 s[0:1], s[0:1], exec
; %bb.40:
	s_or_b64 exec, exec, s[2:3]
.LBB174_41:
	s_and_saveexec_b64 s[2:3], s[0:1]
	s_cbranch_execz .LBB174_43
; %bb.42:
	v_lshlrev_b32_e32 v4, 3, v9
	ds_read_b64 v[4:5], v4
	v_lshl_add_u64 v[2:3], v[2:3], 3, s[10:11]
	s_waitcnt lgkmcnt(0)
	global_store_dwordx2 v[2:3], v[4:5], off offset:8
.LBB174_43:
	s_or_b64 exec, exec, s[2:3]
	v_lshrrev_b32_e32 v2, 4, v0
	v_and_b32_e32 v2, 28, v2
	v_add_u32_e32 v2, v2, v8
	s_barrier
	s_barrier
	ds_write_b16 v2, v6
	v_lshrrev_b32_e32 v2, 5, v0
	v_or_b32_e32 v4, 0x200, v0
	s_add_u32 s0, s6, s25
	v_and_b32_e32 v5, 12, v2
	v_lshrrev_b32_e32 v2, 5, v4
	s_addc_u32 s1, s7, 0
	v_and_b32_e32 v6, 28, v2
	v_lshl_add_u64 v[2:3], s[0:1], 0, v[0:1]
	s_and_b64 vcc, exec, s[14:15]
	v_add_u32_e32 v6, v6, v0
	s_waitcnt lgkmcnt(0)
	s_cbranch_vccz .LBB174_45
; %bb.44:
	v_add_u32_e32 v1, v5, v0
	s_barrier
	ds_read_u8 v7, v1
	ds_read_u8 v1, v6 offset:512
	s_mov_b64 s[0:1], -1
	s_waitcnt lgkmcnt(1)
	global_store_byte v[2:3], v7, off
	s_cbranch_execz .LBB174_46
	s_branch .LBB174_49
.LBB174_45:
	s_mov_b64 s[0:1], 0
                                        ; implicit-def: $vgpr1
.LBB174_46:
	s_barrier
	s_waitcnt lgkmcnt(0)
	ds_read_u8 v1, v6 offset:512
	s_sub_i32 s2, s12, s25
	v_cmp_gt_u32_e32 vcc, s2, v0
	s_and_saveexec_b64 s[0:1], vcc
	s_cbranch_execz .LBB174_48
; %bb.47:
	v_add_u32_e32 v0, v5, v0
	ds_read_u8 v0, v0
	s_waitcnt lgkmcnt(0)
	global_store_byte v[2:3], v0, off
.LBB174_48:
	s_or_b64 exec, exec, s[0:1]
	v_cmp_gt_u32_e64 s[0:1], s2, v4
.LBB174_49:
	s_and_saveexec_b64 s[2:3], s[0:1]
	s_cbranch_execz .LBB174_51
; %bb.50:
	s_waitcnt lgkmcnt(0)
	global_store_byte v[2:3], v1, off offset:512
.LBB174_51:
	s_endpgm
	.section	.rodata,"a",@progbits
	.p2align	6, 0x0
	.amdhsa_kernel _ZN7rocprim17ROCPRIM_304000_NS6detail35device_block_merge_mergepath_kernelINS1_37wrapped_merge_sort_block_merge_configINS0_14default_configEbN2at4cuda3cub6detail10OpaqueTypeILi8EEEEEPbSC_PSA_SD_jNS1_19radix_merge_compareILb0ELb0EbNS0_19identity_decomposerEEEEEvT0_T1_T2_T3_T4_SL_jT5_PKSL_NS1_7vsmem_tE
		.amdhsa_group_segment_fixed_size 8208
		.amdhsa_private_segment_fixed_size 0
		.amdhsa_kernarg_size 320
		.amdhsa_user_sgpr_count 2
		.amdhsa_user_sgpr_dispatch_ptr 0
		.amdhsa_user_sgpr_queue_ptr 0
		.amdhsa_user_sgpr_kernarg_segment_ptr 1
		.amdhsa_user_sgpr_dispatch_id 0
		.amdhsa_user_sgpr_kernarg_preload_length 0
		.amdhsa_user_sgpr_kernarg_preload_offset 0
		.amdhsa_user_sgpr_private_segment_size 0
		.amdhsa_uses_dynamic_stack 0
		.amdhsa_enable_private_segment 0
		.amdhsa_system_sgpr_workgroup_id_x 1
		.amdhsa_system_sgpr_workgroup_id_y 1
		.amdhsa_system_sgpr_workgroup_id_z 1
		.amdhsa_system_sgpr_workgroup_info 0
		.amdhsa_system_vgpr_workitem_id 0
		.amdhsa_next_free_vgpr 16
		.amdhsa_next_free_sgpr 29
		.amdhsa_accum_offset 16
		.amdhsa_reserve_vcc 1
		.amdhsa_float_round_mode_32 0
		.amdhsa_float_round_mode_16_64 0
		.amdhsa_float_denorm_mode_32 3
		.amdhsa_float_denorm_mode_16_64 3
		.amdhsa_dx10_clamp 1
		.amdhsa_ieee_mode 1
		.amdhsa_fp16_overflow 0
		.amdhsa_tg_split 0
		.amdhsa_exception_fp_ieee_invalid_op 0
		.amdhsa_exception_fp_denorm_src 0
		.amdhsa_exception_fp_ieee_div_zero 0
		.amdhsa_exception_fp_ieee_overflow 0
		.amdhsa_exception_fp_ieee_underflow 0
		.amdhsa_exception_fp_ieee_inexact 0
		.amdhsa_exception_int_div_zero 0
	.end_amdhsa_kernel
	.section	.text._ZN7rocprim17ROCPRIM_304000_NS6detail35device_block_merge_mergepath_kernelINS1_37wrapped_merge_sort_block_merge_configINS0_14default_configEbN2at4cuda3cub6detail10OpaqueTypeILi8EEEEEPbSC_PSA_SD_jNS1_19radix_merge_compareILb0ELb0EbNS0_19identity_decomposerEEEEEvT0_T1_T2_T3_T4_SL_jT5_PKSL_NS1_7vsmem_tE,"axG",@progbits,_ZN7rocprim17ROCPRIM_304000_NS6detail35device_block_merge_mergepath_kernelINS1_37wrapped_merge_sort_block_merge_configINS0_14default_configEbN2at4cuda3cub6detail10OpaqueTypeILi8EEEEEPbSC_PSA_SD_jNS1_19radix_merge_compareILb0ELb0EbNS0_19identity_decomposerEEEEEvT0_T1_T2_T3_T4_SL_jT5_PKSL_NS1_7vsmem_tE,comdat
.Lfunc_end174:
	.size	_ZN7rocprim17ROCPRIM_304000_NS6detail35device_block_merge_mergepath_kernelINS1_37wrapped_merge_sort_block_merge_configINS0_14default_configEbN2at4cuda3cub6detail10OpaqueTypeILi8EEEEEPbSC_PSA_SD_jNS1_19radix_merge_compareILb0ELb0EbNS0_19identity_decomposerEEEEEvT0_T1_T2_T3_T4_SL_jT5_PKSL_NS1_7vsmem_tE, .Lfunc_end174-_ZN7rocprim17ROCPRIM_304000_NS6detail35device_block_merge_mergepath_kernelINS1_37wrapped_merge_sort_block_merge_configINS0_14default_configEbN2at4cuda3cub6detail10OpaqueTypeILi8EEEEEPbSC_PSA_SD_jNS1_19radix_merge_compareILb0ELb0EbNS0_19identity_decomposerEEEEEvT0_T1_T2_T3_T4_SL_jT5_PKSL_NS1_7vsmem_tE
                                        ; -- End function
	.set _ZN7rocprim17ROCPRIM_304000_NS6detail35device_block_merge_mergepath_kernelINS1_37wrapped_merge_sort_block_merge_configINS0_14default_configEbN2at4cuda3cub6detail10OpaqueTypeILi8EEEEEPbSC_PSA_SD_jNS1_19radix_merge_compareILb0ELb0EbNS0_19identity_decomposerEEEEEvT0_T1_T2_T3_T4_SL_jT5_PKSL_NS1_7vsmem_tE.num_vgpr, 16
	.set _ZN7rocprim17ROCPRIM_304000_NS6detail35device_block_merge_mergepath_kernelINS1_37wrapped_merge_sort_block_merge_configINS0_14default_configEbN2at4cuda3cub6detail10OpaqueTypeILi8EEEEEPbSC_PSA_SD_jNS1_19radix_merge_compareILb0ELb0EbNS0_19identity_decomposerEEEEEvT0_T1_T2_T3_T4_SL_jT5_PKSL_NS1_7vsmem_tE.num_agpr, 0
	.set _ZN7rocprim17ROCPRIM_304000_NS6detail35device_block_merge_mergepath_kernelINS1_37wrapped_merge_sort_block_merge_configINS0_14default_configEbN2at4cuda3cub6detail10OpaqueTypeILi8EEEEEPbSC_PSA_SD_jNS1_19radix_merge_compareILb0ELb0EbNS0_19identity_decomposerEEEEEvT0_T1_T2_T3_T4_SL_jT5_PKSL_NS1_7vsmem_tE.numbered_sgpr, 29
	.set _ZN7rocprim17ROCPRIM_304000_NS6detail35device_block_merge_mergepath_kernelINS1_37wrapped_merge_sort_block_merge_configINS0_14default_configEbN2at4cuda3cub6detail10OpaqueTypeILi8EEEEEPbSC_PSA_SD_jNS1_19radix_merge_compareILb0ELb0EbNS0_19identity_decomposerEEEEEvT0_T1_T2_T3_T4_SL_jT5_PKSL_NS1_7vsmem_tE.num_named_barrier, 0
	.set _ZN7rocprim17ROCPRIM_304000_NS6detail35device_block_merge_mergepath_kernelINS1_37wrapped_merge_sort_block_merge_configINS0_14default_configEbN2at4cuda3cub6detail10OpaqueTypeILi8EEEEEPbSC_PSA_SD_jNS1_19radix_merge_compareILb0ELb0EbNS0_19identity_decomposerEEEEEvT0_T1_T2_T3_T4_SL_jT5_PKSL_NS1_7vsmem_tE.private_seg_size, 0
	.set _ZN7rocprim17ROCPRIM_304000_NS6detail35device_block_merge_mergepath_kernelINS1_37wrapped_merge_sort_block_merge_configINS0_14default_configEbN2at4cuda3cub6detail10OpaqueTypeILi8EEEEEPbSC_PSA_SD_jNS1_19radix_merge_compareILb0ELb0EbNS0_19identity_decomposerEEEEEvT0_T1_T2_T3_T4_SL_jT5_PKSL_NS1_7vsmem_tE.uses_vcc, 1
	.set _ZN7rocprim17ROCPRIM_304000_NS6detail35device_block_merge_mergepath_kernelINS1_37wrapped_merge_sort_block_merge_configINS0_14default_configEbN2at4cuda3cub6detail10OpaqueTypeILi8EEEEEPbSC_PSA_SD_jNS1_19radix_merge_compareILb0ELb0EbNS0_19identity_decomposerEEEEEvT0_T1_T2_T3_T4_SL_jT5_PKSL_NS1_7vsmem_tE.uses_flat_scratch, 0
	.set _ZN7rocprim17ROCPRIM_304000_NS6detail35device_block_merge_mergepath_kernelINS1_37wrapped_merge_sort_block_merge_configINS0_14default_configEbN2at4cuda3cub6detail10OpaqueTypeILi8EEEEEPbSC_PSA_SD_jNS1_19radix_merge_compareILb0ELb0EbNS0_19identity_decomposerEEEEEvT0_T1_T2_T3_T4_SL_jT5_PKSL_NS1_7vsmem_tE.has_dyn_sized_stack, 0
	.set _ZN7rocprim17ROCPRIM_304000_NS6detail35device_block_merge_mergepath_kernelINS1_37wrapped_merge_sort_block_merge_configINS0_14default_configEbN2at4cuda3cub6detail10OpaqueTypeILi8EEEEEPbSC_PSA_SD_jNS1_19radix_merge_compareILb0ELb0EbNS0_19identity_decomposerEEEEEvT0_T1_T2_T3_T4_SL_jT5_PKSL_NS1_7vsmem_tE.has_recursion, 0
	.set _ZN7rocprim17ROCPRIM_304000_NS6detail35device_block_merge_mergepath_kernelINS1_37wrapped_merge_sort_block_merge_configINS0_14default_configEbN2at4cuda3cub6detail10OpaqueTypeILi8EEEEEPbSC_PSA_SD_jNS1_19radix_merge_compareILb0ELb0EbNS0_19identity_decomposerEEEEEvT0_T1_T2_T3_T4_SL_jT5_PKSL_NS1_7vsmem_tE.has_indirect_call, 0
	.section	.AMDGPU.csdata,"",@progbits
; Kernel info:
; codeLenInByte = 1816
; TotalNumSgprs: 35
; NumVgprs: 16
; NumAgprs: 0
; TotalNumVgprs: 16
; ScratchSize: 0
; MemoryBound: 0
; FloatMode: 240
; IeeeMode: 1
; LDSByteSize: 8208 bytes/workgroup (compile time only)
; SGPRBlocks: 4
; VGPRBlocks: 1
; NumSGPRsForWavesPerEU: 35
; NumVGPRsForWavesPerEU: 16
; AccumOffset: 16
; Occupancy: 8
; WaveLimiterHint : 1
; COMPUTE_PGM_RSRC2:SCRATCH_EN: 0
; COMPUTE_PGM_RSRC2:USER_SGPR: 2
; COMPUTE_PGM_RSRC2:TRAP_HANDLER: 0
; COMPUTE_PGM_RSRC2:TGID_X_EN: 1
; COMPUTE_PGM_RSRC2:TGID_Y_EN: 1
; COMPUTE_PGM_RSRC2:TGID_Z_EN: 1
; COMPUTE_PGM_RSRC2:TIDIG_COMP_CNT: 0
; COMPUTE_PGM_RSRC3_GFX90A:ACCUM_OFFSET: 3
; COMPUTE_PGM_RSRC3_GFX90A:TG_SPLIT: 0
	.section	.text._ZN7rocprim17ROCPRIM_304000_NS6detail33device_block_merge_oddeven_kernelINS1_37wrapped_merge_sort_block_merge_configINS0_14default_configEbN2at4cuda3cub6detail10OpaqueTypeILi8EEEEEPbSC_PSA_SD_jNS1_19radix_merge_compareILb0ELb0EbNS0_19identity_decomposerEEEEEvT0_T1_T2_T3_T4_SL_T5_,"axG",@progbits,_ZN7rocprim17ROCPRIM_304000_NS6detail33device_block_merge_oddeven_kernelINS1_37wrapped_merge_sort_block_merge_configINS0_14default_configEbN2at4cuda3cub6detail10OpaqueTypeILi8EEEEEPbSC_PSA_SD_jNS1_19radix_merge_compareILb0ELb0EbNS0_19identity_decomposerEEEEEvT0_T1_T2_T3_T4_SL_T5_,comdat
	.protected	_ZN7rocprim17ROCPRIM_304000_NS6detail33device_block_merge_oddeven_kernelINS1_37wrapped_merge_sort_block_merge_configINS0_14default_configEbN2at4cuda3cub6detail10OpaqueTypeILi8EEEEEPbSC_PSA_SD_jNS1_19radix_merge_compareILb0ELb0EbNS0_19identity_decomposerEEEEEvT0_T1_T2_T3_T4_SL_T5_ ; -- Begin function _ZN7rocprim17ROCPRIM_304000_NS6detail33device_block_merge_oddeven_kernelINS1_37wrapped_merge_sort_block_merge_configINS0_14default_configEbN2at4cuda3cub6detail10OpaqueTypeILi8EEEEEPbSC_PSA_SD_jNS1_19radix_merge_compareILb0ELb0EbNS0_19identity_decomposerEEEEEvT0_T1_T2_T3_T4_SL_T5_
	.globl	_ZN7rocprim17ROCPRIM_304000_NS6detail33device_block_merge_oddeven_kernelINS1_37wrapped_merge_sort_block_merge_configINS0_14default_configEbN2at4cuda3cub6detail10OpaqueTypeILi8EEEEEPbSC_PSA_SD_jNS1_19radix_merge_compareILb0ELb0EbNS0_19identity_decomposerEEEEEvT0_T1_T2_T3_T4_SL_T5_
	.p2align	8
	.type	_ZN7rocprim17ROCPRIM_304000_NS6detail33device_block_merge_oddeven_kernelINS1_37wrapped_merge_sort_block_merge_configINS0_14default_configEbN2at4cuda3cub6detail10OpaqueTypeILi8EEEEEPbSC_PSA_SD_jNS1_19radix_merge_compareILb0ELb0EbNS0_19identity_decomposerEEEEEvT0_T1_T2_T3_T4_SL_T5_,@function
_ZN7rocprim17ROCPRIM_304000_NS6detail33device_block_merge_oddeven_kernelINS1_37wrapped_merge_sort_block_merge_configINS0_14default_configEbN2at4cuda3cub6detail10OpaqueTypeILi8EEEEEPbSC_PSA_SD_jNS1_19radix_merge_compareILb0ELb0EbNS0_19identity_decomposerEEEEEvT0_T1_T2_T3_T4_SL_T5_: ; @_ZN7rocprim17ROCPRIM_304000_NS6detail33device_block_merge_oddeven_kernelINS1_37wrapped_merge_sort_block_merge_configINS0_14default_configEbN2at4cuda3cub6detail10OpaqueTypeILi8EEEEEPbSC_PSA_SD_jNS1_19radix_merge_compareILb0ELb0EbNS0_19identity_decomposerEEEEEvT0_T1_T2_T3_T4_SL_T5_
; %bb.0:
	s_load_dwordx2 s[16:17], s[0:1], 0x20
	s_waitcnt lgkmcnt(0)
	s_lshr_b32 s3, s16, 8
	s_cmp_eq_u32 s2, s3
	s_cselect_b64 s[6:7], -1, 0
	s_cmp_lg_u32 s2, s3
	s_cselect_b64 s[8:9], -1, 0
	s_lshl_b32 s18, s2, 8
	s_sub_i32 s3, s16, s18
	v_cmp_gt_u32_e64 s[4:5], s3, v0
	s_or_b64 s[8:9], s[8:9], s[4:5]
	s_and_saveexec_b64 s[10:11], s[8:9]
	s_cbranch_execz .LBB175_24
; %bb.1:
	s_load_dwordx8 s[8:15], s[0:1], 0x0
	s_mov_b32 s19, 0
	v_lshlrev_b32_e32 v1, 3, v0
	s_waitcnt lgkmcnt(0)
	s_add_u32 s0, s8, s18
	s_addc_u32 s1, s9, 0
	s_lshl_b64 s[20:21], s[18:19], 3
	s_add_u32 s12, s12, s20
	s_addc_u32 s13, s13, s21
	global_load_dwordx2 v[2:3], v1, s[12:13]
	global_load_ubyte v4, v0, s[0:1]
	s_lshr_b32 s0, s17, 8
	s_sub_i32 s1, 0, s0
	s_and_b32 s1, s2, s1
	s_and_b32 s0, s1, s0
	s_lshl_b32 s19, s1, 8
	s_sub_i32 s12, 0, s17
	s_cmp_eq_u32 s0, 0
	s_cselect_b64 s[0:1], -1, 0
	s_and_b64 s[2:3], s[0:1], exec
	s_cselect_b32 s12, s17, s12
	s_add_i32 s12, s12, s19
	s_mov_b64 s[2:3], -1
	s_cmp_gt_u32 s16, s12
	v_add_u32_e32 v0, s18, v0
	s_cbranch_scc1 .LBB175_9
; %bb.2:
	s_and_b64 vcc, exec, s[6:7]
	s_cbranch_vccz .LBB175_6
; %bb.3:
	v_cmp_gt_u32_e32 vcc, s16, v0
	s_and_saveexec_b64 s[2:3], vcc
	s_cbranch_execz .LBB175_5
; %bb.4:
	v_mov_b32_e32 v1, 0
	v_lshl_add_u64 v[6:7], v[0:1], 3, s[14:15]
	s_waitcnt vmcnt(0)
	global_store_byte v0, v4, s[10:11]
	global_store_dwordx2 v[6:7], v[2:3], off
.LBB175_5:
	s_or_b64 exec, exec, s[2:3]
	s_mov_b64 s[2:3], 0
.LBB175_6:
	s_andn2_b64 vcc, exec, s[2:3]
	s_cbranch_vccnz .LBB175_8
; %bb.7:
	v_mov_b32_e32 v1, 0
	v_lshl_add_u64 v[6:7], v[0:1], 3, s[14:15]
	s_waitcnt vmcnt(0)
	global_store_byte v0, v4, s[10:11]
	global_store_dwordx2 v[6:7], v[2:3], off
.LBB175_8:
	s_mov_b64 s[2:3], 0
.LBB175_9:
	s_andn2_b64 vcc, exec, s[2:3]
	s_cbranch_vccnz .LBB175_24
; %bb.10:
	s_min_u32 s13, s12, s16
	s_add_i32 s2, s13, s17
	s_min_u32 s16, s2, s16
	s_min_u32 s2, s19, s13
	s_add_i32 s19, s19, s13
	v_subrev_u32_e32 v0, s19, v0
	v_add_u32_e32 v0, s2, v0
	s_andn2_b64 vcc, exec, s[6:7]
	s_mov_b64 s[2:3], -1
	s_cbranch_vccnz .LBB175_18
; %bb.11:
	s_and_saveexec_b64 s[2:3], s[4:5]
	s_cbranch_execz .LBB175_17
; %bb.12:
	s_cmp_ge_u32 s12, s16
	v_mov_b32_e32 v1, s13
	s_cbranch_scc1 .LBB175_16
; %bb.13:
	s_mov_b64 s[4:5], 0
	v_mov_b32_e32 v5, s16
	v_mov_b32_e32 v1, s13
.LBB175_14:                             ; =>This Inner Loop Header: Depth=1
	v_add_u32_e32 v6, v1, v5
	v_lshrrev_b32_e32 v6, 1, v6
	global_load_ubyte v7, v6, s[8:9]
	v_add_u32_e32 v8, 1, v6
	s_waitcnt vmcnt(0)
	v_cmp_gt_u16_sdwa s[6:7], v4, v7 src0_sel:BYTE_0 src1_sel:DWORD
	s_nop 1
	v_cndmask_b32_e64 v9, 0, 1, s[6:7]
	v_cmp_le_u16_sdwa s[6:7], v7, v4 src0_sel:DWORD src1_sel:BYTE_0
	s_nop 1
	v_cndmask_b32_e64 v7, 0, 1, s[6:7]
	v_cndmask_b32_e64 v7, v7, v9, s[0:1]
	v_and_b32_e32 v7, 1, v7
	v_cmp_eq_u32_e32 vcc, 1, v7
	s_nop 1
	v_cndmask_b32_e32 v5, v6, v5, vcc
	v_cndmask_b32_e32 v1, v1, v8, vcc
	v_cmp_ge_u32_e32 vcc, v1, v5
	s_or_b64 s[4:5], vcc, s[4:5]
	s_andn2_b64 exec, exec, s[4:5]
	s_cbranch_execnz .LBB175_14
; %bb.15:
	s_or_b64 exec, exec, s[4:5]
.LBB175_16:
	v_add_u32_e32 v6, v1, v0
	v_mov_b32_e32 v7, 0
	s_waitcnt vmcnt(0)
	global_store_byte v6, v4, s[10:11]
	v_lshl_add_u64 v[6:7], v[6:7], 3, s[14:15]
	global_store_dwordx2 v[6:7], v[2:3], off
.LBB175_17:
	s_or_b64 exec, exec, s[2:3]
	s_mov_b64 s[2:3], 0
.LBB175_18:
	s_andn2_b64 vcc, exec, s[2:3]
	s_cbranch_vccnz .LBB175_24
; %bb.19:
	s_cmp_ge_u32 s12, s16
	v_mov_b32_e32 v1, s13
	s_cbranch_scc1 .LBB175_23
; %bb.20:
	s_mov_b64 s[2:3], 0
	v_mov_b32_e32 v5, s16
	v_mov_b32_e32 v1, s13
.LBB175_21:                             ; =>This Inner Loop Header: Depth=1
	v_add_u32_e32 v6, v1, v5
	v_lshrrev_b32_e32 v6, 1, v6
	global_load_ubyte v7, v6, s[8:9]
	v_add_u32_e32 v8, 1, v6
	s_waitcnt vmcnt(0)
	v_cmp_gt_u16_sdwa s[4:5], v4, v7 src0_sel:BYTE_0 src1_sel:DWORD
	s_nop 1
	v_cndmask_b32_e64 v9, 0, 1, s[4:5]
	v_cmp_le_u16_sdwa s[4:5], v7, v4 src0_sel:DWORD src1_sel:BYTE_0
	s_nop 1
	v_cndmask_b32_e64 v7, 0, 1, s[4:5]
	v_cndmask_b32_e64 v7, v7, v9, s[0:1]
	v_and_b32_e32 v7, 1, v7
	v_cmp_eq_u32_e32 vcc, 1, v7
	s_nop 1
	v_cndmask_b32_e32 v5, v6, v5, vcc
	v_cndmask_b32_e32 v1, v1, v8, vcc
	v_cmp_ge_u32_e32 vcc, v1, v5
	s_or_b64 s[2:3], vcc, s[2:3]
	s_andn2_b64 exec, exec, s[2:3]
	s_cbranch_execnz .LBB175_21
; %bb.22:
	s_or_b64 exec, exec, s[2:3]
.LBB175_23:
	v_add_u32_e32 v0, v1, v0
	v_mov_b32_e32 v1, 0
	s_waitcnt vmcnt(0)
	global_store_byte v0, v4, s[10:11]
	v_lshl_add_u64 v[0:1], v[0:1], 3, s[14:15]
	global_store_dwordx2 v[0:1], v[2:3], off
.LBB175_24:
	s_endpgm
	.section	.rodata,"a",@progbits
	.p2align	6, 0x0
	.amdhsa_kernel _ZN7rocprim17ROCPRIM_304000_NS6detail33device_block_merge_oddeven_kernelINS1_37wrapped_merge_sort_block_merge_configINS0_14default_configEbN2at4cuda3cub6detail10OpaqueTypeILi8EEEEEPbSC_PSA_SD_jNS1_19radix_merge_compareILb0ELb0EbNS0_19identity_decomposerEEEEEvT0_T1_T2_T3_T4_SL_T5_
		.amdhsa_group_segment_fixed_size 0
		.amdhsa_private_segment_fixed_size 0
		.amdhsa_kernarg_size 44
		.amdhsa_user_sgpr_count 2
		.amdhsa_user_sgpr_dispatch_ptr 0
		.amdhsa_user_sgpr_queue_ptr 0
		.amdhsa_user_sgpr_kernarg_segment_ptr 1
		.amdhsa_user_sgpr_dispatch_id 0
		.amdhsa_user_sgpr_kernarg_preload_length 0
		.amdhsa_user_sgpr_kernarg_preload_offset 0
		.amdhsa_user_sgpr_private_segment_size 0
		.amdhsa_uses_dynamic_stack 0
		.amdhsa_enable_private_segment 0
		.amdhsa_system_sgpr_workgroup_id_x 1
		.amdhsa_system_sgpr_workgroup_id_y 0
		.amdhsa_system_sgpr_workgroup_id_z 0
		.amdhsa_system_sgpr_workgroup_info 0
		.amdhsa_system_vgpr_workitem_id 0
		.amdhsa_next_free_vgpr 10
		.amdhsa_next_free_sgpr 22
		.amdhsa_accum_offset 12
		.amdhsa_reserve_vcc 1
		.amdhsa_float_round_mode_32 0
		.amdhsa_float_round_mode_16_64 0
		.amdhsa_float_denorm_mode_32 3
		.amdhsa_float_denorm_mode_16_64 3
		.amdhsa_dx10_clamp 1
		.amdhsa_ieee_mode 1
		.amdhsa_fp16_overflow 0
		.amdhsa_tg_split 0
		.amdhsa_exception_fp_ieee_invalid_op 0
		.amdhsa_exception_fp_denorm_src 0
		.amdhsa_exception_fp_ieee_div_zero 0
		.amdhsa_exception_fp_ieee_overflow 0
		.amdhsa_exception_fp_ieee_underflow 0
		.amdhsa_exception_fp_ieee_inexact 0
		.amdhsa_exception_int_div_zero 0
	.end_amdhsa_kernel
	.section	.text._ZN7rocprim17ROCPRIM_304000_NS6detail33device_block_merge_oddeven_kernelINS1_37wrapped_merge_sort_block_merge_configINS0_14default_configEbN2at4cuda3cub6detail10OpaqueTypeILi8EEEEEPbSC_PSA_SD_jNS1_19radix_merge_compareILb0ELb0EbNS0_19identity_decomposerEEEEEvT0_T1_T2_T3_T4_SL_T5_,"axG",@progbits,_ZN7rocprim17ROCPRIM_304000_NS6detail33device_block_merge_oddeven_kernelINS1_37wrapped_merge_sort_block_merge_configINS0_14default_configEbN2at4cuda3cub6detail10OpaqueTypeILi8EEEEEPbSC_PSA_SD_jNS1_19radix_merge_compareILb0ELb0EbNS0_19identity_decomposerEEEEEvT0_T1_T2_T3_T4_SL_T5_,comdat
.Lfunc_end175:
	.size	_ZN7rocprim17ROCPRIM_304000_NS6detail33device_block_merge_oddeven_kernelINS1_37wrapped_merge_sort_block_merge_configINS0_14default_configEbN2at4cuda3cub6detail10OpaqueTypeILi8EEEEEPbSC_PSA_SD_jNS1_19radix_merge_compareILb0ELb0EbNS0_19identity_decomposerEEEEEvT0_T1_T2_T3_T4_SL_T5_, .Lfunc_end175-_ZN7rocprim17ROCPRIM_304000_NS6detail33device_block_merge_oddeven_kernelINS1_37wrapped_merge_sort_block_merge_configINS0_14default_configEbN2at4cuda3cub6detail10OpaqueTypeILi8EEEEEPbSC_PSA_SD_jNS1_19radix_merge_compareILb0ELb0EbNS0_19identity_decomposerEEEEEvT0_T1_T2_T3_T4_SL_T5_
                                        ; -- End function
	.set _ZN7rocprim17ROCPRIM_304000_NS6detail33device_block_merge_oddeven_kernelINS1_37wrapped_merge_sort_block_merge_configINS0_14default_configEbN2at4cuda3cub6detail10OpaqueTypeILi8EEEEEPbSC_PSA_SD_jNS1_19radix_merge_compareILb0ELb0EbNS0_19identity_decomposerEEEEEvT0_T1_T2_T3_T4_SL_T5_.num_vgpr, 10
	.set _ZN7rocprim17ROCPRIM_304000_NS6detail33device_block_merge_oddeven_kernelINS1_37wrapped_merge_sort_block_merge_configINS0_14default_configEbN2at4cuda3cub6detail10OpaqueTypeILi8EEEEEPbSC_PSA_SD_jNS1_19radix_merge_compareILb0ELb0EbNS0_19identity_decomposerEEEEEvT0_T1_T2_T3_T4_SL_T5_.num_agpr, 0
	.set _ZN7rocprim17ROCPRIM_304000_NS6detail33device_block_merge_oddeven_kernelINS1_37wrapped_merge_sort_block_merge_configINS0_14default_configEbN2at4cuda3cub6detail10OpaqueTypeILi8EEEEEPbSC_PSA_SD_jNS1_19radix_merge_compareILb0ELb0EbNS0_19identity_decomposerEEEEEvT0_T1_T2_T3_T4_SL_T5_.numbered_sgpr, 22
	.set _ZN7rocprim17ROCPRIM_304000_NS6detail33device_block_merge_oddeven_kernelINS1_37wrapped_merge_sort_block_merge_configINS0_14default_configEbN2at4cuda3cub6detail10OpaqueTypeILi8EEEEEPbSC_PSA_SD_jNS1_19radix_merge_compareILb0ELb0EbNS0_19identity_decomposerEEEEEvT0_T1_T2_T3_T4_SL_T5_.num_named_barrier, 0
	.set _ZN7rocprim17ROCPRIM_304000_NS6detail33device_block_merge_oddeven_kernelINS1_37wrapped_merge_sort_block_merge_configINS0_14default_configEbN2at4cuda3cub6detail10OpaqueTypeILi8EEEEEPbSC_PSA_SD_jNS1_19radix_merge_compareILb0ELb0EbNS0_19identity_decomposerEEEEEvT0_T1_T2_T3_T4_SL_T5_.private_seg_size, 0
	.set _ZN7rocprim17ROCPRIM_304000_NS6detail33device_block_merge_oddeven_kernelINS1_37wrapped_merge_sort_block_merge_configINS0_14default_configEbN2at4cuda3cub6detail10OpaqueTypeILi8EEEEEPbSC_PSA_SD_jNS1_19radix_merge_compareILb0ELb0EbNS0_19identity_decomposerEEEEEvT0_T1_T2_T3_T4_SL_T5_.uses_vcc, 1
	.set _ZN7rocprim17ROCPRIM_304000_NS6detail33device_block_merge_oddeven_kernelINS1_37wrapped_merge_sort_block_merge_configINS0_14default_configEbN2at4cuda3cub6detail10OpaqueTypeILi8EEEEEPbSC_PSA_SD_jNS1_19radix_merge_compareILb0ELb0EbNS0_19identity_decomposerEEEEEvT0_T1_T2_T3_T4_SL_T5_.uses_flat_scratch, 0
	.set _ZN7rocprim17ROCPRIM_304000_NS6detail33device_block_merge_oddeven_kernelINS1_37wrapped_merge_sort_block_merge_configINS0_14default_configEbN2at4cuda3cub6detail10OpaqueTypeILi8EEEEEPbSC_PSA_SD_jNS1_19radix_merge_compareILb0ELb0EbNS0_19identity_decomposerEEEEEvT0_T1_T2_T3_T4_SL_T5_.has_dyn_sized_stack, 0
	.set _ZN7rocprim17ROCPRIM_304000_NS6detail33device_block_merge_oddeven_kernelINS1_37wrapped_merge_sort_block_merge_configINS0_14default_configEbN2at4cuda3cub6detail10OpaqueTypeILi8EEEEEPbSC_PSA_SD_jNS1_19radix_merge_compareILb0ELb0EbNS0_19identity_decomposerEEEEEvT0_T1_T2_T3_T4_SL_T5_.has_recursion, 0
	.set _ZN7rocprim17ROCPRIM_304000_NS6detail33device_block_merge_oddeven_kernelINS1_37wrapped_merge_sort_block_merge_configINS0_14default_configEbN2at4cuda3cub6detail10OpaqueTypeILi8EEEEEPbSC_PSA_SD_jNS1_19radix_merge_compareILb0ELb0EbNS0_19identity_decomposerEEEEEvT0_T1_T2_T3_T4_SL_T5_.has_indirect_call, 0
	.section	.AMDGPU.csdata,"",@progbits
; Kernel info:
; codeLenInByte = 700
; TotalNumSgprs: 28
; NumVgprs: 10
; NumAgprs: 0
; TotalNumVgprs: 10
; ScratchSize: 0
; MemoryBound: 0
; FloatMode: 240
; IeeeMode: 1
; LDSByteSize: 0 bytes/workgroup (compile time only)
; SGPRBlocks: 3
; VGPRBlocks: 1
; NumSGPRsForWavesPerEU: 28
; NumVGPRsForWavesPerEU: 10
; AccumOffset: 12
; Occupancy: 8
; WaveLimiterHint : 0
; COMPUTE_PGM_RSRC2:SCRATCH_EN: 0
; COMPUTE_PGM_RSRC2:USER_SGPR: 2
; COMPUTE_PGM_RSRC2:TRAP_HANDLER: 0
; COMPUTE_PGM_RSRC2:TGID_X_EN: 1
; COMPUTE_PGM_RSRC2:TGID_Y_EN: 0
; COMPUTE_PGM_RSRC2:TGID_Z_EN: 0
; COMPUTE_PGM_RSRC2:TIDIG_COMP_CNT: 0
; COMPUTE_PGM_RSRC3_GFX90A:ACCUM_OFFSET: 2
; COMPUTE_PGM_RSRC3_GFX90A:TG_SPLIT: 0
	.section	.text._ZN7rocprim17ROCPRIM_304000_NS6detail45device_block_merge_mergepath_partition_kernelINS1_37wrapped_merge_sort_block_merge_configINS0_14default_configEbN2at4cuda3cub6detail10OpaqueTypeILi8EEEEEPbjNS1_19radix_merge_compareILb0ELb1EbNS0_19identity_decomposerEEEEEvT0_T1_jPSH_T2_SH_,"axG",@progbits,_ZN7rocprim17ROCPRIM_304000_NS6detail45device_block_merge_mergepath_partition_kernelINS1_37wrapped_merge_sort_block_merge_configINS0_14default_configEbN2at4cuda3cub6detail10OpaqueTypeILi8EEEEEPbjNS1_19radix_merge_compareILb0ELb1EbNS0_19identity_decomposerEEEEEvT0_T1_jPSH_T2_SH_,comdat
	.protected	_ZN7rocprim17ROCPRIM_304000_NS6detail45device_block_merge_mergepath_partition_kernelINS1_37wrapped_merge_sort_block_merge_configINS0_14default_configEbN2at4cuda3cub6detail10OpaqueTypeILi8EEEEEPbjNS1_19radix_merge_compareILb0ELb1EbNS0_19identity_decomposerEEEEEvT0_T1_jPSH_T2_SH_ ; -- Begin function _ZN7rocprim17ROCPRIM_304000_NS6detail45device_block_merge_mergepath_partition_kernelINS1_37wrapped_merge_sort_block_merge_configINS0_14default_configEbN2at4cuda3cub6detail10OpaqueTypeILi8EEEEEPbjNS1_19radix_merge_compareILb0ELb1EbNS0_19identity_decomposerEEEEEvT0_T1_jPSH_T2_SH_
	.globl	_ZN7rocprim17ROCPRIM_304000_NS6detail45device_block_merge_mergepath_partition_kernelINS1_37wrapped_merge_sort_block_merge_configINS0_14default_configEbN2at4cuda3cub6detail10OpaqueTypeILi8EEEEEPbjNS1_19radix_merge_compareILb0ELb1EbNS0_19identity_decomposerEEEEEvT0_T1_jPSH_T2_SH_
	.p2align	8
	.type	_ZN7rocprim17ROCPRIM_304000_NS6detail45device_block_merge_mergepath_partition_kernelINS1_37wrapped_merge_sort_block_merge_configINS0_14default_configEbN2at4cuda3cub6detail10OpaqueTypeILi8EEEEEPbjNS1_19radix_merge_compareILb0ELb1EbNS0_19identity_decomposerEEEEEvT0_T1_jPSH_T2_SH_,@function
_ZN7rocprim17ROCPRIM_304000_NS6detail45device_block_merge_mergepath_partition_kernelINS1_37wrapped_merge_sort_block_merge_configINS0_14default_configEbN2at4cuda3cub6detail10OpaqueTypeILi8EEEEEPbjNS1_19radix_merge_compareILb0ELb1EbNS0_19identity_decomposerEEEEEvT0_T1_jPSH_T2_SH_: ; @_ZN7rocprim17ROCPRIM_304000_NS6detail45device_block_merge_mergepath_partition_kernelINS1_37wrapped_merge_sort_block_merge_configINS0_14default_configEbN2at4cuda3cub6detail10OpaqueTypeILi8EEEEEPbjNS1_19radix_merge_compareILb0ELb1EbNS0_19identity_decomposerEEEEEvT0_T1_jPSH_T2_SH_
; %bb.0:
	s_load_dwordx2 s[10:11], s[0:1], 0x4
	s_load_dwordx2 s[6:7], s[2:3], 0x8
	;; [unrolled: 1-line block ×3, first 2 shown]
	v_and_b32_e32 v1, 0x3ff, v0
	v_bfe_u32 v3, v0, 10, 10
	s_waitcnt lgkmcnt(0)
	s_lshr_b32 s0, s10, 16
	s_mul_i32 s0, s0, s11
	v_mul_u32_u24_e32 v2, s0, v1
	v_mul_u32_u24_e32 v3, s11, v3
	v_bfe_u32 v0, v0, 20, 10
	s_and_b32 s0, s8, 1
	v_add3_u32 v3, v2, v3, v0
	v_mov_b32_e32 v0, s0
	ds_write_b8 v3, v0
	v_lshl_or_b32 v0, s4, 7, v1
	v_cmp_gt_u32_e32 vcc, s7, v0
	s_and_saveexec_b64 s[0:1], vcc
	s_cbranch_execz .LBB176_6
; %bb.1:
	s_lshr_b32 s0, s9, 9
	s_and_b32 s0, s0, 0x7ffffe
	s_add_i32 s1, s0, -1
	s_sub_i32 s0, 0, s0
	v_and_b32_e32 v1, s0, v0
	v_lshlrev_b32_e32 v1, 10, v1
	v_min_u32_e32 v2, s6, v1
	v_add_u32_e32 v1, s9, v1
	v_min_u32_e32 v4, s6, v1
	v_add_u32_e32 v1, s9, v4
	ds_read_u8 v7, v3
	v_and_b32_e32 v5, s1, v0
	v_min_u32_e32 v1, s6, v1
	v_sub_u32_e32 v6, v1, v2
	v_lshlrev_b32_e32 v5, 10, v5
	v_min_u32_e32 v10, v6, v5
	v_sub_u32_e32 v5, v4, v2
	v_sub_u32_e32 v1, v1, v4
	v_sub_u32_e64 v1, v10, v1 clamp
	v_min_u32_e32 v11, v10, v5
	s_waitcnt lgkmcnt(0)
	v_and_b32_e32 v6, 1, v7
	v_cmp_lt_u32_e32 vcc, v1, v11
	ds_write_b8 v3, v6 offset:128
	s_and_saveexec_b64 s[0:1], vcc
	s_cbranch_execz .LBB176_5
; %bb.2:
	s_load_dwordx2 s[4:5], s[2:3], 0x0
	ds_read_u8 v12, v3 offset:128
	v_mov_b32_e32 v5, 0
	v_mov_b32_e32 v3, v5
	s_waitcnt lgkmcnt(0)
	v_lshl_add_u64 v[6:7], s[4:5], 0, v[2:3]
	v_lshl_add_u64 v[8:9], s[4:5], 0, v[4:5]
	s_mov_b64 s[4:5], 0
.LBB176_3:                              ; =>This Inner Loop Header: Depth=1
	v_add_u32_e32 v3, v11, v1
	v_lshrrev_b32_e32 v4, 1, v3
	v_mov_b32_e32 v15, v5
	v_xad_u32 v14, v4, -1, v10
	v_lshl_add_u64 v[16:17], v[6:7], 0, v[4:5]
	v_lshl_add_u64 v[14:15], v[8:9], 0, v[14:15]
	global_load_ubyte v3, v[16:17], off
	global_load_ubyte v13, v[14:15], off
	v_add_u32_e32 v14, 1, v4
	s_waitcnt vmcnt(1)
	v_bitop3_b16 v3, v3, 1, v12 bitop3:0x80
	s_waitcnt vmcnt(0)
	v_bitop3_b16 v13, v13, 1, v12 bitop3:0x80
	v_cmp_gt_u16_e32 vcc, v3, v13
	s_nop 1
	v_cndmask_b32_e32 v11, v11, v4, vcc
	v_cndmask_b32_e32 v1, v14, v1, vcc
	v_cmp_ge_u32_e32 vcc, v1, v11
	s_or_b64 s[4:5], vcc, s[4:5]
	s_andn2_b64 exec, exec, s[4:5]
	s_cbranch_execnz .LBB176_3
; %bb.4:
	s_or_b64 exec, exec, s[4:5]
.LBB176_5:
	s_or_b64 exec, exec, s[0:1]
	s_load_dwordx2 s[0:1], s[2:3], 0x10
	v_add_u32_e32 v2, v1, v2
	v_mov_b32_e32 v1, 0
	s_waitcnt lgkmcnt(0)
	v_lshl_add_u64 v[0:1], v[0:1], 2, s[0:1]
	global_store_dword v[0:1], v2, off
.LBB176_6:
	s_endpgm
	.section	.rodata,"a",@progbits
	.p2align	6, 0x0
	.amdhsa_kernel _ZN7rocprim17ROCPRIM_304000_NS6detail45device_block_merge_mergepath_partition_kernelINS1_37wrapped_merge_sort_block_merge_configINS0_14default_configEbN2at4cuda3cub6detail10OpaqueTypeILi8EEEEEPbjNS1_19radix_merge_compareILb0ELb1EbNS0_19identity_decomposerEEEEEvT0_T1_jPSH_T2_SH_
		.amdhsa_group_segment_fixed_size 256
		.amdhsa_private_segment_fixed_size 0
		.amdhsa_kernarg_size 32
		.amdhsa_user_sgpr_count 4
		.amdhsa_user_sgpr_dispatch_ptr 1
		.amdhsa_user_sgpr_queue_ptr 0
		.amdhsa_user_sgpr_kernarg_segment_ptr 1
		.amdhsa_user_sgpr_dispatch_id 0
		.amdhsa_user_sgpr_kernarg_preload_length 0
		.amdhsa_user_sgpr_kernarg_preload_offset 0
		.amdhsa_user_sgpr_private_segment_size 0
		.amdhsa_uses_dynamic_stack 0
		.amdhsa_enable_private_segment 0
		.amdhsa_system_sgpr_workgroup_id_x 1
		.amdhsa_system_sgpr_workgroup_id_y 0
		.amdhsa_system_sgpr_workgroup_id_z 0
		.amdhsa_system_sgpr_workgroup_info 0
		.amdhsa_system_vgpr_workitem_id 2
		.amdhsa_next_free_vgpr 18
		.amdhsa_next_free_sgpr 12
		.amdhsa_accum_offset 20
		.amdhsa_reserve_vcc 1
		.amdhsa_float_round_mode_32 0
		.amdhsa_float_round_mode_16_64 0
		.amdhsa_float_denorm_mode_32 3
		.amdhsa_float_denorm_mode_16_64 3
		.amdhsa_dx10_clamp 1
		.amdhsa_ieee_mode 1
		.amdhsa_fp16_overflow 0
		.amdhsa_tg_split 0
		.amdhsa_exception_fp_ieee_invalid_op 0
		.amdhsa_exception_fp_denorm_src 0
		.amdhsa_exception_fp_ieee_div_zero 0
		.amdhsa_exception_fp_ieee_overflow 0
		.amdhsa_exception_fp_ieee_underflow 0
		.amdhsa_exception_fp_ieee_inexact 0
		.amdhsa_exception_int_div_zero 0
	.end_amdhsa_kernel
	.section	.text._ZN7rocprim17ROCPRIM_304000_NS6detail45device_block_merge_mergepath_partition_kernelINS1_37wrapped_merge_sort_block_merge_configINS0_14default_configEbN2at4cuda3cub6detail10OpaqueTypeILi8EEEEEPbjNS1_19radix_merge_compareILb0ELb1EbNS0_19identity_decomposerEEEEEvT0_T1_jPSH_T2_SH_,"axG",@progbits,_ZN7rocprim17ROCPRIM_304000_NS6detail45device_block_merge_mergepath_partition_kernelINS1_37wrapped_merge_sort_block_merge_configINS0_14default_configEbN2at4cuda3cub6detail10OpaqueTypeILi8EEEEEPbjNS1_19radix_merge_compareILb0ELb1EbNS0_19identity_decomposerEEEEEvT0_T1_jPSH_T2_SH_,comdat
.Lfunc_end176:
	.size	_ZN7rocprim17ROCPRIM_304000_NS6detail45device_block_merge_mergepath_partition_kernelINS1_37wrapped_merge_sort_block_merge_configINS0_14default_configEbN2at4cuda3cub6detail10OpaqueTypeILi8EEEEEPbjNS1_19radix_merge_compareILb0ELb1EbNS0_19identity_decomposerEEEEEvT0_T1_jPSH_T2_SH_, .Lfunc_end176-_ZN7rocprim17ROCPRIM_304000_NS6detail45device_block_merge_mergepath_partition_kernelINS1_37wrapped_merge_sort_block_merge_configINS0_14default_configEbN2at4cuda3cub6detail10OpaqueTypeILi8EEEEEPbjNS1_19radix_merge_compareILb0ELb1EbNS0_19identity_decomposerEEEEEvT0_T1_jPSH_T2_SH_
                                        ; -- End function
	.set _ZN7rocprim17ROCPRIM_304000_NS6detail45device_block_merge_mergepath_partition_kernelINS1_37wrapped_merge_sort_block_merge_configINS0_14default_configEbN2at4cuda3cub6detail10OpaqueTypeILi8EEEEEPbjNS1_19radix_merge_compareILb0ELb1EbNS0_19identity_decomposerEEEEEvT0_T1_jPSH_T2_SH_.num_vgpr, 18
	.set _ZN7rocprim17ROCPRIM_304000_NS6detail45device_block_merge_mergepath_partition_kernelINS1_37wrapped_merge_sort_block_merge_configINS0_14default_configEbN2at4cuda3cub6detail10OpaqueTypeILi8EEEEEPbjNS1_19radix_merge_compareILb0ELb1EbNS0_19identity_decomposerEEEEEvT0_T1_jPSH_T2_SH_.num_agpr, 0
	.set _ZN7rocprim17ROCPRIM_304000_NS6detail45device_block_merge_mergepath_partition_kernelINS1_37wrapped_merge_sort_block_merge_configINS0_14default_configEbN2at4cuda3cub6detail10OpaqueTypeILi8EEEEEPbjNS1_19radix_merge_compareILb0ELb1EbNS0_19identity_decomposerEEEEEvT0_T1_jPSH_T2_SH_.numbered_sgpr, 12
	.set _ZN7rocprim17ROCPRIM_304000_NS6detail45device_block_merge_mergepath_partition_kernelINS1_37wrapped_merge_sort_block_merge_configINS0_14default_configEbN2at4cuda3cub6detail10OpaqueTypeILi8EEEEEPbjNS1_19radix_merge_compareILb0ELb1EbNS0_19identity_decomposerEEEEEvT0_T1_jPSH_T2_SH_.num_named_barrier, 0
	.set _ZN7rocprim17ROCPRIM_304000_NS6detail45device_block_merge_mergepath_partition_kernelINS1_37wrapped_merge_sort_block_merge_configINS0_14default_configEbN2at4cuda3cub6detail10OpaqueTypeILi8EEEEEPbjNS1_19radix_merge_compareILb0ELb1EbNS0_19identity_decomposerEEEEEvT0_T1_jPSH_T2_SH_.private_seg_size, 0
	.set _ZN7rocprim17ROCPRIM_304000_NS6detail45device_block_merge_mergepath_partition_kernelINS1_37wrapped_merge_sort_block_merge_configINS0_14default_configEbN2at4cuda3cub6detail10OpaqueTypeILi8EEEEEPbjNS1_19radix_merge_compareILb0ELb1EbNS0_19identity_decomposerEEEEEvT0_T1_jPSH_T2_SH_.uses_vcc, 1
	.set _ZN7rocprim17ROCPRIM_304000_NS6detail45device_block_merge_mergepath_partition_kernelINS1_37wrapped_merge_sort_block_merge_configINS0_14default_configEbN2at4cuda3cub6detail10OpaqueTypeILi8EEEEEPbjNS1_19radix_merge_compareILb0ELb1EbNS0_19identity_decomposerEEEEEvT0_T1_jPSH_T2_SH_.uses_flat_scratch, 0
	.set _ZN7rocprim17ROCPRIM_304000_NS6detail45device_block_merge_mergepath_partition_kernelINS1_37wrapped_merge_sort_block_merge_configINS0_14default_configEbN2at4cuda3cub6detail10OpaqueTypeILi8EEEEEPbjNS1_19radix_merge_compareILb0ELb1EbNS0_19identity_decomposerEEEEEvT0_T1_jPSH_T2_SH_.has_dyn_sized_stack, 0
	.set _ZN7rocprim17ROCPRIM_304000_NS6detail45device_block_merge_mergepath_partition_kernelINS1_37wrapped_merge_sort_block_merge_configINS0_14default_configEbN2at4cuda3cub6detail10OpaqueTypeILi8EEEEEPbjNS1_19radix_merge_compareILb0ELb1EbNS0_19identity_decomposerEEEEEvT0_T1_jPSH_T2_SH_.has_recursion, 0
	.set _ZN7rocprim17ROCPRIM_304000_NS6detail45device_block_merge_mergepath_partition_kernelINS1_37wrapped_merge_sort_block_merge_configINS0_14default_configEbN2at4cuda3cub6detail10OpaqueTypeILi8EEEEEPbjNS1_19radix_merge_compareILb0ELb1EbNS0_19identity_decomposerEEEEEvT0_T1_jPSH_T2_SH_.has_indirect_call, 0
	.section	.AMDGPU.csdata,"",@progbits
; Kernel info:
; codeLenInByte = 440
; TotalNumSgprs: 18
; NumVgprs: 18
; NumAgprs: 0
; TotalNumVgprs: 18
; ScratchSize: 0
; MemoryBound: 0
; FloatMode: 240
; IeeeMode: 1
; LDSByteSize: 256 bytes/workgroup (compile time only)
; SGPRBlocks: 2
; VGPRBlocks: 2
; NumSGPRsForWavesPerEU: 18
; NumVGPRsForWavesPerEU: 18
; AccumOffset: 20
; Occupancy: 8
; WaveLimiterHint : 0
; COMPUTE_PGM_RSRC2:SCRATCH_EN: 0
; COMPUTE_PGM_RSRC2:USER_SGPR: 4
; COMPUTE_PGM_RSRC2:TRAP_HANDLER: 0
; COMPUTE_PGM_RSRC2:TGID_X_EN: 1
; COMPUTE_PGM_RSRC2:TGID_Y_EN: 0
; COMPUTE_PGM_RSRC2:TGID_Z_EN: 0
; COMPUTE_PGM_RSRC2:TIDIG_COMP_CNT: 2
; COMPUTE_PGM_RSRC3_GFX90A:ACCUM_OFFSET: 4
; COMPUTE_PGM_RSRC3_GFX90A:TG_SPLIT: 0
	.section	.text._ZN7rocprim17ROCPRIM_304000_NS6detail35device_block_merge_mergepath_kernelINS1_37wrapped_merge_sort_block_merge_configINS0_14default_configEbN2at4cuda3cub6detail10OpaqueTypeILi8EEEEEPbSC_PSA_SD_jNS1_19radix_merge_compareILb0ELb1EbNS0_19identity_decomposerEEEEEvT0_T1_T2_T3_T4_SL_jT5_PKSL_NS1_7vsmem_tE,"axG",@progbits,_ZN7rocprim17ROCPRIM_304000_NS6detail35device_block_merge_mergepath_kernelINS1_37wrapped_merge_sort_block_merge_configINS0_14default_configEbN2at4cuda3cub6detail10OpaqueTypeILi8EEEEEPbSC_PSA_SD_jNS1_19radix_merge_compareILb0ELb1EbNS0_19identity_decomposerEEEEEvT0_T1_T2_T3_T4_SL_jT5_PKSL_NS1_7vsmem_tE,comdat
	.protected	_ZN7rocprim17ROCPRIM_304000_NS6detail35device_block_merge_mergepath_kernelINS1_37wrapped_merge_sort_block_merge_configINS0_14default_configEbN2at4cuda3cub6detail10OpaqueTypeILi8EEEEEPbSC_PSA_SD_jNS1_19radix_merge_compareILb0ELb1EbNS0_19identity_decomposerEEEEEvT0_T1_T2_T3_T4_SL_jT5_PKSL_NS1_7vsmem_tE ; -- Begin function _ZN7rocprim17ROCPRIM_304000_NS6detail35device_block_merge_mergepath_kernelINS1_37wrapped_merge_sort_block_merge_configINS0_14default_configEbN2at4cuda3cub6detail10OpaqueTypeILi8EEEEEPbSC_PSA_SD_jNS1_19radix_merge_compareILb0ELb1EbNS0_19identity_decomposerEEEEEvT0_T1_T2_T3_T4_SL_jT5_PKSL_NS1_7vsmem_tE
	.globl	_ZN7rocprim17ROCPRIM_304000_NS6detail35device_block_merge_mergepath_kernelINS1_37wrapped_merge_sort_block_merge_configINS0_14default_configEbN2at4cuda3cub6detail10OpaqueTypeILi8EEEEEPbSC_PSA_SD_jNS1_19radix_merge_compareILb0ELb1EbNS0_19identity_decomposerEEEEEvT0_T1_T2_T3_T4_SL_jT5_PKSL_NS1_7vsmem_tE
	.p2align	8
	.type	_ZN7rocprim17ROCPRIM_304000_NS6detail35device_block_merge_mergepath_kernelINS1_37wrapped_merge_sort_block_merge_configINS0_14default_configEbN2at4cuda3cub6detail10OpaqueTypeILi8EEEEEPbSC_PSA_SD_jNS1_19radix_merge_compareILb0ELb1EbNS0_19identity_decomposerEEEEEvT0_T1_T2_T3_T4_SL_jT5_PKSL_NS1_7vsmem_tE,@function
_ZN7rocprim17ROCPRIM_304000_NS6detail35device_block_merge_mergepath_kernelINS1_37wrapped_merge_sort_block_merge_configINS0_14default_configEbN2at4cuda3cub6detail10OpaqueTypeILi8EEEEEPbSC_PSA_SD_jNS1_19radix_merge_compareILb0ELb1EbNS0_19identity_decomposerEEEEEvT0_T1_T2_T3_T4_SL_jT5_PKSL_NS1_7vsmem_tE: ; @_ZN7rocprim17ROCPRIM_304000_NS6detail35device_block_merge_mergepath_kernelINS1_37wrapped_merge_sort_block_merge_configINS0_14default_configEbN2at4cuda3cub6detail10OpaqueTypeILi8EEEEEPbSC_PSA_SD_jNS1_19radix_merge_compareILb0ELb1EbNS0_19identity_decomposerEEEEEvT0_T1_T2_T3_T4_SL_jT5_PKSL_NS1_7vsmem_tE
; %bb.0:
	s_load_dwordx2 s[8:9], s[0:1], 0x4
	s_load_dwordx4 s[16:19], s[2:3], 0x20
	s_load_dwordx2 s[22:23], s[2:3], 0x40
	v_and_b32_e32 v2, 0x3ff, v0
	v_bfe_u32 v3, v0, 10, 10
	s_waitcnt lgkmcnt(0)
	s_lshr_b32 s0, s8, 16
	s_mul_i32 s0, s0, s9
	v_mul_lo_u32 v1, s0, v2
	v_mul_u32_u24_e32 v3, s9, v3
	v_bfe_u32 v0, v0, 20, 10
	s_and_b32 s0, s19, 1
	v_add3_u32 v3, v1, v3, v0
	v_mov_b32_e32 v0, s0
	ds_write_b8 v3, v0 offset:8208
	ds_read_u8 v0, v3 offset:8208
	s_add_u32 s24, s2, 64
	s_mul_i32 s0, s23, s6
	s_addc_u32 s25, s3, 0
	s_add_i32 s0, s0, s5
	s_mul_i32 s0, s0, s22
	s_add_i32 s0, s0, s4
	s_waitcnt lgkmcnt(0)
	v_and_b32_e32 v0, 1, v0
	s_cmp_ge_u32 s0, s18
	ds_write_b8 v3, v0 offset:8720
	s_cbranch_scc1 .LBB177_51
; %bb.1:
	s_load_dwordx8 s[8:15], s[2:3], 0x0
	s_load_dwordx2 s[18:19], s[2:3], 0x30
	s_lshr_b32 s28, s16, 10
	s_cmp_lg_u32 s0, s28
	s_mov_b32 s1, 0
	s_cselect_b64 s[6:7], -1, 0
	s_lshl_b64 s[2:3], s[0:1], 2
	s_waitcnt lgkmcnt(0)
	s_add_u32 s2, s18, s2
	s_addc_u32 s3, s19, s3
	s_load_dwordx2 s[18:19], s[2:3], 0x0
	s_lshr_b32 s2, s17, 9
	s_and_b32 s2, s2, 0x7ffffe
	s_sub_i32 s2, 0, s2
	s_and_b32 s3, s0, s2
	s_lshl_b32 s5, s3, 10
	s_lshl_b32 s23, s0, 10
	;; [unrolled: 1-line block ×3, first 2 shown]
	s_sub_i32 s20, s23, s5
	s_add_i32 s3, s3, s17
	s_add_i32 s21, s3, s20
	s_waitcnt lgkmcnt(0)
	s_sub_i32 s20, s21, s18
	s_sub_i32 s21, s21, s19
	;; [unrolled: 1-line block ×3, first 2 shown]
	s_min_u32 s20, s16, s20
	s_addk_i32 s21, 0x400
	s_or_b32 s2, s0, s2
	s_min_u32 s5, s16, s3
	s_add_i32 s3, s3, s17
	s_cmp_eq_u32 s2, -1
	s_cselect_b32 s2, s3, s21
	s_cselect_b32 s3, s5, s19
	s_min_u32 s2, s2, s16
	s_sub_i32 s17, s3, s18
	s_sub_i32 s26, s2, s20
	s_add_u32 s5, s8, s18
	s_addc_u32 s27, s9, 0
	s_add_u32 s8, s8, s20
	s_addc_u32 s9, s9, 0
	s_cmp_lt_u32 s4, s22
	v_mov_b32_e32 v1, 0
	s_cselect_b32 s2, 12, 18
	global_load_dword v0, v1, s[24:25] offset:14
	s_add_u32 s2, s24, s2
	s_addc_u32 s3, s25, 0
	global_load_ushort v4, v1, s[2:3]
	s_mov_b32 s21, s1
	s_mov_b32 s19, s1
	s_cmp_eq_u32 s0, s28
	v_cmp_gt_u32_e32 vcc, s17, v2
	s_waitcnt vmcnt(1)
	v_lshrrev_b32_e32 v5, 16, v0
	v_and_b32_e32 v0, 0xffff, v0
	v_mul_lo_u32 v0, v0, v5
	s_waitcnt vmcnt(0)
	v_mul_lo_u32 v5, v0, v4
	v_add_u32_e32 v4, v5, v2
	s_cbranch_scc1 .LBB177_3
; %bb.2:
	v_mov_b32_e32 v6, s9
	v_mov_b32_e32 v7, s27
	v_subrev_u32_e32 v0, s17, v2
	v_cndmask_b32_e32 v7, v6, v7, vcc
	v_mov_b32_e32 v6, s8
	v_mov_b32_e32 v8, s5
	v_min_u32_e32 v0, v2, v0
	v_cndmask_b32_e32 v6, v6, v8, vcc
	v_lshl_add_u64 v[0:1], v[6:7], 0, v[0:1]
	global_load_ubyte v6, v[0:1], off
	s_add_i32 s4, s26, s17
	v_add_u32_e32 v0, v5, v2
	s_mov_b64 s[0:1], -1
	v_mov_b32_e32 v7, s4
	s_cbranch_execz .LBB177_4
	s_branch .LBB177_7
.LBB177_3:
	s_mov_b64 s[0:1], 0
                                        ; implicit-def: $vgpr0
                                        ; implicit-def: $vgpr6
                                        ; implicit-def: $vgpr7
.LBB177_4:
	s_add_i32 s2, s26, s17
	v_cmp_gt_u32_e32 vcc, s2, v2
	s_waitcnt vmcnt(0)
	v_mov_b32_e32 v6, 0
	s_and_saveexec_b64 s[0:1], vcc
	s_cbranch_execz .LBB177_6
; %bb.5:
	v_mov_b32_e32 v0, s9
	v_mov_b32_e32 v1, s27
	v_cmp_gt_u32_e32 vcc, s17, v2
	v_mov_b32_e32 v5, s5
	v_mov_b32_e32 v7, 0
	v_cndmask_b32_e32 v1, v0, v1, vcc
	v_mov_b32_e32 v0, s8
	v_cndmask_b32_e32 v0, v0, v5, vcc
	v_subrev_u32_e32 v5, s17, v2
	v_min_u32_e32 v6, v2, v5
	v_lshl_add_u64 v[0:1], v[0:1], 0, v[6:7]
	global_load_ubyte v6, v[0:1], off
.LBB177_6:
	s_or_b64 exec, exec, s[0:1]
	v_cmp_gt_u32_e64 s[0:1], s2, v4
	v_mov_b32_e32 v7, s2
	v_mov_b32_e32 v0, v4
.LBB177_7:
	s_and_saveexec_b64 s[2:3], s[0:1]
	s_cbranch_execz .LBB177_9
; %bb.8:
	v_subrev_u32_e32 v1, s17, v0
	v_min_u32_e32 v4, v0, v1
	v_mov_b32_e32 v1, s9
	v_mov_b32_e32 v5, s27
	v_cmp_gt_u32_e32 vcc, s17, v0
	v_mov_b32_e32 v0, s8
	s_mov_b32 s0, 0xc0c0004
	v_cndmask_b32_e32 v1, v1, v5, vcc
	v_mov_b32_e32 v5, s5
	v_cndmask_b32_e32 v0, v0, v5, vcc
	v_mov_b32_e32 v5, 0
	v_lshl_add_u64 v[0:1], v[0:1], 0, v[4:5]
	global_load_ubyte v0, v[0:1], off
	s_waitcnt vmcnt(0)
	v_perm_b32 v6, v6, v0, s0
.LBB177_9:
	s_or_b64 exec, exec, s[2:3]
	s_waitcnt vmcnt(0)
	v_lshrrev_b16_e32 v0, 8, v6
	ds_write_b8 v2, v6
	ds_write_b8 v2, v0 offset:512
	s_waitcnt lgkmcnt(0)
	s_barrier
	ds_read_u8 v0, v3 offset:8720
	v_lshlrev_b32_e32 v8, 1, v2
	v_min_u32_e32 v1, v7, v8
	v_min_u32_e32 v4, s17, v1
	s_waitcnt lgkmcnt(0)
	v_and_b32_e32 v0, 1, v0
	v_cmp_eq_u32_e32 vcc, 1, v0
	ds_write_b8 v3, v0 offset:9232
	v_sub_u32_e64 v0, v1, s26 clamp
	v_cmp_lt_u32_e64 s[0:1], v0, v4
	s_and_saveexec_b64 s[2:3], s[0:1]
	s_cbranch_execz .LBB177_13
; %bb.10:
	ds_read_u8 v5, v3 offset:9232
	v_add_u32_e32 v9, s17, v1
	s_mov_b64 s[4:5], 0
.LBB177_11:                             ; =>This Inner Loop Header: Depth=1
	v_add_u32_e32 v10, v4, v0
	v_lshrrev_b32_e32 v10, 1, v10
	v_xad_u32 v11, v10, -1, v9
	ds_read_u8 v12, v10
	ds_read_u8 v11, v11
	v_add_u32_e32 v13, 1, v10
	s_waitcnt lgkmcnt(1)
	v_bitop3_b16 v12, v12, 1, v5 bitop3:0x80
	s_waitcnt lgkmcnt(0)
	v_bitop3_b16 v11, v11, 1, v5 bitop3:0x80
	v_cmp_gt_u16_e64 s[0:1], v12, v11
	s_nop 1
	v_cndmask_b32_e64 v4, v4, v10, s[0:1]
	v_cndmask_b32_e64 v0, v13, v0, s[0:1]
	v_cmp_ge_u32_e64 s[0:1], v0, v4
	s_or_b64 s[4:5], s[0:1], s[4:5]
	s_andn2_b64 exec, exec, s[4:5]
	s_cbranch_execnz .LBB177_11
; %bb.12:
	s_or_b64 exec, exec, s[4:5]
.LBB177_13:
	s_or_b64 exec, exec, s[2:3]
	v_cndmask_b32_e64 v4, 0, 1, vcc
	ds_write_b8 v3, v4 offset:10256
	ds_read_u8 v4, v3 offset:10256
	v_sub_u32_e32 v1, v1, v0
	v_add_u32_e32 v1, s17, v1
	v_cmp_ge_u32_e32 vcc, s17, v0
	v_cmp_le_u32_e64 s[0:1], v1, v7
	s_waitcnt lgkmcnt(0)
	v_and_b32_e32 v4, 1, v4
	s_or_b64 s[0:1], vcc, s[0:1]
	v_mov_b32_e32 v9, 0
	v_mov_b32_e32 v10, 0
	ds_write_b8 v3, v4 offset:9744
	s_and_saveexec_b64 s[4:5], s[0:1]
	s_cbranch_execz .LBB177_19
; %bb.14:
	v_cmp_le_u32_e32 vcc, s17, v0
	v_cmp_gt_u32_e64 s[0:1], s17, v0
                                        ; implicit-def: $vgpr4
	s_and_saveexec_b64 s[2:3], s[0:1]
; %bb.15:
	ds_read_u8 v4, v0
; %bb.16:
	s_or_b64 exec, exec, s[2:3]
	v_cmp_ge_u32_e64 s[0:1], v1, v7
	v_cmp_lt_u32_e64 s[2:3], v1, v7
                                        ; implicit-def: $vgpr5
	s_and_saveexec_b64 s[8:9], s[2:3]
; %bb.17:
	ds_read_u8 v5, v1
; %bb.18:
	s_or_b64 exec, exec, s[8:9]
	ds_read_u8 v3, v3 offset:9744
	v_cndmask_b32_e64 v6, 0, 1, s[0:1]
	s_or_b64 vcc, vcc, s[0:1]
	s_movk_i32 s8, 0xff
	s_waitcnt lgkmcnt(0)
	v_bitop3_b16 v9, v3, 1, v5 bitop3:0x80
	v_bitop3_b16 v10, v3, 1, v4 bitop3:0x80
	v_cmp_le_u16_e64 s[2:3], v10, v9
	s_nop 1
	v_cndmask_b32_e64 v9, 0, 1, s[2:3]
	v_cndmask_b32_e32 v6, v9, v6, vcc
	v_and_b32_e32 v6, 1, v6
	v_cmp_eq_u32_e32 vcc, 1, v6
	v_mov_b32_e32 v6, s17
	s_nop 0
	v_cndmask_b32_e32 v10, v1, v0, vcc
	v_cndmask_b32_e32 v6, v7, v6, vcc
	v_add_u32_e32 v9, 1, v10
	v_add_u32_e32 v6, -1, v6
	v_min_u32_e32 v6, v9, v6
	ds_read_u8 v6, v6
	v_cndmask_b32_e32 v11, v5, v4, vcc
	v_cndmask_b32_e32 v0, v0, v9, vcc
	v_cndmask_b32_e32 v1, v9, v1, vcc
	v_cmp_gt_u32_e64 s[0:1], s17, v0
	s_waitcnt lgkmcnt(0)
	v_cndmask_b32_e32 v5, v6, v5, vcc
	v_cndmask_b32_e32 v4, v4, v6, vcc
	v_and_b32_e32 v6, v5, v3
	v_and_b32_e32 v3, v4, v3
	v_cmp_le_u16_sdwa s[2:3], v3, v6 src0_sel:BYTE_0 src1_sel:BYTE_0
	v_cmp_ge_u32_e32 vcc, v1, v7
	s_and_b64 s[0:1], s[0:1], s[2:3]
	s_or_b64 vcc, vcc, s[0:1]
	v_cndmask_b32_e32 v9, v1, v0, vcc
	v_cndmask_b32_sdwa v0, v5, v4, vcc dst_sel:BYTE_1 dst_unused:UNUSED_PAD src0_sel:DWORD src1_sel:DWORD
	s_nop 0
	v_bitop3_b16 v0, v11, v0, s8 bitop3:0xec
	v_and_b32_e32 v6, 0xffff, v0
.LBB177_19:
	s_or_b64 exec, exec, s[4:5]
	s_lshl_b64 s[0:1], s[18:19], 3
	s_add_u32 s18, s12, s0
	s_addc_u32 s19, s13, s1
	s_lshl_b64 s[0:1], s[20:21], 3
	s_add_u32 s8, s12, s0
	v_cndmask_b32_e64 v0, 0, 1, s[6:7]
	v_mov_b32_e32 v3, 0
	s_addc_u32 s9, s13, s1
	v_cmp_gt_u32_e64 s[4:5], s17, v2
	v_cmp_ne_u32_e64 s[0:1], 1, v0
	s_andn2_b64 vcc, exec, s[6:7]
	v_cmp_le_u32_e64 s[2:3], s17, v2
	s_waitcnt lgkmcnt(0)
	s_barrier
	s_cbranch_vccnz .LBB177_21
; %bb.20:
	v_subrev_u32_e32 v4, s17, v2
	v_lshlrev_b32_e32 v0, 3, v2
	v_mov_b32_e32 v1, v3
	v_lshlrev_b32_e32 v4, 3, v4
	v_mov_b32_e32 v5, v3
	v_lshl_add_u64 v[0:1], s[18:19], 0, v[0:1]
	v_lshl_add_u64 v[4:5], s[8:9], 0, v[4:5]
	v_cndmask_b32_e64 v1, v5, v1, s[4:5]
	v_cndmask_b32_e64 v0, v4, v0, s[4:5]
	global_load_dwordx2 v[12:13], v[0:1], off
	v_add_u32_e32 v11, 0x200, v2
	v_mov_b32_e32 v0, s9
	v_mov_b32_e32 v1, s19
	;; [unrolled: 1-line block ×4, first 2 shown]
	v_subrev_u32_e32 v4, s17, v11
	v_cmp_gt_u32_e32 vcc, s17, v11
	v_mad_u32_u24 v5, v2, 7, v2
	s_nop 0
	v_cndmask_b32_e32 v1, v0, v1, vcc
	v_min_u32_e32 v4, v11, v4
	v_cndmask_b32_e32 v0, v14, v15, vcc
	s_mov_b64 s[4:5], -1
	s_waitcnt vmcnt(0)
	ds_write_b64 v5, v[12:13]
	s_cbranch_execz .LBB177_22
	s_branch .LBB177_31
.LBB177_21:
	s_mov_b64 s[4:5], 0
                                        ; implicit-def: $vgpr11
                                        ; implicit-def: $vgpr0_vgpr1
                                        ; implicit-def: $vgpr4
.LBB177_22:
	s_and_saveexec_b64 s[4:5], s[2:3]
	s_xor_b64 s[2:3], exec, s[4:5]
	s_cbranch_execz .LBB177_26
; %bb.23:
	v_subrev_u32_e32 v0, s17, v2
	v_cmp_gt_u32_e32 vcc, s26, v0
	s_and_saveexec_b64 s[4:5], vcc
	s_cbranch_execz .LBB177_25
; %bb.24:
	v_lshlrev_b32_e32 v0, 3, v0
	global_load_dwordx2 v[0:1], v0, s[8:9]
	v_mad_u32_u24 v4, v2, 7, v2
	s_waitcnt vmcnt(0)
	ds_write_b64 v4, v[0:1]
.LBB177_25:
	s_or_b64 exec, exec, s[4:5]
.LBB177_26:
	s_andn2_saveexec_b64 s[2:3], s[2:3]
	s_cbranch_execz .LBB177_28
; %bb.27:
	v_lshlrev_b32_e32 v0, 3, v2
	global_load_dwordx2 v[0:1], v0, s[18:19]
	v_mad_u32_u24 v4, v2, 7, v2
	s_waitcnt vmcnt(0)
	ds_write_b64 v4, v[0:1]
.LBB177_28:
	s_or_b64 exec, exec, s[2:3]
	v_add_u32_e32 v11, 0x200, v2
	v_cmp_le_u32_e32 vcc, s17, v11
	s_mov_b64 s[4:5], -1
	v_mov_b64_e32 v[0:1], s[18:19]
	v_mov_b32_e32 v4, v11
	s_and_saveexec_b64 s[2:3], vcc
; %bb.29:
	v_subrev_u32_e32 v4, s17, v11
	v_cmp_gt_u32_e32 vcc, s26, v4
	v_mov_b64_e32 v[0:1], s[8:9]
	s_orn2_b64 s[4:5], vcc, exec
; %bb.30:
	s_or_b64 exec, exec, s[2:3]
.LBB177_31:
	s_and_saveexec_b64 s[2:3], s[4:5]
	s_cbranch_execz .LBB177_33
; %bb.32:
	v_mov_b32_e32 v5, 0
	v_lshl_add_u64 v[0:1], v[4:5], 3, v[0:1]
	global_load_dwordx2 v[0:1], v[0:1], off
	v_lshlrev_b32_e32 v4, 3, v11
	s_waitcnt vmcnt(0)
	ds_write_b64 v4, v[0:1]
.LBB177_33:
	s_or_b64 exec, exec, s[2:3]
	s_and_b64 vcc, exec, s[0:1]
	v_add_u32_e32 v0, s23, v8
	s_waitcnt lgkmcnt(0)
	s_barrier
	s_cbranch_vccnz .LBB177_35
; %bb.34:
	v_lshlrev_b32_e32 v1, 3, v10
	ds_read_b64 v[4:5], v1
	v_mov_b32_e32 v1, 0
	v_lshl_add_u64 v[12:13], v[0:1], 3, s[14:15]
	s_mov_b64 s[0:1], -1
	s_waitcnt lgkmcnt(0)
	global_store_dwordx2 v[12:13], v[4:5], off
	s_cbranch_execz .LBB177_36
	s_branch .LBB177_41
.LBB177_35:
	s_mov_b64 s[0:1], 0
.LBB177_36:
	v_cmp_lt_u32_e32 vcc, v8, v7
	s_and_saveexec_b64 s[2:3], vcc
	s_cbranch_execz .LBB177_38
; %bb.37:
	v_lshlrev_b32_e32 v1, 3, v10
	ds_read_b64 v[4:5], v1
	v_mov_b32_e32 v1, 0
	v_lshl_add_u64 v[10:11], v[0:1], 3, s[14:15]
	s_waitcnt lgkmcnt(0)
	global_store_dwordx2 v[10:11], v[4:5], off
.LBB177_38:
	s_or_b64 exec, exec, s[2:3]
	v_or_b32_e32 v1, 1, v8
	v_cmp_lt_u32_e32 vcc, v1, v7
	s_and_saveexec_b64 s[2:3], vcc
; %bb.39:
	v_mov_b32_e32 v1, 0
	s_or_b64 s[0:1], s[0:1], exec
; %bb.40:
	s_or_b64 exec, exec, s[2:3]
.LBB177_41:
	s_and_saveexec_b64 s[2:3], s[0:1]
	s_cbranch_execz .LBB177_43
; %bb.42:
	v_lshlrev_b32_e32 v4, 3, v9
	ds_read_b64 v[4:5], v4
	v_lshl_add_u64 v[0:1], v[0:1], 3, s[14:15]
	s_waitcnt lgkmcnt(0)
	global_store_dwordx2 v[0:1], v[4:5], off offset:8
.LBB177_43:
	s_or_b64 exec, exec, s[2:3]
	v_lshrrev_b32_e32 v0, 4, v2
	v_and_b32_e32 v0, 60, v0
	v_add_u32_e32 v0, v0, v8
	s_barrier
	s_barrier
	ds_write_b16 v0, v6
	v_lshrrev_b32_e32 v0, 5, v2
	v_add_u32_e32 v4, 0x200, v2
	s_add_u32 s0, s10, s23
	v_and_b32_e32 v5, 28, v0
	v_lshrrev_b32_e32 v0, 5, v4
	s_addc_u32 s1, s11, 0
	v_and_b32_e32 v6, 60, v0
	v_lshl_add_u64 v[0:1], s[0:1], 0, v[2:3]
	s_and_b64 vcc, exec, s[6:7]
	v_add_u32_e32 v6, v6, v2
	s_waitcnt lgkmcnt(0)
	s_cbranch_vccz .LBB177_45
; %bb.44:
	v_add_u32_e32 v3, v5, v2
	s_barrier
	ds_read_u8 v7, v3
	ds_read_u8 v3, v6 offset:512
	s_mov_b64 s[0:1], -1
	s_waitcnt lgkmcnt(1)
	global_store_byte v[0:1], v7, off
	s_cbranch_execz .LBB177_46
	s_branch .LBB177_49
.LBB177_45:
	s_mov_b64 s[0:1], 0
                                        ; implicit-def: $vgpr3
.LBB177_46:
	s_barrier
	s_waitcnt lgkmcnt(0)
	ds_read_u8 v3, v6 offset:512
	s_sub_i32 s2, s16, s23
	v_cmp_gt_u32_e32 vcc, s2, v2
	s_and_saveexec_b64 s[0:1], vcc
	s_cbranch_execz .LBB177_48
; %bb.47:
	v_add_u32_e32 v2, v5, v2
	ds_read_u8 v2, v2
	s_waitcnt lgkmcnt(0)
	global_store_byte v[0:1], v2, off
.LBB177_48:
	s_or_b64 exec, exec, s[0:1]
	v_cmp_gt_u32_e64 s[0:1], s2, v4
.LBB177_49:
	s_and_saveexec_b64 s[2:3], s[0:1]
	s_cbranch_execz .LBB177_51
; %bb.50:
	s_waitcnt lgkmcnt(0)
	global_store_byte v[0:1], v3, off offset:512
.LBB177_51:
	s_endpgm
	.section	.rodata,"a",@progbits
	.p2align	6, 0x0
	.amdhsa_kernel _ZN7rocprim17ROCPRIM_304000_NS6detail35device_block_merge_mergepath_kernelINS1_37wrapped_merge_sort_block_merge_configINS0_14default_configEbN2at4cuda3cub6detail10OpaqueTypeILi8EEEEEPbSC_PSA_SD_jNS1_19radix_merge_compareILb0ELb1EbNS0_19identity_decomposerEEEEEvT0_T1_T2_T3_T4_SL_jT5_PKSL_NS1_7vsmem_tE
		.amdhsa_group_segment_fixed_size 10768
		.amdhsa_private_segment_fixed_size 0
		.amdhsa_kernarg_size 320
		.amdhsa_user_sgpr_count 4
		.amdhsa_user_sgpr_dispatch_ptr 1
		.amdhsa_user_sgpr_queue_ptr 0
		.amdhsa_user_sgpr_kernarg_segment_ptr 1
		.amdhsa_user_sgpr_dispatch_id 0
		.amdhsa_user_sgpr_kernarg_preload_length 0
		.amdhsa_user_sgpr_kernarg_preload_offset 0
		.amdhsa_user_sgpr_private_segment_size 0
		.amdhsa_uses_dynamic_stack 0
		.amdhsa_enable_private_segment 0
		.amdhsa_system_sgpr_workgroup_id_x 1
		.amdhsa_system_sgpr_workgroup_id_y 1
		.amdhsa_system_sgpr_workgroup_id_z 1
		.amdhsa_system_sgpr_workgroup_info 0
		.amdhsa_system_vgpr_workitem_id 2
		.amdhsa_next_free_vgpr 16
		.amdhsa_next_free_sgpr 29
		.amdhsa_accum_offset 16
		.amdhsa_reserve_vcc 1
		.amdhsa_float_round_mode_32 0
		.amdhsa_float_round_mode_16_64 0
		.amdhsa_float_denorm_mode_32 3
		.amdhsa_float_denorm_mode_16_64 3
		.amdhsa_dx10_clamp 1
		.amdhsa_ieee_mode 1
		.amdhsa_fp16_overflow 0
		.amdhsa_tg_split 0
		.amdhsa_exception_fp_ieee_invalid_op 0
		.amdhsa_exception_fp_denorm_src 0
		.amdhsa_exception_fp_ieee_div_zero 0
		.amdhsa_exception_fp_ieee_overflow 0
		.amdhsa_exception_fp_ieee_underflow 0
		.amdhsa_exception_fp_ieee_inexact 0
		.amdhsa_exception_int_div_zero 0
	.end_amdhsa_kernel
	.section	.text._ZN7rocprim17ROCPRIM_304000_NS6detail35device_block_merge_mergepath_kernelINS1_37wrapped_merge_sort_block_merge_configINS0_14default_configEbN2at4cuda3cub6detail10OpaqueTypeILi8EEEEEPbSC_PSA_SD_jNS1_19radix_merge_compareILb0ELb1EbNS0_19identity_decomposerEEEEEvT0_T1_T2_T3_T4_SL_jT5_PKSL_NS1_7vsmem_tE,"axG",@progbits,_ZN7rocprim17ROCPRIM_304000_NS6detail35device_block_merge_mergepath_kernelINS1_37wrapped_merge_sort_block_merge_configINS0_14default_configEbN2at4cuda3cub6detail10OpaqueTypeILi8EEEEEPbSC_PSA_SD_jNS1_19radix_merge_compareILb0ELb1EbNS0_19identity_decomposerEEEEEvT0_T1_T2_T3_T4_SL_jT5_PKSL_NS1_7vsmem_tE,comdat
.Lfunc_end177:
	.size	_ZN7rocprim17ROCPRIM_304000_NS6detail35device_block_merge_mergepath_kernelINS1_37wrapped_merge_sort_block_merge_configINS0_14default_configEbN2at4cuda3cub6detail10OpaqueTypeILi8EEEEEPbSC_PSA_SD_jNS1_19radix_merge_compareILb0ELb1EbNS0_19identity_decomposerEEEEEvT0_T1_T2_T3_T4_SL_jT5_PKSL_NS1_7vsmem_tE, .Lfunc_end177-_ZN7rocprim17ROCPRIM_304000_NS6detail35device_block_merge_mergepath_kernelINS1_37wrapped_merge_sort_block_merge_configINS0_14default_configEbN2at4cuda3cub6detail10OpaqueTypeILi8EEEEEPbSC_PSA_SD_jNS1_19radix_merge_compareILb0ELb1EbNS0_19identity_decomposerEEEEEvT0_T1_T2_T3_T4_SL_jT5_PKSL_NS1_7vsmem_tE
                                        ; -- End function
	.set _ZN7rocprim17ROCPRIM_304000_NS6detail35device_block_merge_mergepath_kernelINS1_37wrapped_merge_sort_block_merge_configINS0_14default_configEbN2at4cuda3cub6detail10OpaqueTypeILi8EEEEEPbSC_PSA_SD_jNS1_19radix_merge_compareILb0ELb1EbNS0_19identity_decomposerEEEEEvT0_T1_T2_T3_T4_SL_jT5_PKSL_NS1_7vsmem_tE.num_vgpr, 16
	.set _ZN7rocprim17ROCPRIM_304000_NS6detail35device_block_merge_mergepath_kernelINS1_37wrapped_merge_sort_block_merge_configINS0_14default_configEbN2at4cuda3cub6detail10OpaqueTypeILi8EEEEEPbSC_PSA_SD_jNS1_19radix_merge_compareILb0ELb1EbNS0_19identity_decomposerEEEEEvT0_T1_T2_T3_T4_SL_jT5_PKSL_NS1_7vsmem_tE.num_agpr, 0
	.set _ZN7rocprim17ROCPRIM_304000_NS6detail35device_block_merge_mergepath_kernelINS1_37wrapped_merge_sort_block_merge_configINS0_14default_configEbN2at4cuda3cub6detail10OpaqueTypeILi8EEEEEPbSC_PSA_SD_jNS1_19radix_merge_compareILb0ELb1EbNS0_19identity_decomposerEEEEEvT0_T1_T2_T3_T4_SL_jT5_PKSL_NS1_7vsmem_tE.numbered_sgpr, 29
	.set _ZN7rocprim17ROCPRIM_304000_NS6detail35device_block_merge_mergepath_kernelINS1_37wrapped_merge_sort_block_merge_configINS0_14default_configEbN2at4cuda3cub6detail10OpaqueTypeILi8EEEEEPbSC_PSA_SD_jNS1_19radix_merge_compareILb0ELb1EbNS0_19identity_decomposerEEEEEvT0_T1_T2_T3_T4_SL_jT5_PKSL_NS1_7vsmem_tE.num_named_barrier, 0
	.set _ZN7rocprim17ROCPRIM_304000_NS6detail35device_block_merge_mergepath_kernelINS1_37wrapped_merge_sort_block_merge_configINS0_14default_configEbN2at4cuda3cub6detail10OpaqueTypeILi8EEEEEPbSC_PSA_SD_jNS1_19radix_merge_compareILb0ELb1EbNS0_19identity_decomposerEEEEEvT0_T1_T2_T3_T4_SL_jT5_PKSL_NS1_7vsmem_tE.private_seg_size, 0
	.set _ZN7rocprim17ROCPRIM_304000_NS6detail35device_block_merge_mergepath_kernelINS1_37wrapped_merge_sort_block_merge_configINS0_14default_configEbN2at4cuda3cub6detail10OpaqueTypeILi8EEEEEPbSC_PSA_SD_jNS1_19radix_merge_compareILb0ELb1EbNS0_19identity_decomposerEEEEEvT0_T1_T2_T3_T4_SL_jT5_PKSL_NS1_7vsmem_tE.uses_vcc, 1
	.set _ZN7rocprim17ROCPRIM_304000_NS6detail35device_block_merge_mergepath_kernelINS1_37wrapped_merge_sort_block_merge_configINS0_14default_configEbN2at4cuda3cub6detail10OpaqueTypeILi8EEEEEPbSC_PSA_SD_jNS1_19radix_merge_compareILb0ELb1EbNS0_19identity_decomposerEEEEEvT0_T1_T2_T3_T4_SL_jT5_PKSL_NS1_7vsmem_tE.uses_flat_scratch, 0
	.set _ZN7rocprim17ROCPRIM_304000_NS6detail35device_block_merge_mergepath_kernelINS1_37wrapped_merge_sort_block_merge_configINS0_14default_configEbN2at4cuda3cub6detail10OpaqueTypeILi8EEEEEPbSC_PSA_SD_jNS1_19radix_merge_compareILb0ELb1EbNS0_19identity_decomposerEEEEEvT0_T1_T2_T3_T4_SL_jT5_PKSL_NS1_7vsmem_tE.has_dyn_sized_stack, 0
	.set _ZN7rocprim17ROCPRIM_304000_NS6detail35device_block_merge_mergepath_kernelINS1_37wrapped_merge_sort_block_merge_configINS0_14default_configEbN2at4cuda3cub6detail10OpaqueTypeILi8EEEEEPbSC_PSA_SD_jNS1_19radix_merge_compareILb0ELb1EbNS0_19identity_decomposerEEEEEvT0_T1_T2_T3_T4_SL_jT5_PKSL_NS1_7vsmem_tE.has_recursion, 0
	.set _ZN7rocprim17ROCPRIM_304000_NS6detail35device_block_merge_mergepath_kernelINS1_37wrapped_merge_sort_block_merge_configINS0_14default_configEbN2at4cuda3cub6detail10OpaqueTypeILi8EEEEEPbSC_PSA_SD_jNS1_19radix_merge_compareILb0ELb1EbNS0_19identity_decomposerEEEEEvT0_T1_T2_T3_T4_SL_jT5_PKSL_NS1_7vsmem_tE.has_indirect_call, 0
	.section	.AMDGPU.csdata,"",@progbits
; Kernel info:
; codeLenInByte = 2108
; TotalNumSgprs: 35
; NumVgprs: 16
; NumAgprs: 0
; TotalNumVgprs: 16
; ScratchSize: 0
; MemoryBound: 0
; FloatMode: 240
; IeeeMode: 1
; LDSByteSize: 10768 bytes/workgroup (compile time only)
; SGPRBlocks: 4
; VGPRBlocks: 1
; NumSGPRsForWavesPerEU: 35
; NumVGPRsForWavesPerEU: 16
; AccumOffset: 16
; Occupancy: 8
; WaveLimiterHint : 1
; COMPUTE_PGM_RSRC2:SCRATCH_EN: 0
; COMPUTE_PGM_RSRC2:USER_SGPR: 4
; COMPUTE_PGM_RSRC2:TRAP_HANDLER: 0
; COMPUTE_PGM_RSRC2:TGID_X_EN: 1
; COMPUTE_PGM_RSRC2:TGID_Y_EN: 1
; COMPUTE_PGM_RSRC2:TGID_Z_EN: 1
; COMPUTE_PGM_RSRC2:TIDIG_COMP_CNT: 2
; COMPUTE_PGM_RSRC3_GFX90A:ACCUM_OFFSET: 3
; COMPUTE_PGM_RSRC3_GFX90A:TG_SPLIT: 0
	.section	.text._ZN7rocprim17ROCPRIM_304000_NS6detail33device_block_merge_oddeven_kernelINS1_37wrapped_merge_sort_block_merge_configINS0_14default_configEbN2at4cuda3cub6detail10OpaqueTypeILi8EEEEEPbSC_PSA_SD_jNS1_19radix_merge_compareILb0ELb1EbNS0_19identity_decomposerEEEEEvT0_T1_T2_T3_T4_SL_T5_,"axG",@progbits,_ZN7rocprim17ROCPRIM_304000_NS6detail33device_block_merge_oddeven_kernelINS1_37wrapped_merge_sort_block_merge_configINS0_14default_configEbN2at4cuda3cub6detail10OpaqueTypeILi8EEEEEPbSC_PSA_SD_jNS1_19radix_merge_compareILb0ELb1EbNS0_19identity_decomposerEEEEEvT0_T1_T2_T3_T4_SL_T5_,comdat
	.protected	_ZN7rocprim17ROCPRIM_304000_NS6detail33device_block_merge_oddeven_kernelINS1_37wrapped_merge_sort_block_merge_configINS0_14default_configEbN2at4cuda3cub6detail10OpaqueTypeILi8EEEEEPbSC_PSA_SD_jNS1_19radix_merge_compareILb0ELb1EbNS0_19identity_decomposerEEEEEvT0_T1_T2_T3_T4_SL_T5_ ; -- Begin function _ZN7rocprim17ROCPRIM_304000_NS6detail33device_block_merge_oddeven_kernelINS1_37wrapped_merge_sort_block_merge_configINS0_14default_configEbN2at4cuda3cub6detail10OpaqueTypeILi8EEEEEPbSC_PSA_SD_jNS1_19radix_merge_compareILb0ELb1EbNS0_19identity_decomposerEEEEEvT0_T1_T2_T3_T4_SL_T5_
	.globl	_ZN7rocprim17ROCPRIM_304000_NS6detail33device_block_merge_oddeven_kernelINS1_37wrapped_merge_sort_block_merge_configINS0_14default_configEbN2at4cuda3cub6detail10OpaqueTypeILi8EEEEEPbSC_PSA_SD_jNS1_19radix_merge_compareILb0ELb1EbNS0_19identity_decomposerEEEEEvT0_T1_T2_T3_T4_SL_T5_
	.p2align	8
	.type	_ZN7rocprim17ROCPRIM_304000_NS6detail33device_block_merge_oddeven_kernelINS1_37wrapped_merge_sort_block_merge_configINS0_14default_configEbN2at4cuda3cub6detail10OpaqueTypeILi8EEEEEPbSC_PSA_SD_jNS1_19radix_merge_compareILb0ELb1EbNS0_19identity_decomposerEEEEEvT0_T1_T2_T3_T4_SL_T5_,@function
_ZN7rocprim17ROCPRIM_304000_NS6detail33device_block_merge_oddeven_kernelINS1_37wrapped_merge_sort_block_merge_configINS0_14default_configEbN2at4cuda3cub6detail10OpaqueTypeILi8EEEEEPbSC_PSA_SD_jNS1_19radix_merge_compareILb0ELb1EbNS0_19identity_decomposerEEEEEvT0_T1_T2_T3_T4_SL_T5_: ; @_ZN7rocprim17ROCPRIM_304000_NS6detail33device_block_merge_oddeven_kernelINS1_37wrapped_merge_sort_block_merge_configINS0_14default_configEbN2at4cuda3cub6detail10OpaqueTypeILi8EEEEEPbSC_PSA_SD_jNS1_19radix_merge_compareILb0ELb1EbNS0_19identity_decomposerEEEEEvT0_T1_T2_T3_T4_SL_T5_
; %bb.0:
	s_load_dwordx2 s[6:7], s[0:1], 0x4
	s_load_dwordx4 s[16:19], s[2:3], 0x20
	v_and_b32_e32 v2, 0x3ff, v0
	v_bfe_u32 v3, v0, 10, 10
	v_bfe_u32 v0, v0, 20, 10
	s_waitcnt lgkmcnt(0)
	s_lshr_b32 s0, s6, 16
	s_mul_i32 s0, s0, s7
	v_mul_lo_u32 v1, s0, v2
	v_mul_u32_u24_e32 v3, s7, v3
	s_and_b32 s0, s18, 1
	v_add3_u32 v5, v1, v3, v0
	v_mov_b32_e32 v0, s0
	ds_write_b8 v5, v0
	s_lshr_b32 s0, s16, 8
	ds_read_u8 v0, v5
	s_cmp_eq_u32 s4, s0
	s_cselect_b64 s[18:19], -1, 0
	s_cmp_lg_u32 s4, s0
	s_cselect_b64 s[0:1], -1, 0
	s_lshl_b32 s20, s4, 8
	s_sub_i32 s5, s16, s20
	v_cmp_gt_u32_e64 s[6:7], s5, v2
	s_waitcnt lgkmcnt(0)
	v_and_b32_e32 v0, 1, v0
	s_or_b64 s[0:1], s[0:1], s[6:7]
	ds_write_b8 v5, v0 offset:256
	s_and_saveexec_b64 s[8:9], s[0:1]
	s_cbranch_execz .LBB178_24
; %bb.1:
	s_load_dwordx8 s[8:15], s[2:3], 0x0
	s_mov_b32 s21, 0
	v_lshlrev_b32_e32 v3, 3, v2
	s_waitcnt lgkmcnt(0)
	s_add_u32 s0, s8, s20
	s_addc_u32 s1, s9, 0
	s_lshl_b64 s[2:3], s[20:21], 3
	s_add_u32 s2, s12, s2
	s_addc_u32 s3, s13, s3
	global_load_dwordx2 v[0:1], v3, s[2:3]
	global_load_ubyte v4, v2, s[0:1]
	s_lshr_b32 s0, s17, 8
	s_sub_i32 s1, 0, s0
	s_and_b32 s1, s4, s1
	s_and_b32 s0, s1, s0
	s_lshl_b32 s4, s1, 8
	s_sub_i32 s5, 0, s17
	s_cmp_eq_u32 s0, 0
	s_cselect_b64 s[0:1], -1, 0
	s_and_b64 s[2:3], s[0:1], exec
	s_cselect_b32 s12, s17, s5
	s_add_i32 s12, s12, s4
	s_mov_b64 s[2:3], -1
	s_cmp_gt_u32 s16, s12
	v_add_u32_e32 v2, s20, v2
	s_cbranch_scc1 .LBB178_9
; %bb.2:
	s_and_b64 vcc, exec, s[18:19]
	s_cbranch_vccz .LBB178_6
; %bb.3:
	v_cmp_gt_u32_e32 vcc, s16, v2
	s_and_saveexec_b64 s[2:3], vcc
	s_cbranch_execz .LBB178_5
; %bb.4:
	v_mov_b32_e32 v3, 0
	v_lshl_add_u64 v[6:7], v[2:3], 3, s[14:15]
	s_waitcnt vmcnt(0)
	global_store_byte v2, v4, s[10:11]
	global_store_dwordx2 v[6:7], v[0:1], off
.LBB178_5:
	s_or_b64 exec, exec, s[2:3]
	s_mov_b64 s[2:3], 0
.LBB178_6:
	s_andn2_b64 vcc, exec, s[2:3]
	s_cbranch_vccnz .LBB178_8
; %bb.7:
	v_mov_b32_e32 v3, 0
	v_lshl_add_u64 v[6:7], v[2:3], 3, s[14:15]
	s_waitcnt vmcnt(0)
	global_store_byte v2, v4, s[10:11]
	global_store_dwordx2 v[6:7], v[0:1], off
.LBB178_8:
	s_mov_b64 s[2:3], 0
.LBB178_9:
	s_andn2_b64 vcc, exec, s[2:3]
	s_cbranch_vccnz .LBB178_24
; %bb.10:
	ds_read_u8 v3, v5 offset:256
	s_min_u32 s13, s12, s16
	s_add_i32 s2, s13, s17
	s_min_u32 s16, s2, s16
	s_min_u32 s2, s4, s13
	s_add_i32 s4, s4, s13
	v_subrev_u32_e32 v2, s4, v2
	v_add_u32_e32 v2, s2, v2
	s_waitcnt vmcnt(0) lgkmcnt(0)
	v_and_b32_e32 v5, v3, v4
	s_mov_b64 s[2:3], -1
	s_and_b64 vcc, exec, s[18:19]
	s_cbranch_vccz .LBB178_18
; %bb.11:
	s_and_saveexec_b64 s[2:3], s[6:7]
	s_cbranch_execz .LBB178_17
; %bb.12:
	s_cmp_ge_u32 s12, s16
	v_mov_b32_e32 v6, s13
	s_cbranch_scc1 .LBB178_16
; %bb.13:
	s_mov_b64 s[4:5], 0
	v_mov_b32_e32 v7, s16
	v_mov_b32_e32 v6, s13
.LBB178_14:                             ; =>This Inner Loop Header: Depth=1
	v_add_u32_e32 v8, v6, v7
	v_lshrrev_b32_e32 v8, 1, v8
	global_load_ubyte v9, v8, s[8:9]
	v_add_u32_e32 v10, 1, v8
	s_waitcnt vmcnt(0)
	v_and_b32_e32 v9, v3, v9
	v_cmp_gt_u16_sdwa s[6:7], v5, v9 src0_sel:BYTE_0 src1_sel:DWORD
	s_nop 1
	v_cndmask_b32_e64 v11, 0, 1, s[6:7]
	v_cmp_le_u16_sdwa s[6:7], v9, v5 src0_sel:DWORD src1_sel:BYTE_0
	s_nop 1
	v_cndmask_b32_e64 v9, 0, 1, s[6:7]
	v_cndmask_b32_e64 v9, v9, v11, s[0:1]
	v_and_b32_e32 v9, 1, v9
	v_cmp_eq_u32_e32 vcc, 1, v9
	s_nop 1
	v_cndmask_b32_e32 v7, v8, v7, vcc
	v_cndmask_b32_e32 v6, v6, v10, vcc
	v_cmp_ge_u32_e32 vcc, v6, v7
	s_or_b64 s[4:5], vcc, s[4:5]
	s_andn2_b64 exec, exec, s[4:5]
	s_cbranch_execnz .LBB178_14
; %bb.15:
	s_or_b64 exec, exec, s[4:5]
.LBB178_16:
	v_add_u32_e32 v6, v6, v2
	v_mov_b32_e32 v7, 0
	global_store_byte v6, v4, s[10:11]
	v_lshl_add_u64 v[6:7], v[6:7], 3, s[14:15]
	global_store_dwordx2 v[6:7], v[0:1], off
.LBB178_17:
	s_or_b64 exec, exec, s[2:3]
	s_mov_b64 s[2:3], 0
.LBB178_18:
	s_andn2_b64 vcc, exec, s[2:3]
	s_cbranch_vccnz .LBB178_24
; %bb.19:
	s_cmp_ge_u32 s12, s16
	v_mov_b32_e32 v6, s13
	s_cbranch_scc1 .LBB178_23
; %bb.20:
	s_mov_b64 s[2:3], 0
	v_mov_b32_e32 v7, s16
	v_mov_b32_e32 v6, s13
.LBB178_21:                             ; =>This Inner Loop Header: Depth=1
	v_add_u32_e32 v8, v6, v7
	v_lshrrev_b32_e32 v8, 1, v8
	global_load_ubyte v9, v8, s[8:9]
	v_add_u32_e32 v10, 1, v8
	s_waitcnt vmcnt(0)
	v_and_b32_e32 v9, v3, v9
	v_cmp_gt_u16_sdwa s[4:5], v5, v9 src0_sel:BYTE_0 src1_sel:DWORD
	s_nop 1
	v_cndmask_b32_e64 v11, 0, 1, s[4:5]
	v_cmp_le_u16_sdwa s[4:5], v9, v5 src0_sel:DWORD src1_sel:BYTE_0
	s_nop 1
	v_cndmask_b32_e64 v9, 0, 1, s[4:5]
	v_cndmask_b32_e64 v9, v9, v11, s[0:1]
	v_and_b32_e32 v9, 1, v9
	v_cmp_eq_u32_e32 vcc, 1, v9
	s_nop 1
	v_cndmask_b32_e32 v7, v8, v7, vcc
	v_cndmask_b32_e32 v6, v6, v10, vcc
	v_cmp_ge_u32_e32 vcc, v6, v7
	s_or_b64 s[2:3], vcc, s[2:3]
	s_andn2_b64 exec, exec, s[2:3]
	s_cbranch_execnz .LBB178_21
; %bb.22:
	s_or_b64 exec, exec, s[2:3]
.LBB178_23:
	v_add_u32_e32 v2, v6, v2
	v_mov_b32_e32 v3, 0
	global_store_byte v2, v4, s[10:11]
	v_lshl_add_u64 v[2:3], v[2:3], 3, s[14:15]
	global_store_dwordx2 v[2:3], v[0:1], off
.LBB178_24:
	s_endpgm
	.section	.rodata,"a",@progbits
	.p2align	6, 0x0
	.amdhsa_kernel _ZN7rocprim17ROCPRIM_304000_NS6detail33device_block_merge_oddeven_kernelINS1_37wrapped_merge_sort_block_merge_configINS0_14default_configEbN2at4cuda3cub6detail10OpaqueTypeILi8EEEEEPbSC_PSA_SD_jNS1_19radix_merge_compareILb0ELb1EbNS0_19identity_decomposerEEEEEvT0_T1_T2_T3_T4_SL_T5_
		.amdhsa_group_segment_fixed_size 512
		.amdhsa_private_segment_fixed_size 0
		.amdhsa_kernarg_size 44
		.amdhsa_user_sgpr_count 4
		.amdhsa_user_sgpr_dispatch_ptr 1
		.amdhsa_user_sgpr_queue_ptr 0
		.amdhsa_user_sgpr_kernarg_segment_ptr 1
		.amdhsa_user_sgpr_dispatch_id 0
		.amdhsa_user_sgpr_kernarg_preload_length 0
		.amdhsa_user_sgpr_kernarg_preload_offset 0
		.amdhsa_user_sgpr_private_segment_size 0
		.amdhsa_uses_dynamic_stack 0
		.amdhsa_enable_private_segment 0
		.amdhsa_system_sgpr_workgroup_id_x 1
		.amdhsa_system_sgpr_workgroup_id_y 0
		.amdhsa_system_sgpr_workgroup_id_z 0
		.amdhsa_system_sgpr_workgroup_info 0
		.amdhsa_system_vgpr_workitem_id 2
		.amdhsa_next_free_vgpr 12
		.amdhsa_next_free_sgpr 22
		.amdhsa_accum_offset 12
		.amdhsa_reserve_vcc 1
		.amdhsa_float_round_mode_32 0
		.amdhsa_float_round_mode_16_64 0
		.amdhsa_float_denorm_mode_32 3
		.amdhsa_float_denorm_mode_16_64 3
		.amdhsa_dx10_clamp 1
		.amdhsa_ieee_mode 1
		.amdhsa_fp16_overflow 0
		.amdhsa_tg_split 0
		.amdhsa_exception_fp_ieee_invalid_op 0
		.amdhsa_exception_fp_denorm_src 0
		.amdhsa_exception_fp_ieee_div_zero 0
		.amdhsa_exception_fp_ieee_overflow 0
		.amdhsa_exception_fp_ieee_underflow 0
		.amdhsa_exception_fp_ieee_inexact 0
		.amdhsa_exception_int_div_zero 0
	.end_amdhsa_kernel
	.section	.text._ZN7rocprim17ROCPRIM_304000_NS6detail33device_block_merge_oddeven_kernelINS1_37wrapped_merge_sort_block_merge_configINS0_14default_configEbN2at4cuda3cub6detail10OpaqueTypeILi8EEEEEPbSC_PSA_SD_jNS1_19radix_merge_compareILb0ELb1EbNS0_19identity_decomposerEEEEEvT0_T1_T2_T3_T4_SL_T5_,"axG",@progbits,_ZN7rocprim17ROCPRIM_304000_NS6detail33device_block_merge_oddeven_kernelINS1_37wrapped_merge_sort_block_merge_configINS0_14default_configEbN2at4cuda3cub6detail10OpaqueTypeILi8EEEEEPbSC_PSA_SD_jNS1_19radix_merge_compareILb0ELb1EbNS0_19identity_decomposerEEEEEvT0_T1_T2_T3_T4_SL_T5_,comdat
.Lfunc_end178:
	.size	_ZN7rocprim17ROCPRIM_304000_NS6detail33device_block_merge_oddeven_kernelINS1_37wrapped_merge_sort_block_merge_configINS0_14default_configEbN2at4cuda3cub6detail10OpaqueTypeILi8EEEEEPbSC_PSA_SD_jNS1_19radix_merge_compareILb0ELb1EbNS0_19identity_decomposerEEEEEvT0_T1_T2_T3_T4_SL_T5_, .Lfunc_end178-_ZN7rocprim17ROCPRIM_304000_NS6detail33device_block_merge_oddeven_kernelINS1_37wrapped_merge_sort_block_merge_configINS0_14default_configEbN2at4cuda3cub6detail10OpaqueTypeILi8EEEEEPbSC_PSA_SD_jNS1_19radix_merge_compareILb0ELb1EbNS0_19identity_decomposerEEEEEvT0_T1_T2_T3_T4_SL_T5_
                                        ; -- End function
	.set _ZN7rocprim17ROCPRIM_304000_NS6detail33device_block_merge_oddeven_kernelINS1_37wrapped_merge_sort_block_merge_configINS0_14default_configEbN2at4cuda3cub6detail10OpaqueTypeILi8EEEEEPbSC_PSA_SD_jNS1_19radix_merge_compareILb0ELb1EbNS0_19identity_decomposerEEEEEvT0_T1_T2_T3_T4_SL_T5_.num_vgpr, 12
	.set _ZN7rocprim17ROCPRIM_304000_NS6detail33device_block_merge_oddeven_kernelINS1_37wrapped_merge_sort_block_merge_configINS0_14default_configEbN2at4cuda3cub6detail10OpaqueTypeILi8EEEEEPbSC_PSA_SD_jNS1_19radix_merge_compareILb0ELb1EbNS0_19identity_decomposerEEEEEvT0_T1_T2_T3_T4_SL_T5_.num_agpr, 0
	.set _ZN7rocprim17ROCPRIM_304000_NS6detail33device_block_merge_oddeven_kernelINS1_37wrapped_merge_sort_block_merge_configINS0_14default_configEbN2at4cuda3cub6detail10OpaqueTypeILi8EEEEEPbSC_PSA_SD_jNS1_19radix_merge_compareILb0ELb1EbNS0_19identity_decomposerEEEEEvT0_T1_T2_T3_T4_SL_T5_.numbered_sgpr, 22
	.set _ZN7rocprim17ROCPRIM_304000_NS6detail33device_block_merge_oddeven_kernelINS1_37wrapped_merge_sort_block_merge_configINS0_14default_configEbN2at4cuda3cub6detail10OpaqueTypeILi8EEEEEPbSC_PSA_SD_jNS1_19radix_merge_compareILb0ELb1EbNS0_19identity_decomposerEEEEEvT0_T1_T2_T3_T4_SL_T5_.num_named_barrier, 0
	.set _ZN7rocprim17ROCPRIM_304000_NS6detail33device_block_merge_oddeven_kernelINS1_37wrapped_merge_sort_block_merge_configINS0_14default_configEbN2at4cuda3cub6detail10OpaqueTypeILi8EEEEEPbSC_PSA_SD_jNS1_19radix_merge_compareILb0ELb1EbNS0_19identity_decomposerEEEEEvT0_T1_T2_T3_T4_SL_T5_.private_seg_size, 0
	.set _ZN7rocprim17ROCPRIM_304000_NS6detail33device_block_merge_oddeven_kernelINS1_37wrapped_merge_sort_block_merge_configINS0_14default_configEbN2at4cuda3cub6detail10OpaqueTypeILi8EEEEEPbSC_PSA_SD_jNS1_19radix_merge_compareILb0ELb1EbNS0_19identity_decomposerEEEEEvT0_T1_T2_T3_T4_SL_T5_.uses_vcc, 1
	.set _ZN7rocprim17ROCPRIM_304000_NS6detail33device_block_merge_oddeven_kernelINS1_37wrapped_merge_sort_block_merge_configINS0_14default_configEbN2at4cuda3cub6detail10OpaqueTypeILi8EEEEEPbSC_PSA_SD_jNS1_19radix_merge_compareILb0ELb1EbNS0_19identity_decomposerEEEEEvT0_T1_T2_T3_T4_SL_T5_.uses_flat_scratch, 0
	.set _ZN7rocprim17ROCPRIM_304000_NS6detail33device_block_merge_oddeven_kernelINS1_37wrapped_merge_sort_block_merge_configINS0_14default_configEbN2at4cuda3cub6detail10OpaqueTypeILi8EEEEEPbSC_PSA_SD_jNS1_19radix_merge_compareILb0ELb1EbNS0_19identity_decomposerEEEEEvT0_T1_T2_T3_T4_SL_T5_.has_dyn_sized_stack, 0
	.set _ZN7rocprim17ROCPRIM_304000_NS6detail33device_block_merge_oddeven_kernelINS1_37wrapped_merge_sort_block_merge_configINS0_14default_configEbN2at4cuda3cub6detail10OpaqueTypeILi8EEEEEPbSC_PSA_SD_jNS1_19radix_merge_compareILb0ELb1EbNS0_19identity_decomposerEEEEEvT0_T1_T2_T3_T4_SL_T5_.has_recursion, 0
	.set _ZN7rocprim17ROCPRIM_304000_NS6detail33device_block_merge_oddeven_kernelINS1_37wrapped_merge_sort_block_merge_configINS0_14default_configEbN2at4cuda3cub6detail10OpaqueTypeILi8EEEEEPbSC_PSA_SD_jNS1_19radix_merge_compareILb0ELb1EbNS0_19identity_decomposerEEEEEvT0_T1_T2_T3_T4_SL_T5_.has_indirect_call, 0
	.section	.AMDGPU.csdata,"",@progbits
; Kernel info:
; codeLenInByte = 816
; TotalNumSgprs: 28
; NumVgprs: 12
; NumAgprs: 0
; TotalNumVgprs: 12
; ScratchSize: 0
; MemoryBound: 0
; FloatMode: 240
; IeeeMode: 1
; LDSByteSize: 512 bytes/workgroup (compile time only)
; SGPRBlocks: 3
; VGPRBlocks: 1
; NumSGPRsForWavesPerEU: 28
; NumVGPRsForWavesPerEU: 12
; AccumOffset: 12
; Occupancy: 8
; WaveLimiterHint : 0
; COMPUTE_PGM_RSRC2:SCRATCH_EN: 0
; COMPUTE_PGM_RSRC2:USER_SGPR: 4
; COMPUTE_PGM_RSRC2:TRAP_HANDLER: 0
; COMPUTE_PGM_RSRC2:TGID_X_EN: 1
; COMPUTE_PGM_RSRC2:TGID_Y_EN: 0
; COMPUTE_PGM_RSRC2:TGID_Z_EN: 0
; COMPUTE_PGM_RSRC2:TIDIG_COMP_CNT: 2
; COMPUTE_PGM_RSRC3_GFX90A:ACCUM_OFFSET: 2
; COMPUTE_PGM_RSRC3_GFX90A:TG_SPLIT: 0
	.section	.text._ZN7rocprim17ROCPRIM_304000_NS6detail26onesweep_histograms_kernelINS1_34wrapped_radix_sort_onesweep_configINS0_14default_configEbN2at4cuda3cub6detail10OpaqueTypeILi8EEEEELb0EPKbmNS0_19identity_decomposerEEEvT1_PT2_SG_SG_T3_jj,"axG",@progbits,_ZN7rocprim17ROCPRIM_304000_NS6detail26onesweep_histograms_kernelINS1_34wrapped_radix_sort_onesweep_configINS0_14default_configEbN2at4cuda3cub6detail10OpaqueTypeILi8EEEEELb0EPKbmNS0_19identity_decomposerEEEvT1_PT2_SG_SG_T3_jj,comdat
	.protected	_ZN7rocprim17ROCPRIM_304000_NS6detail26onesweep_histograms_kernelINS1_34wrapped_radix_sort_onesweep_configINS0_14default_configEbN2at4cuda3cub6detail10OpaqueTypeILi8EEEEELb0EPKbmNS0_19identity_decomposerEEEvT1_PT2_SG_SG_T3_jj ; -- Begin function _ZN7rocprim17ROCPRIM_304000_NS6detail26onesweep_histograms_kernelINS1_34wrapped_radix_sort_onesweep_configINS0_14default_configEbN2at4cuda3cub6detail10OpaqueTypeILi8EEEEELb0EPKbmNS0_19identity_decomposerEEEvT1_PT2_SG_SG_T3_jj
	.globl	_ZN7rocprim17ROCPRIM_304000_NS6detail26onesweep_histograms_kernelINS1_34wrapped_radix_sort_onesweep_configINS0_14default_configEbN2at4cuda3cub6detail10OpaqueTypeILi8EEEEELb0EPKbmNS0_19identity_decomposerEEEvT1_PT2_SG_SG_T3_jj
	.p2align	8
	.type	_ZN7rocprim17ROCPRIM_304000_NS6detail26onesweep_histograms_kernelINS1_34wrapped_radix_sort_onesweep_configINS0_14default_configEbN2at4cuda3cub6detail10OpaqueTypeILi8EEEEELb0EPKbmNS0_19identity_decomposerEEEvT1_PT2_SG_SG_T3_jj,@function
_ZN7rocprim17ROCPRIM_304000_NS6detail26onesweep_histograms_kernelINS1_34wrapped_radix_sort_onesweep_configINS0_14default_configEbN2at4cuda3cub6detail10OpaqueTypeILi8EEEEELb0EPKbmNS0_19identity_decomposerEEEvT1_PT2_SG_SG_T3_jj: ; @_ZN7rocprim17ROCPRIM_304000_NS6detail26onesweep_histograms_kernelINS1_34wrapped_radix_sort_onesweep_configINS0_14default_configEbN2at4cuda3cub6detail10OpaqueTypeILi8EEEEELb0EPKbmNS0_19identity_decomposerEEEvT1_PT2_SG_SG_T3_jj
; %bb.0:
	s_load_dwordx8 s[8:15], s[0:1], 0x0
	s_load_dwordx2 s[16:17], s[0:1], 0x24
	v_mov_b32_e32 v1, 0
	v_mov_b32_e32 v2, s2
	;; [unrolled: 1-line block ×3, first 2 shown]
	s_mul_hi_u32 s0, s2, 0xc00
	s_mulk_i32 s2, 0xc00
	s_waitcnt lgkmcnt(0)
	v_cmp_le_u64_e32 vcc, s[14:15], v[2:3]
	s_add_u32 s18, s8, s2
	s_addc_u32 s19, s9, s0
	s_mov_b64 s[0:1], -1
	s_cbranch_vccz .LBB179_50
; %bb.1:
	s_mulk_i32 s14, 0xf400
	s_add_i32 s14, s14, s12
	v_lshl_add_u64 v[2:3], s[18:19], 0, v[0:1]
	v_cmp_gt_u32_e64 s[8:9], s14, v0
	v_mov_b32_e32 v8, 0
	s_and_saveexec_b64 s[0:1], s[8:9]
	s_cbranch_execz .LBB179_3
; %bb.2:
	global_load_ubyte v8, v[2:3], off
.LBB179_3:
	s_or_b64 exec, exec, s[0:1]
	v_or_b32_e32 v4, 0x200, v0
	v_cmp_gt_u32_e64 s[6:7], s14, v4
	s_and_saveexec_b64 s[0:1], s[6:7]
	s_cbranch_execz .LBB179_5
; %bb.4:
	global_load_ubyte v1, v[2:3], off offset:512
.LBB179_5:
	s_or_b64 exec, exec, s[0:1]
	v_or_b32_e32 v4, 0x400, v0
	v_cmp_gt_u32_e64 s[4:5], s14, v4
	v_mov_b32_e32 v6, 0
	v_mov_b32_e32 v7, 0
	s_and_saveexec_b64 s[0:1], s[4:5]
	s_cbranch_execz .LBB179_7
; %bb.6:
	global_load_ubyte v7, v[2:3], off offset:1024
.LBB179_7:
	s_or_b64 exec, exec, s[0:1]
	v_or_b32_e32 v4, 0x600, v0
	v_cmp_gt_u32_e64 s[2:3], s14, v4
	s_and_saveexec_b64 s[0:1], s[2:3]
	s_cbranch_execz .LBB179_9
; %bb.8:
	global_load_ubyte v6, v[2:3], off offset:1536
.LBB179_9:
	s_or_b64 exec, exec, s[0:1]
	v_or_b32_e32 v4, 0x800, v0
	v_cmp_gt_u32_e64 s[0:1], s14, v4
	v_mov_b32_e32 v4, 0
	v_mov_b32_e32 v5, 0
	s_and_saveexec_b64 s[12:13], s[0:1]
	s_cbranch_execz .LBB179_11
; %bb.10:
	global_load_ubyte v5, v[2:3], off offset:2048
.LBB179_11:
	s_or_b64 exec, exec, s[12:13]
	v_or_b32_e32 v9, 0xa00, v0
	v_cmp_gt_u32_e32 vcc, s14, v9
	s_and_saveexec_b64 s[12:13], vcc
	s_cbranch_execz .LBB179_13
; %bb.12:
	global_load_ubyte v4, v[2:3], off offset:2560
.LBB179_13:
	s_or_b64 exec, exec, s[12:13]
	s_mov_b32 s12, 0
	s_mov_b32 s13, 1
	v_lshlrev_b32_e32 v2, 2, v0
	s_mov_b64 s[14:15], 0
	v_mov_b32_e32 v3, 0
	s_mov_b32 s20, s12
	s_branch .LBB179_15
.LBB179_14:                             ;   in Loop: Header=BB179_15 Depth=1
	s_or_b64 exec, exec, s[24:25]
	s_add_i32 s20, s20, 2
	v_cmp_eq_u32_e64 s[22:23], 2, s20
	s_or_b64 s[14:15], s[22:23], s[14:15]
	v_add_u32_e32 v2, 0x1000, v2
	s_andn2_b64 exec, exec, s[14:15]
	s_cbranch_execz .LBB179_19
.LBB179_15:                             ; =>This Inner Loop Header: Depth=1
	s_mov_b32 s21, s20
	s_or_b64 s[24:25], s[20:21], s[12:13]
	v_cmp_le_u32_e64 s[22:23], s25, 1
	v_cmp_le_u32_e64 s[26:27], s24, 1
	s_and_saveexec_b64 s[24:25], s[26:27]
; %bb.16:                               ;   in Loop: Header=BB179_15 Depth=1
	ds_write_b32 v2, v3
; %bb.17:                               ;   in Loop: Header=BB179_15 Depth=1
	s_or_b64 exec, exec, s[24:25]
	s_and_saveexec_b64 s[24:25], s[22:23]
	s_cbranch_execz .LBB179_14
; %bb.18:                               ;   in Loop: Header=BB179_15 Depth=1
	ds_write_b32 v2, v3 offset:2048
	s_branch .LBB179_14
.LBB179_19:
	s_or_b64 exec, exec, s[14:15]
	s_cmp_gt_u32 s17, s16
	s_cselect_b64 s[12:13], -1, 0
	s_cmp_le_u32 s17, s16
	s_waitcnt lgkmcnt(0)
	s_barrier
	s_cbranch_scc1 .LBB179_44
; %bb.20:
	v_and_b32_e32 v2, 3, v0
	v_lshlrev_b32_e32 v2, 2, v2
	s_sub_i32 s20, s17, s16
	v_mov_b32_e32 v3, 1
	s_mov_b32 s21, s20
	v_mov_b32_e32 v9, v2
	s_mov_b32 s22, s16
	s_branch .LBB179_22
.LBB179_21:                             ;   in Loop: Header=BB179_22 Depth=1
	s_or_b64 exec, exec, s[14:15]
	s_add_i32 s22, s22, 8
	s_add_i32 s21, s21, -8
	s_cmp_lt_u32 s22, s17
	v_add_u32_e32 v9, 0x1000, v9
	s_cbranch_scc0 .LBB179_24
.LBB179_22:                             ; =>This Inner Loop Header: Depth=1
	s_and_saveexec_b64 s[14:15], s[8:9]
	s_cbranch_execz .LBB179_21
; %bb.23:                               ;   in Loop: Header=BB179_22 Depth=1
	s_min_u32 s23, s21, 8
	s_waitcnt vmcnt(0)
	v_lshrrev_b32_e32 v10, s22, v8
	v_bfe_u32 v10, v10, 0, s23
	v_lshl_add_u32 v10, v10, 4, v9
	ds_add_u32 v10, v3
	s_branch .LBB179_21
.LBB179_24:
	v_mov_b32_e32 v3, 1
	s_mov_b32 s14, s20
	s_waitcnt vmcnt(0)
	v_mov_b32_e32 v8, v2
	s_mov_b32 s15, s16
	s_branch .LBB179_26
.LBB179_25:                             ;   in Loop: Header=BB179_26 Depth=1
	s_or_b64 exec, exec, s[8:9]
	s_add_i32 s15, s15, 8
	s_add_i32 s14, s14, -8
	s_cmp_lt_u32 s15, s17
	v_add_u32_e32 v8, 0x1000, v8
	s_cbranch_scc0 .LBB179_28
.LBB179_26:                             ; =>This Inner Loop Header: Depth=1
	s_and_saveexec_b64 s[8:9], s[6:7]
	s_cbranch_execz .LBB179_25
; %bb.27:                               ;   in Loop: Header=BB179_26 Depth=1
	s_min_u32 s21, s14, 8
	v_lshrrev_b32_e32 v9, s15, v1
	v_bfe_u32 v9, v9, 0, s21
	v_lshl_add_u32 v9, v9, 4, v8
	ds_add_u32 v9, v3
	s_branch .LBB179_25
.LBB179_28:
	v_mov_b32_e32 v1, 1
	s_mov_b32 s8, s20
	v_mov_b32_e32 v3, v2
	s_mov_b32 s9, s16
	s_branch .LBB179_30
.LBB179_29:                             ;   in Loop: Header=BB179_30 Depth=1
	s_or_b64 exec, exec, s[6:7]
	s_add_i32 s9, s9, 8
	s_add_i32 s8, s8, -8
	s_cmp_lt_u32 s9, s17
	v_add_u32_e32 v3, 0x1000, v3
	s_cbranch_scc0 .LBB179_32
.LBB179_30:                             ; =>This Inner Loop Header: Depth=1
	s_and_saveexec_b64 s[6:7], s[4:5]
	s_cbranch_execz .LBB179_29
; %bb.31:                               ;   in Loop: Header=BB179_30 Depth=1
	s_min_u32 s14, s8, 8
	v_lshrrev_b32_e32 v8, s9, v7
	v_bfe_u32 v8, v8, 0, s14
	v_lshl_add_u32 v8, v8, 4, v3
	ds_add_u32 v8, v1
	s_branch .LBB179_29
.LBB179_32:
	v_mov_b32_e32 v1, 1
	s_mov_b32 s6, s20
	;; [unrolled: 23-line block ×4, first 2 shown]
	s_branch .LBB179_42
.LBB179_41:                             ;   in Loop: Header=BB179_42 Depth=1
	s_or_b64 exec, exec, s[0:1]
	s_add_i32 s2, s2, 8
	s_add_i32 s20, s20, -8
	s_cmp_lt_u32 s2, s17
	v_add_u32_e32 v2, 0x1000, v2
	s_cbranch_scc0 .LBB179_44
.LBB179_42:                             ; =>This Inner Loop Header: Depth=1
	s_and_saveexec_b64 s[0:1], vcc
	s_cbranch_execz .LBB179_41
; %bb.43:                               ;   in Loop: Header=BB179_42 Depth=1
	s_min_u32 s3, s20, 8
	v_lshrrev_b32_e32 v3, s2, v4
	v_bfe_u32 v3, v3, 0, s3
	v_lshl_add_u32 v3, v3, 4, v2
	ds_add_u32 v3, v1
	s_branch .LBB179_41
.LBB179_44:
	s_and_b64 vcc, exec, s[12:13]
	s_waitcnt lgkmcnt(0)
	s_barrier
	s_cbranch_vccz .LBB179_49
; %bb.45:
	s_movk_i32 s0, 0x100
	v_cmp_gt_u32_e32 vcc, s0, v0
	s_waitcnt vmcnt(0)
	v_lshlrev_b32_e32 v1, 4, v0
	v_mov_b32_e32 v3, 0
	v_mov_b32_e32 v2, v0
	s_mov_b32 s2, s16
	s_branch .LBB179_47
.LBB179_46:                             ;   in Loop: Header=BB179_47 Depth=1
	s_or_b64 exec, exec, s[0:1]
	s_add_i32 s2, s2, 8
	v_add_u32_e32 v2, 0x100, v2
	s_cmp_lt_u32 s2, s17
	v_add_u32_e32 v1, 0x1000, v1
	s_cbranch_scc0 .LBB179_49
.LBB179_47:                             ; =>This Inner Loop Header: Depth=1
	s_and_saveexec_b64 s[0:1], vcc
	s_cbranch_execz .LBB179_46
; %bb.48:                               ;   in Loop: Header=BB179_47 Depth=1
	ds_read2_b32 v[4:5], v1 offset1:1
	ds_read2_b32 v[6:7], v1 offset0:2 offset1:3
	v_lshl_add_u64 v[8:9], v[2:3], 3, s[10:11]
	s_waitcnt lgkmcnt(1)
	v_add_u32_e32 v4, v5, v4
	s_waitcnt lgkmcnt(0)
	v_add3_u32 v4, v4, v6, v7
	v_mov_b32_e32 v5, v3
	global_atomic_add_x2 v[8:9], v[4:5], off
	s_branch .LBB179_46
.LBB179_49:
	s_mov_b64 s[0:1], 0
.LBB179_50:
	s_and_b64 vcc, exec, s[0:1]
	s_cbranch_vccz .LBB179_86
; %bb.51:
	global_load_ubyte v1, v0, s[18:19]
	global_load_ubyte v4, v0, s[18:19] offset:512
	global_load_ubyte v5, v0, s[18:19] offset:1024
	;; [unrolled: 1-line block ×5, first 2 shown]
	s_cmp_eq_u32 s16, 0
	s_cselect_b64 s[2:3], -1, 0
	s_cmp_eq_u32 s17, 8
	s_cselect_b64 s[4:5], -1, 0
	s_mov_b32 s0, 0
	s_and_b64 s[4:5], s[2:3], s[4:5]
	s_mov_b32 s1, 1
	v_mov_b32_e32 v2, 0
	s_mov_b64 s[2:3], -1
	s_and_b64 vcc, exec, s[4:5]
	v_lshlrev_b32_e32 v9, 2, v0
	s_cbranch_vccnz .LBB179_77
; %bb.52:
	v_lshlrev_b32_e32 v3, 2, v0
	s_mov_b64 s[2:3], 0
	s_mov_b32 s4, s0
	s_branch .LBB179_54
.LBB179_53:                             ;   in Loop: Header=BB179_54 Depth=1
	s_or_b64 exec, exec, s[8:9]
	s_add_i32 s4, s4, 2
	v_cmp_eq_u32_e64 s[6:7], 2, s4
	s_or_b64 s[2:3], s[6:7], s[2:3]
	v_add_u32_e32 v3, 0x1000, v3
	s_andn2_b64 exec, exec, s[2:3]
	s_cbranch_execz .LBB179_58
.LBB179_54:                             ; =>This Inner Loop Header: Depth=1
	s_mov_b32 s5, s4
	s_or_b64 s[8:9], s[4:5], s[0:1]
	v_cmp_le_u32_e64 s[6:7], s9, 1
	v_cmp_le_u32_e64 s[12:13], s8, 1
	s_and_saveexec_b64 s[8:9], s[12:13]
; %bb.55:                               ;   in Loop: Header=BB179_54 Depth=1
	ds_write_b32 v3, v2
; %bb.56:                               ;   in Loop: Header=BB179_54 Depth=1
	s_or_b64 exec, exec, s[8:9]
	s_and_saveexec_b64 s[8:9], s[6:7]
	s_cbranch_execz .LBB179_53
; %bb.57:                               ;   in Loop: Header=BB179_54 Depth=1
	ds_write_b32 v3, v2 offset:2048
	s_branch .LBB179_53
.LBB179_58:
	s_or_b64 exec, exec, s[2:3]
	s_cmp_gt_u32 s17, s16
	s_cselect_b64 s[0:1], -1, 0
	s_cmp_le_u32 s17, s16
	s_waitcnt lgkmcnt(0)
	s_barrier
	s_cbranch_scc1 .LBB179_71
; %bb.59:
	v_and_b32_e32 v2, 3, v0
	v_lshlrev_b32_e32 v2, 2, v2
	s_sub_i32 s2, s17, s16
	v_mov_b32_e32 v3, 1
	s_mov_b32 s3, s2
	v_mov_b32_e32 v10, v2
	s_mov_b32 s4, s16
.LBB179_60:                             ; =>This Inner Loop Header: Depth=1
	s_min_u32 s5, s3, 8
	s_waitcnt vmcnt(5)
	v_lshrrev_b32_sdwa v11, s4, v1 dst_sel:DWORD dst_unused:UNUSED_PAD src0_sel:DWORD src1_sel:BYTE_0
	v_bfe_u32 v11, v11, 0, s5
	v_lshl_add_u32 v11, v11, 4, v10
	ds_add_u32 v11, v3
	s_add_i32 s4, s4, 8
	s_add_i32 s3, s3, -8
	s_cmp_ge_u32 s4, s17
	v_add_u32_e32 v10, 0x1000, v10
	s_cbranch_scc0 .LBB179_60
; %bb.61:
	v_mov_b32_e32 v3, 1
	s_mov_b32 s3, s2
	v_mov_b32_e32 v10, v2
	s_mov_b32 s4, s16
.LBB179_62:                             ; =>This Inner Loop Header: Depth=1
	s_min_u32 s5, s3, 8
	s_waitcnt vmcnt(4)
	v_lshrrev_b32_sdwa v11, s4, v4 dst_sel:DWORD dst_unused:UNUSED_PAD src0_sel:DWORD src1_sel:BYTE_0
	v_bfe_u32 v11, v11, 0, s5
	v_lshl_add_u32 v11, v11, 4, v10
	ds_add_u32 v11, v3
	s_add_i32 s4, s4, 8
	s_add_i32 s3, s3, -8
	s_cmp_lt_u32 s4, s17
	v_add_u32_e32 v10, 0x1000, v10
	s_cbranch_scc1 .LBB179_62
; %bb.63:
	v_mov_b32_e32 v3, 1
	s_mov_b32 s3, s2
	v_mov_b32_e32 v10, v2
	s_mov_b32 s4, s16
.LBB179_64:                             ; =>This Inner Loop Header: Depth=1
	s_min_u32 s5, s3, 8
	s_waitcnt vmcnt(3)
	v_lshrrev_b32_sdwa v11, s4, v5 dst_sel:DWORD dst_unused:UNUSED_PAD src0_sel:DWORD src1_sel:BYTE_0
	v_bfe_u32 v11, v11, 0, s5
	v_lshl_add_u32 v11, v11, 4, v10
	ds_add_u32 v11, v3
	s_add_i32 s4, s4, 8
	s_add_i32 s3, s3, -8
	s_cmp_lt_u32 s4, s17
	v_add_u32_e32 v10, 0x1000, v10
	s_cbranch_scc1 .LBB179_64
	;; [unrolled: 17-line block ×4, first 2 shown]
; %bb.69:
	v_mov_b32_e32 v3, 1
	s_mov_b32 s3, s16
.LBB179_70:                             ; =>This Inner Loop Header: Depth=1
	s_min_u32 s4, s2, 8
	s_waitcnt vmcnt(0)
	v_lshrrev_b32_sdwa v10, s3, v8 dst_sel:DWORD dst_unused:UNUSED_PAD src0_sel:DWORD src1_sel:BYTE_0
	v_bfe_u32 v10, v10, 0, s4
	v_lshl_add_u32 v10, v10, 4, v2
	ds_add_u32 v10, v3
	s_add_i32 s3, s3, 8
	s_add_i32 s2, s2, -8
	s_cmp_lt_u32 s3, s17
	v_add_u32_e32 v2, 0x1000, v2
	s_cbranch_scc1 .LBB179_70
.LBB179_71:
	s_and_b64 vcc, exec, s[0:1]
	s_waitcnt lgkmcnt(0)
	s_barrier
	s_cbranch_vccz .LBB179_76
; %bb.72:
	s_movk_i32 s0, 0x100
	v_cmp_gt_u32_e32 vcc, s0, v0
	v_lshlrev_b32_e32 v10, 4, v0
	v_mov_b32_e32 v3, 0
	v_mov_b32_e32 v2, v0
	s_branch .LBB179_74
.LBB179_73:                             ;   in Loop: Header=BB179_74 Depth=1
	s_or_b64 exec, exec, s[0:1]
	s_add_i32 s16, s16, 8
	v_add_u32_e32 v2, 0x100, v2
	s_cmp_ge_u32 s16, s17
	v_add_u32_e32 v10, 0x1000, v10
	s_cbranch_scc1 .LBB179_76
.LBB179_74:                             ; =>This Inner Loop Header: Depth=1
	s_and_saveexec_b64 s[0:1], vcc
	s_cbranch_execz .LBB179_73
; %bb.75:                               ;   in Loop: Header=BB179_74 Depth=1
	ds_read2_b32 v[12:13], v10 offset1:1
	ds_read2_b32 v[14:15], v10 offset0:2 offset1:3
	v_lshl_add_u64 v[16:17], v[2:3], 3, s[10:11]
	s_waitcnt lgkmcnt(1)
	v_add_u32_e32 v11, v13, v12
	s_waitcnt lgkmcnt(0)
	v_add3_u32 v12, v11, v14, v15
	v_mov_b32_e32 v13, v3
	global_atomic_add_x2 v[16:17], v[12:13], off
	s_branch .LBB179_73
.LBB179_76:
	s_mov_b64 s[2:3], 0
.LBB179_77:
	s_and_b64 vcc, exec, s[2:3]
	s_cbranch_vccz .LBB179_86
; %bb.78:
	s_mov_b32 s0, 0
	s_mov_b32 s1, 1
	s_mov_b64 s[2:3], 0
	v_mov_b32_e32 v2, 0
	s_mov_b32 s4, s0
	s_branch .LBB179_80
.LBB179_79:                             ;   in Loop: Header=BB179_80 Depth=1
	s_or_b64 exec, exec, s[8:9]
	s_add_i32 s4, s4, 2
	v_cmp_eq_u32_e64 s[6:7], 2, s4
	s_or_b64 s[2:3], s[6:7], s[2:3]
	v_add_u32_e32 v9, 0x1000, v9
	s_andn2_b64 exec, exec, s[2:3]
	s_cbranch_execz .LBB179_84
.LBB179_80:                             ; =>This Inner Loop Header: Depth=1
	s_mov_b32 s5, s4
	s_or_b64 s[8:9], s[4:5], s[0:1]
	v_cmp_le_u32_e64 s[6:7], s9, 1
	v_cmp_le_u32_e64 s[12:13], s8, 1
	s_and_saveexec_b64 s[8:9], s[12:13]
; %bb.81:                               ;   in Loop: Header=BB179_80 Depth=1
	ds_write_b32 v9, v2
; %bb.82:                               ;   in Loop: Header=BB179_80 Depth=1
	s_or_b64 exec, exec, s[8:9]
	s_and_saveexec_b64 s[8:9], s[6:7]
	s_cbranch_execz .LBB179_79
; %bb.83:                               ;   in Loop: Header=BB179_80 Depth=1
	ds_write_b32 v9, v2 offset:2048
	s_branch .LBB179_79
.LBB179_84:
	s_or_b64 exec, exec, s[2:3]
	s_waitcnt vmcnt(3)
	v_and_b32_e32 v3, 0xff, v5
	s_waitcnt vmcnt(1)
	v_and_b32_e32 v5, 0xff, v7
	v_and_b32_e32 v7, 3, v0
	;; [unrolled: 1-line block ×3, first 2 shown]
	v_lshlrev_b32_e32 v7, 2, v7
	v_and_b32_e32 v2, 0xff, v4
	v_and_b32_e32 v4, 0xff, v6
	s_waitcnt vmcnt(0)
	v_and_b32_e32 v6, 0xff, v8
	v_lshl_or_b32 v1, v1, 4, v7
	v_mov_b32_e32 v8, 1
	s_waitcnt lgkmcnt(0)
	s_barrier
	ds_add_u32 v1, v8
	v_lshl_or_b32 v1, v2, 4, v7
	ds_add_u32 v1, v8
	v_lshl_or_b32 v1, v3, 4, v7
	ds_add_u32 v1, v8
	v_lshl_or_b32 v1, v4, 4, v7
	ds_add_u32 v1, v8
	v_lshl_or_b32 v1, v5, 4, v7
	ds_add_u32 v1, v8
	v_lshl_or_b32 v1, v6, 4, v7
	ds_add_u32 v1, v8
	s_movk_i32 s0, 0x100
	v_cmp_gt_u32_e32 vcc, s0, v0
	s_waitcnt lgkmcnt(0)
	s_barrier
	s_and_saveexec_b64 s[0:1], vcc
	s_cbranch_execz .LBB179_86
; %bb.85:
	v_lshlrev_b32_e32 v1, 4, v0
	ds_read2_b32 v[2:3], v1 offset1:1
	ds_read2_b32 v[4:5], v1 offset0:2 offset1:3
	v_lshlrev_b32_e32 v6, 3, v0
	v_mov_b32_e32 v1, 0
	s_waitcnt lgkmcnt(1)
	v_add_u32_e32 v0, v3, v2
	s_waitcnt lgkmcnt(0)
	v_add3_u32 v0, v0, v4, v5
	global_atomic_add_x2 v6, v[0:1], s[10:11]
.LBB179_86:
	s_endpgm
	.section	.rodata,"a",@progbits
	.p2align	6, 0x0
	.amdhsa_kernel _ZN7rocprim17ROCPRIM_304000_NS6detail26onesweep_histograms_kernelINS1_34wrapped_radix_sort_onesweep_configINS0_14default_configEbN2at4cuda3cub6detail10OpaqueTypeILi8EEEEELb0EPKbmNS0_19identity_decomposerEEEvT1_PT2_SG_SG_T3_jj
		.amdhsa_group_segment_fixed_size 4096
		.amdhsa_private_segment_fixed_size 0
		.amdhsa_kernarg_size 44
		.amdhsa_user_sgpr_count 2
		.amdhsa_user_sgpr_dispatch_ptr 0
		.amdhsa_user_sgpr_queue_ptr 0
		.amdhsa_user_sgpr_kernarg_segment_ptr 1
		.amdhsa_user_sgpr_dispatch_id 0
		.amdhsa_user_sgpr_kernarg_preload_length 0
		.amdhsa_user_sgpr_kernarg_preload_offset 0
		.amdhsa_user_sgpr_private_segment_size 0
		.amdhsa_uses_dynamic_stack 0
		.amdhsa_enable_private_segment 0
		.amdhsa_system_sgpr_workgroup_id_x 1
		.amdhsa_system_sgpr_workgroup_id_y 0
		.amdhsa_system_sgpr_workgroup_id_z 0
		.amdhsa_system_sgpr_workgroup_info 0
		.amdhsa_system_vgpr_workitem_id 0
		.amdhsa_next_free_vgpr 18
		.amdhsa_next_free_sgpr 28
		.amdhsa_accum_offset 20
		.amdhsa_reserve_vcc 1
		.amdhsa_float_round_mode_32 0
		.amdhsa_float_round_mode_16_64 0
		.amdhsa_float_denorm_mode_32 3
		.amdhsa_float_denorm_mode_16_64 3
		.amdhsa_dx10_clamp 1
		.amdhsa_ieee_mode 1
		.amdhsa_fp16_overflow 0
		.amdhsa_tg_split 0
		.amdhsa_exception_fp_ieee_invalid_op 0
		.amdhsa_exception_fp_denorm_src 0
		.amdhsa_exception_fp_ieee_div_zero 0
		.amdhsa_exception_fp_ieee_overflow 0
		.amdhsa_exception_fp_ieee_underflow 0
		.amdhsa_exception_fp_ieee_inexact 0
		.amdhsa_exception_int_div_zero 0
	.end_amdhsa_kernel
	.section	.text._ZN7rocprim17ROCPRIM_304000_NS6detail26onesweep_histograms_kernelINS1_34wrapped_radix_sort_onesweep_configINS0_14default_configEbN2at4cuda3cub6detail10OpaqueTypeILi8EEEEELb0EPKbmNS0_19identity_decomposerEEEvT1_PT2_SG_SG_T3_jj,"axG",@progbits,_ZN7rocprim17ROCPRIM_304000_NS6detail26onesweep_histograms_kernelINS1_34wrapped_radix_sort_onesweep_configINS0_14default_configEbN2at4cuda3cub6detail10OpaqueTypeILi8EEEEELb0EPKbmNS0_19identity_decomposerEEEvT1_PT2_SG_SG_T3_jj,comdat
.Lfunc_end179:
	.size	_ZN7rocprim17ROCPRIM_304000_NS6detail26onesweep_histograms_kernelINS1_34wrapped_radix_sort_onesweep_configINS0_14default_configEbN2at4cuda3cub6detail10OpaqueTypeILi8EEEEELb0EPKbmNS0_19identity_decomposerEEEvT1_PT2_SG_SG_T3_jj, .Lfunc_end179-_ZN7rocprim17ROCPRIM_304000_NS6detail26onesweep_histograms_kernelINS1_34wrapped_radix_sort_onesweep_configINS0_14default_configEbN2at4cuda3cub6detail10OpaqueTypeILi8EEEEELb0EPKbmNS0_19identity_decomposerEEEvT1_PT2_SG_SG_T3_jj
                                        ; -- End function
	.set _ZN7rocprim17ROCPRIM_304000_NS6detail26onesweep_histograms_kernelINS1_34wrapped_radix_sort_onesweep_configINS0_14default_configEbN2at4cuda3cub6detail10OpaqueTypeILi8EEEEELb0EPKbmNS0_19identity_decomposerEEEvT1_PT2_SG_SG_T3_jj.num_vgpr, 18
	.set _ZN7rocprim17ROCPRIM_304000_NS6detail26onesweep_histograms_kernelINS1_34wrapped_radix_sort_onesweep_configINS0_14default_configEbN2at4cuda3cub6detail10OpaqueTypeILi8EEEEELb0EPKbmNS0_19identity_decomposerEEEvT1_PT2_SG_SG_T3_jj.num_agpr, 0
	.set _ZN7rocprim17ROCPRIM_304000_NS6detail26onesweep_histograms_kernelINS1_34wrapped_radix_sort_onesweep_configINS0_14default_configEbN2at4cuda3cub6detail10OpaqueTypeILi8EEEEELb0EPKbmNS0_19identity_decomposerEEEvT1_PT2_SG_SG_T3_jj.numbered_sgpr, 28
	.set _ZN7rocprim17ROCPRIM_304000_NS6detail26onesweep_histograms_kernelINS1_34wrapped_radix_sort_onesweep_configINS0_14default_configEbN2at4cuda3cub6detail10OpaqueTypeILi8EEEEELb0EPKbmNS0_19identity_decomposerEEEvT1_PT2_SG_SG_T3_jj.num_named_barrier, 0
	.set _ZN7rocprim17ROCPRIM_304000_NS6detail26onesweep_histograms_kernelINS1_34wrapped_radix_sort_onesweep_configINS0_14default_configEbN2at4cuda3cub6detail10OpaqueTypeILi8EEEEELb0EPKbmNS0_19identity_decomposerEEEvT1_PT2_SG_SG_T3_jj.private_seg_size, 0
	.set _ZN7rocprim17ROCPRIM_304000_NS6detail26onesweep_histograms_kernelINS1_34wrapped_radix_sort_onesweep_configINS0_14default_configEbN2at4cuda3cub6detail10OpaqueTypeILi8EEEEELb0EPKbmNS0_19identity_decomposerEEEvT1_PT2_SG_SG_T3_jj.uses_vcc, 1
	.set _ZN7rocprim17ROCPRIM_304000_NS6detail26onesweep_histograms_kernelINS1_34wrapped_radix_sort_onesweep_configINS0_14default_configEbN2at4cuda3cub6detail10OpaqueTypeILi8EEEEELb0EPKbmNS0_19identity_decomposerEEEvT1_PT2_SG_SG_T3_jj.uses_flat_scratch, 0
	.set _ZN7rocprim17ROCPRIM_304000_NS6detail26onesweep_histograms_kernelINS1_34wrapped_radix_sort_onesweep_configINS0_14default_configEbN2at4cuda3cub6detail10OpaqueTypeILi8EEEEELb0EPKbmNS0_19identity_decomposerEEEvT1_PT2_SG_SG_T3_jj.has_dyn_sized_stack, 0
	.set _ZN7rocprim17ROCPRIM_304000_NS6detail26onesweep_histograms_kernelINS1_34wrapped_radix_sort_onesweep_configINS0_14default_configEbN2at4cuda3cub6detail10OpaqueTypeILi8EEEEELb0EPKbmNS0_19identity_decomposerEEEvT1_PT2_SG_SG_T3_jj.has_recursion, 0
	.set _ZN7rocprim17ROCPRIM_304000_NS6detail26onesweep_histograms_kernelINS1_34wrapped_radix_sort_onesweep_configINS0_14default_configEbN2at4cuda3cub6detail10OpaqueTypeILi8EEEEELb0EPKbmNS0_19identity_decomposerEEEvT1_PT2_SG_SG_T3_jj.has_indirect_call, 0
	.section	.AMDGPU.csdata,"",@progbits
; Kernel info:
; codeLenInByte = 2436
; TotalNumSgprs: 34
; NumVgprs: 18
; NumAgprs: 0
; TotalNumVgprs: 18
; ScratchSize: 0
; MemoryBound: 0
; FloatMode: 240
; IeeeMode: 1
; LDSByteSize: 4096 bytes/workgroup (compile time only)
; SGPRBlocks: 4
; VGPRBlocks: 2
; NumSGPRsForWavesPerEU: 34
; NumVGPRsForWavesPerEU: 18
; AccumOffset: 20
; Occupancy: 8
; WaveLimiterHint : 1
; COMPUTE_PGM_RSRC2:SCRATCH_EN: 0
; COMPUTE_PGM_RSRC2:USER_SGPR: 2
; COMPUTE_PGM_RSRC2:TRAP_HANDLER: 0
; COMPUTE_PGM_RSRC2:TGID_X_EN: 1
; COMPUTE_PGM_RSRC2:TGID_Y_EN: 0
; COMPUTE_PGM_RSRC2:TGID_Z_EN: 0
; COMPUTE_PGM_RSRC2:TIDIG_COMP_CNT: 0
; COMPUTE_PGM_RSRC3_GFX90A:ACCUM_OFFSET: 4
; COMPUTE_PGM_RSRC3_GFX90A:TG_SPLIT: 0
	.section	.text._ZN7rocprim17ROCPRIM_304000_NS6detail25onesweep_iteration_kernelINS1_34wrapped_radix_sort_onesweep_configINS0_14default_configEbN2at4cuda3cub6detail10OpaqueTypeILi8EEEEELb0EPKbPbPKSA_PSA_mNS0_19identity_decomposerEEEvT1_T2_T3_T4_jPT5_SO_PNS1_23onesweep_lookback_stateET6_jjj,"axG",@progbits,_ZN7rocprim17ROCPRIM_304000_NS6detail25onesweep_iteration_kernelINS1_34wrapped_radix_sort_onesweep_configINS0_14default_configEbN2at4cuda3cub6detail10OpaqueTypeILi8EEEEELb0EPKbPbPKSA_PSA_mNS0_19identity_decomposerEEEvT1_T2_T3_T4_jPT5_SO_PNS1_23onesweep_lookback_stateET6_jjj,comdat
	.protected	_ZN7rocprim17ROCPRIM_304000_NS6detail25onesweep_iteration_kernelINS1_34wrapped_radix_sort_onesweep_configINS0_14default_configEbN2at4cuda3cub6detail10OpaqueTypeILi8EEEEELb0EPKbPbPKSA_PSA_mNS0_19identity_decomposerEEEvT1_T2_T3_T4_jPT5_SO_PNS1_23onesweep_lookback_stateET6_jjj ; -- Begin function _ZN7rocprim17ROCPRIM_304000_NS6detail25onesweep_iteration_kernelINS1_34wrapped_radix_sort_onesweep_configINS0_14default_configEbN2at4cuda3cub6detail10OpaqueTypeILi8EEEEELb0EPKbPbPKSA_PSA_mNS0_19identity_decomposerEEEvT1_T2_T3_T4_jPT5_SO_PNS1_23onesweep_lookback_stateET6_jjj
	.globl	_ZN7rocprim17ROCPRIM_304000_NS6detail25onesweep_iteration_kernelINS1_34wrapped_radix_sort_onesweep_configINS0_14default_configEbN2at4cuda3cub6detail10OpaqueTypeILi8EEEEELb0EPKbPbPKSA_PSA_mNS0_19identity_decomposerEEEvT1_T2_T3_T4_jPT5_SO_PNS1_23onesweep_lookback_stateET6_jjj
	.p2align	8
	.type	_ZN7rocprim17ROCPRIM_304000_NS6detail25onesweep_iteration_kernelINS1_34wrapped_radix_sort_onesweep_configINS0_14default_configEbN2at4cuda3cub6detail10OpaqueTypeILi8EEEEELb0EPKbPbPKSA_PSA_mNS0_19identity_decomposerEEEvT1_T2_T3_T4_jPT5_SO_PNS1_23onesweep_lookback_stateET6_jjj,@function
_ZN7rocprim17ROCPRIM_304000_NS6detail25onesweep_iteration_kernelINS1_34wrapped_radix_sort_onesweep_configINS0_14default_configEbN2at4cuda3cub6detail10OpaqueTypeILi8EEEEELb0EPKbPbPKSA_PSA_mNS0_19identity_decomposerEEEvT1_T2_T3_T4_jPT5_SO_PNS1_23onesweep_lookback_stateET6_jjj: ; @_ZN7rocprim17ROCPRIM_304000_NS6detail25onesweep_iteration_kernelINS1_34wrapped_radix_sort_onesweep_configINS0_14default_configEbN2at4cuda3cub6detail10OpaqueTypeILi8EEEEELb0EPKbPbPKSA_PSA_mNS0_19identity_decomposerEEEvT1_T2_T3_T4_jPT5_SO_PNS1_23onesweep_lookback_stateET6_jjj
; %bb.0:
	s_load_dwordx4 s[44:47], s[0:1], 0x44
	s_load_dwordx8 s[36:43], s[0:1], 0x0
	s_load_dwordx4 s[28:31], s[0:1], 0x28
	s_load_dwordx2 s[48:49], s[0:1], 0x38
	s_mov_b64 s[4:5], -1
	s_waitcnt lgkmcnt(0)
	s_cmp_ge_u32 s2, s46
	s_mul_i32 s34, s2, 0xc00
	v_mbcnt_lo_u32_b32 v1, -1, 0
	s_cbranch_scc0 .LBB180_96
; %bb.1:
	s_load_dword s3, s[0:1], 0x20
	s_mulk_i32 s46, 0xf400
	v_and_b32_e32 v15, 0x1c0, v0
	v_mbcnt_hi_u32_b32 v6, -1, v1
	v_mul_u32_u24_e32 v4, 6, v15
	s_waitcnt lgkmcnt(0)
	s_add_i32 s46, s46, s3
	s_add_u32 s4, s36, s34
	s_addc_u32 s5, s37, 0
	v_mov_b32_e32 v7, 0
	v_lshl_add_u64 v[2:3], s[4:5], 0, v[6:7]
	v_mov_b32_e32 v5, v7
	v_or_b32_e32 v11, v6, v4
	s_mov_b32 s35, 0
	v_lshl_add_u64 v[8:9], v[2:3], 0, v[4:5]
	v_cmp_gt_u32_e32 vcc, s46, v11
	v_mov_b32_e32 v10, 1
	v_mov_b32_e32 v3, 1
	;; [unrolled: 1-line block ×3, first 2 shown]
	s_and_saveexec_b64 s[4:5], vcc
	s_cbranch_execz .LBB180_3
; %bb.2:
	global_load_ubyte v5, v[8:9], off
	s_waitcnt vmcnt(0)
	v_and_b32_e32 v10, 1, v5
.LBB180_3:
	s_or_b64 exec, exec, s[4:5]
	v_add_u32_e32 v2, 64, v11
	v_cmp_gt_u32_e64 s[26:27], s46, v2
	v_mov_b32_e32 v18, 1
	s_and_saveexec_b64 s[4:5], s[26:27]
	s_cbranch_execz .LBB180_5
; %bb.4:
	global_load_ubyte v3, v[8:9], off offset:64
	s_waitcnt vmcnt(0)
	v_and_b32_e32 v18, 1, v3
.LBB180_5:
	s_or_b64 exec, exec, s[4:5]
	v_add_u32_e32 v2, 0x80, v11
	v_cmp_gt_u32_e64 s[4:5], s46, v2
	v_mov_b32_e32 v21, 1
	v_mov_b32_e32 v7, 1
	;; [unrolled: 1-line block ×3, first 2 shown]
	s_and_saveexec_b64 s[6:7], s[4:5]
	s_cbranch_execz .LBB180_7
; %bb.6:
	global_load_ubyte v12, v[8:9], off offset:128
	s_waitcnt vmcnt(0)
	v_and_b32_e32 v21, 1, v12
.LBB180_7:
	s_or_b64 exec, exec, s[6:7]
	v_add_u32_e32 v2, 0xc0, v11
	v_cmp_gt_u32_e64 s[6:7], s46, v2
	v_mov_b32_e32 v24, 1
	s_and_saveexec_b64 s[8:9], s[6:7]
	s_cbranch_execz .LBB180_9
; %bb.8:
	global_load_ubyte v7, v[8:9], off offset:192
	s_waitcnt vmcnt(0)
	v_and_b32_e32 v24, 1, v7
.LBB180_9:
	s_or_b64 exec, exec, s[8:9]
	v_add_u32_e32 v2, 0x100, v11
	v_cmp_gt_u32_e64 s[8:9], s46, v2
	v_mov_b32_e32 v27, 1
	v_mov_b32_e32 v13, 1
	;; [unrolled: 1-line block ×3, first 2 shown]
	s_and_saveexec_b64 s[10:11], s[8:9]
	s_cbranch_execz .LBB180_11
; %bb.10:
	global_load_ubyte v14, v[8:9], off offset:256
	s_waitcnt vmcnt(0)
	v_and_b32_e32 v27, 1, v14
.LBB180_11:
	s_or_b64 exec, exec, s[10:11]
	v_add_u32_e32 v11, 0x140, v11
	v_and_b32_e32 v2, 0x3ff, v0
	v_cmp_gt_u32_e64 s[10:11], s46, v11
	v_mov_b32_e32 v25, 1
	s_and_saveexec_b64 s[12:13], s[10:11]
	s_cbranch_execz .LBB180_13
; %bb.12:
	global_load_ubyte v13, v[8:9], off offset:320
	s_waitcnt vmcnt(0)
	v_and_b32_e32 v25, 1, v13
.LBB180_13:
	s_or_b64 exec, exec, s[12:13]
	s_load_dword s12, s[0:1], 0x5c
	s_load_dword s3, s[0:1], 0x50
	s_add_u32 s13, s0, 0x50
	s_addc_u32 s14, s1, 0
	v_mov_b32_e32 v9, 0
	s_waitcnt lgkmcnt(0)
	s_lshr_b32 s15, s12, 16
	s_cmp_lt_u32 s2, s3
	s_cselect_b32 s12, 12, 18
	s_add_u32 s12, s13, s12
	s_addc_u32 s13, s14, 0
	global_load_ushort v19, v9, s[12:13]
	v_bfe_u32 v8, v0, 10, 10
	v_bfe_u32 v11, v0, 20, 10
	v_lshrrev_b32_e32 v10, s44, v10
	s_lshl_b32 s12, -1, s45
	v_mad_u32_u24 v20, v11, s15, v8
	v_bitop3_b32 v8, v10, s12, v10 bitop3:0x30
	s_not_b32 s33, s12
	v_cmp_ne_u32_e64 s[12:13], 0, v8
	v_lshl_add_u64 v[10:11], v[8:9], 0, -1
	v_mul_u32_u24_e32 v26, 36, v8
	v_xor_b32_e32 v10, s12, v10
	v_xor_b32_e32 v8, s13, v11
	v_and_b32_e32 v10, exec_lo, v10
	v_and_b32_e32 v11, exec_hi, v8
	v_mbcnt_lo_u32_b32 v8, v10, 0
	v_mbcnt_hi_u32_b32 v16, v11, v8
	v_cmp_ne_u64_e64 s[12:13], 0, v[10:11]
	v_cmp_eq_u32_e64 s[14:15], 0, v16
	v_mul_u32_u24_e32 v17, 20, v2
	s_and_b64 s[14:15], s[12:13], s[14:15]
	ds_write2_b32 v17, v9, v9 offset0:8 offset1:9
	ds_write2_b32 v17, v9, v9 offset0:10 offset1:11
	ds_write_b32 v17, v9 offset:48
	s_waitcnt lgkmcnt(0)
	s_barrier
	s_waitcnt vmcnt(0)
	; wave barrier
	v_mad_u64_u32 v[22:23], s[16:17], v20, v19, v[2:3]
	v_lshrrev_b32_e32 v8, 4, v22
	v_and_b32_e32 v33, 0xffffffc, v8
	v_add_u32_e32 v20, v33, v26
	s_and_saveexec_b64 s[12:13], s[14:15]
; %bb.14:
	v_bcnt_u32_b32 v8, v10, 0
	v_bcnt_u32_b32 v8, v11, v8
	ds_write_b32 v20, v8 offset:32
; %bb.15:
	s_or_b64 exec, exec, s[12:13]
	v_lshrrev_b32_e32 v8, s44, v18
	v_and_b32_e32 v8, s33, v8
	v_mul_u32_u24_e32 v10, 36, v8
	v_mad_u32_u24 v11, v8, 36, v33
	v_cmp_ne_u32_e64 s[12:13], 0, v8
	v_lshl_add_u64 v[8:9], v[8:9], 0, -1
	s_nop 0
	v_xor_b32_e32 v8, s12, v8
	; wave barrier
	ds_read_b32 v18, v11 offset:32
	v_xor_b32_e32 v9, s13, v9
	v_and_b32_e32 v8, exec_lo, v8
	v_and_b32_e32 v9, exec_hi, v9
	v_mbcnt_lo_u32_b32 v11, v8, 0
	v_mbcnt_hi_u32_b32 v19, v9, v11
	v_cmp_eq_u32_e64 s[12:13], 0, v19
	v_cmp_ne_u64_e64 s[14:15], 0, v[8:9]
	s_and_b64 s[14:15], s[14:15], s[12:13]
	v_add_u32_e32 v23, v33, v10
	; wave barrier
	s_and_saveexec_b64 s[12:13], s[14:15]
	s_cbranch_execz .LBB180_17
; %bb.16:
	v_bcnt_u32_b32 v8, v8, 0
	v_bcnt_u32_b32 v8, v9, v8
	s_waitcnt lgkmcnt(0)
	v_add_u32_e32 v8, v18, v8
	ds_write_b32 v23, v8 offset:32
.LBB180_17:
	s_or_b64 exec, exec, s[12:13]
	v_lshrrev_b32_e32 v8, s44, v21
	v_and_b32_e32 v8, s33, v8
	v_mad_u32_u24 v9, v8, 36, v33
	; wave barrier
	ds_read_b32 v21, v9 offset:32
	v_mov_b32_e32 v9, 0
	v_cmp_ne_u32_e64 s[12:13], 0, v8
	v_lshl_add_u64 v[10:11], v[8:9], 0, -1
	v_mul_u32_u24_e32 v26, 36, v8
	v_xor_b32_e32 v10, s12, v10
	v_xor_b32_e32 v8, s13, v11
	v_and_b32_e32 v10, exec_lo, v10
	v_and_b32_e32 v11, exec_hi, v8
	v_mbcnt_lo_u32_b32 v8, v10, 0
	v_mbcnt_hi_u32_b32 v22, v11, v8
	v_cmp_eq_u32_e64 s[12:13], 0, v22
	v_cmp_ne_u64_e64 s[14:15], 0, v[10:11]
	s_and_b64 s[14:15], s[14:15], s[12:13]
	v_add_u32_e32 v26, v33, v26
	; wave barrier
	s_and_saveexec_b64 s[12:13], s[14:15]
	s_cbranch_execz .LBB180_19
; %bb.18:
	v_bcnt_u32_b32 v8, v10, 0
	v_bcnt_u32_b32 v8, v11, v8
	s_waitcnt lgkmcnt(0)
	v_add_u32_e32 v8, v21, v8
	ds_write_b32 v26, v8 offset:32
.LBB180_19:
	s_or_b64 exec, exec, s[12:13]
	v_lshrrev_b32_e32 v8, s44, v24
	v_and_b32_e32 v8, s33, v8
	v_mul_u32_u24_e32 v10, 36, v8
	v_mad_u32_u24 v11, v8, 36, v33
	v_cmp_ne_u32_e64 s[12:13], 0, v8
	v_lshl_add_u64 v[8:9], v[8:9], 0, -1
	s_nop 0
	v_xor_b32_e32 v8, s12, v8
	; wave barrier
	ds_read_b32 v24, v11 offset:32
	v_xor_b32_e32 v9, s13, v9
	v_and_b32_e32 v8, exec_lo, v8
	v_and_b32_e32 v9, exec_hi, v9
	v_mbcnt_lo_u32_b32 v11, v8, 0
	v_mbcnt_hi_u32_b32 v28, v9, v11
	v_cmp_eq_u32_e64 s[12:13], 0, v28
	v_cmp_ne_u64_e64 s[14:15], 0, v[8:9]
	s_and_b64 s[14:15], s[14:15], s[12:13]
	v_add_u32_e32 v31, v33, v10
	; wave barrier
	s_and_saveexec_b64 s[12:13], s[14:15]
	s_cbranch_execz .LBB180_21
; %bb.20:
	v_bcnt_u32_b32 v8, v8, 0
	v_bcnt_u32_b32 v8, v9, v8
	s_waitcnt lgkmcnt(0)
	v_add_u32_e32 v8, v24, v8
	ds_write_b32 v31, v8 offset:32
.LBB180_21:
	s_or_b64 exec, exec, s[12:13]
	v_lshrrev_b32_e32 v8, s44, v27
	v_and_b32_e32 v8, s33, v8
	v_mad_u32_u24 v9, v8, 36, v33
	; wave barrier
	ds_read_b32 v29, v9 offset:32
	v_mov_b32_e32 v9, 0
	v_cmp_ne_u32_e64 s[12:13], 0, v8
	v_lshl_add_u64 v[10:11], v[8:9], 0, -1
	v_mul_u32_u24_e32 v27, 36, v8
	v_xor_b32_e32 v10, s12, v10
	v_xor_b32_e32 v8, s13, v11
	v_and_b32_e32 v10, exec_lo, v10
	v_and_b32_e32 v11, exec_hi, v8
	v_mbcnt_lo_u32_b32 v8, v10, 0
	v_mbcnt_hi_u32_b32 v30, v11, v8
	v_cmp_eq_u32_e64 s[12:13], 0, v30
	v_cmp_ne_u64_e64 s[14:15], 0, v[10:11]
	s_and_b64 s[14:15], s[14:15], s[12:13]
	v_add_u32_e32 v27, v33, v27
	; wave barrier
	s_and_saveexec_b64 s[12:13], s[14:15]
	s_cbranch_execz .LBB180_23
; %bb.22:
	v_bcnt_u32_b32 v8, v10, 0
	v_bcnt_u32_b32 v8, v11, v8
	s_waitcnt lgkmcnt(0)
	v_add_u32_e32 v8, v29, v8
	ds_write_b32 v27, v8 offset:32
.LBB180_23:
	s_or_b64 exec, exec, s[12:13]
	v_lshrrev_b32_e32 v8, s44, v25
	v_and_b32_e32 v8, s33, v8
	v_mul_u32_u24_e32 v10, 36, v8
	v_mad_u32_u24 v11, v8, 36, v33
	v_cmp_ne_u32_e64 s[12:13], 0, v8
	v_lshl_add_u64 v[8:9], v[8:9], 0, -1
	s_nop 0
	v_xor_b32_e32 v8, s12, v8
	; wave barrier
	ds_read_b32 v32, v11 offset:32
	v_xor_b32_e32 v9, s13, v9
	v_and_b32_e32 v8, exec_lo, v8
	v_and_b32_e32 v9, exec_hi, v9
	v_mbcnt_lo_u32_b32 v11, v8, 0
	v_mbcnt_hi_u32_b32 v34, v9, v11
	v_cmp_eq_u32_e64 s[12:13], 0, v34
	v_cmp_ne_u64_e64 s[14:15], 0, v[8:9]
	s_and_b64 s[14:15], s[14:15], s[12:13]
	v_add_u32_e32 v25, v33, v10
	; wave barrier
	s_and_saveexec_b64 s[12:13], s[14:15]
	s_cbranch_execz .LBB180_25
; %bb.24:
	v_bcnt_u32_b32 v8, v8, 0
	v_bcnt_u32_b32 v8, v9, v8
	s_waitcnt lgkmcnt(0)
	v_add_u32_e32 v8, v32, v8
	ds_write_b32 v25, v8 offset:32
.LBB180_25:
	s_or_b64 exec, exec, s[12:13]
	; wave barrier
	s_waitcnt lgkmcnt(0)
	s_barrier
	ds_read2_b32 v[10:11], v17 offset0:8 offset1:9
	ds_read2_b32 v[8:9], v17 offset0:10 offset1:11
	ds_read_b32 v33, v17 offset:48
	v_min_u32_e32 v15, 0x1c0, v15
	v_or_b32_e32 v15, 63, v15
	s_waitcnt lgkmcnt(1)
	v_add3_u32 v35, v11, v10, v8
	s_waitcnt lgkmcnt(0)
	v_add3_u32 v33, v35, v9, v33
	v_and_b32_e32 v35, 15, v6
	v_cmp_ne_u32_e64 s[12:13], 0, v35
	v_mov_b32_dpp v36, v33 row_shr:1 row_mask:0xf bank_mask:0xf
	s_nop 0
	v_cndmask_b32_e64 v36, 0, v36, s[12:13]
	v_add_u32_e32 v33, v36, v33
	v_cmp_lt_u32_e64 s[12:13], 1, v35
	s_nop 0
	v_mov_b32_dpp v36, v33 row_shr:2 row_mask:0xf bank_mask:0xf
	v_cndmask_b32_e64 v36, 0, v36, s[12:13]
	v_add_u32_e32 v33, v33, v36
	v_cmp_lt_u32_e64 s[12:13], 3, v35
	s_nop 0
	v_mov_b32_dpp v36, v33 row_shr:4 row_mask:0xf bank_mask:0xf
	;; [unrolled: 5-line block ×3, first 2 shown]
	v_cndmask_b32_e64 v35, 0, v36, s[12:13]
	v_add_u32_e32 v33, v33, v35
	v_bfe_i32 v36, v6, 4, 1
	v_cmp_lt_u32_e64 s[12:13], 31, v6
	v_mov_b32_dpp v35, v33 row_bcast:15 row_mask:0xf bank_mask:0xf
	v_and_b32_e32 v35, v36, v35
	v_add_u32_e32 v33, v33, v35
	s_nop 1
	v_mov_b32_dpp v35, v33 row_bcast:31 row_mask:0xf bank_mask:0xf
	v_cndmask_b32_e64 v35, 0, v35, s[12:13]
	v_add_u32_e32 v33, v33, v35
	v_lshrrev_b32_e32 v35, 6, v2
	v_cmp_eq_u32_e64 s[12:13], v2, v15
	s_and_saveexec_b64 s[14:15], s[12:13]
; %bb.26:
	v_lshlrev_b32_e32 v15, 2, v35
	ds_write_b32 v15, v33
; %bb.27:
	s_or_b64 exec, exec, s[14:15]
	v_cmp_gt_u32_e64 s[12:13], 8, v2
	s_waitcnt lgkmcnt(0)
	s_barrier
	s_and_saveexec_b64 s[14:15], s[12:13]
	s_cbranch_execz .LBB180_29
; %bb.28:
	v_lshlrev_b32_e32 v15, 2, v2
	ds_read_b32 v36, v15
	v_and_b32_e32 v37, 7, v6
	v_cmp_ne_u32_e64 s[12:13], 0, v37
	s_waitcnt lgkmcnt(0)
	v_mov_b32_dpp v38, v36 row_shr:1 row_mask:0xf bank_mask:0xf
	v_cndmask_b32_e64 v38, 0, v38, s[12:13]
	v_add_u32_e32 v36, v38, v36
	v_cmp_lt_u32_e64 s[12:13], 1, v37
	s_nop 0
	v_mov_b32_dpp v38, v36 row_shr:2 row_mask:0xf bank_mask:0xf
	v_cndmask_b32_e64 v38, 0, v38, s[12:13]
	v_add_u32_e32 v36, v36, v38
	v_cmp_lt_u32_e64 s[12:13], 3, v37
	s_nop 0
	v_mov_b32_dpp v38, v36 row_shr:4 row_mask:0xf bank_mask:0xf
	v_cndmask_b32_e64 v37, 0, v38, s[12:13]
	v_add_u32_e32 v36, v36, v37
	ds_write_b32 v15, v36
.LBB180_29:
	s_or_b64 exec, exec, s[14:15]
	v_cmp_lt_u32_e64 s[12:13], 63, v2
	v_mov_b32_e32 v15, 0
	s_waitcnt lgkmcnt(0)
	s_barrier
	s_and_saveexec_b64 s[14:15], s[12:13]
; %bb.30:
	v_lshl_add_u32 v15, v35, 2, -4
	ds_read_b32 v15, v15
; %bb.31:
	s_or_b64 exec, exec, s[14:15]
	v_subrev_co_u32_e64 v35, s[12:13], 1, v6
	v_and_b32_e32 v36, 64, v6
	v_cmp_lt_i32_e64 s[14:15], v35, v36
	s_waitcnt lgkmcnt(0)
	v_add_u32_e32 v33, v15, v33
	s_movk_i32 s16, 0x100
	v_cndmask_b32_e64 v35, v35, v6, s[14:15]
	v_lshlrev_b32_e32 v35, 2, v35
	ds_bpermute_b32 v33, v35, v33
	v_cmp_gt_u32_e64 s[14:15], s16, v2
	s_waitcnt lgkmcnt(0)
	v_cndmask_b32_e64 v15, v33, v15, s[12:13]
	v_cmp_ne_u32_e64 s[12:13], 0, v2
	s_nop 1
	v_cndmask_b32_e64 v15, 0, v15, s[12:13]
	v_add_u32_e32 v10, v15, v10
	v_add_u32_e32 v11, v10, v11
	;; [unrolled: 1-line block ×4, first 2 shown]
	ds_write2_b32 v17, v15, v10 offset0:8 offset1:9
	ds_write2_b32 v17, v11, v8 offset0:10 offset1:11
	ds_write_b32 v17, v9 offset:48
	s_waitcnt lgkmcnt(0)
	s_barrier
	ds_read_b32 v11, v20 offset:32
	ds_read_b32 v15, v23 offset:32
	;; [unrolled: 1-line block ×6, first 2 shown]
	s_movk_i32 s12, 0xff
	v_cmp_lt_u32_e64 s[12:13], s12, v2
	v_mov_b64_e32 v[8:9], 0
                                        ; implicit-def: $vgpr10
	s_and_saveexec_b64 s[18:19], s[14:15]
	s_cbranch_execz .LBB180_35
; %bb.32:
	v_mul_u32_u24_e32 v8, 36, v2
	ds_read_b32 v8, v8 offset:32
	v_add_u32_e32 v10, 1, v2
	v_cmp_ne_u32_e64 s[16:17], s16, v10
	v_mov_b32_e32 v9, 0xc00
	s_and_saveexec_b64 s[20:21], s[16:17]
; %bb.33:
	v_mul_u32_u24_e32 v9, 36, v10
	ds_read_b32 v9, v9 offset:32
; %bb.34:
	s_or_b64 exec, exec, s[20:21]
	s_waitcnt lgkmcnt(0)
	v_sub_u32_e32 v10, v9, v8
	v_mov_b32_e32 v9, 0
.LBB180_35:
	s_or_b64 exec, exec, s[18:19]
	s_waitcnt lgkmcnt(5)
	v_add_u32_e32 v27, v11, v16
	s_waitcnt lgkmcnt(4)
	v_add3_u32 v26, v19, v18, v15
	s_waitcnt lgkmcnt(3)
	v_add3_u32 v25, v22, v21, v17
	;; [unrolled: 2-line block ×5, first 2 shown]
	s_barrier
	ds_write_b8 v27, v5 offset:2048
	ds_write_b8 v26, v3 offset:2048
	;; [unrolled: 1-line block ×6, first 2 shown]
	v_mov_b32_e32 v13, 0
	v_mov_b32_e32 v3, v13
	v_lshlrev_b32_e32 v11, 3, v2
	s_waitcnt lgkmcnt(0)
	s_barrier
	s_and_saveexec_b64 s[16:17], s[14:15]
	s_cbranch_execz .LBB180_45
; %bb.36:
	v_lshl_add_u32 v12, s2, 8, v2
	v_lshl_add_u64 v[14:15], v[12:13], 2, s[48:49]
	v_or_b32_e32 v5, 2.0, v10
	global_store_dword v[14:15], v5, off sc1
	s_mov_b64 s[18:19], 0
	s_brev_b32 s24, -4
	s_mov_b32 s25, s2
	v_mov_b32_e32 v5, 0
                                        ; implicit-def: $sgpr14_sgpr15
	s_branch .LBB180_39
.LBB180_37:                             ;   in Loop: Header=BB180_39 Depth=1
	s_or_b64 exec, exec, s[22:23]
.LBB180_38:                             ;   in Loop: Header=BB180_39 Depth=1
	s_or_b64 exec, exec, s[20:21]
	v_and_b32_e32 v12, 0x3fffffff, v7
	v_add_u32_e32 v5, v12, v5
	v_cmp_gt_i32_e64 s[14:15], -2.0, v7
	s_and_b64 s[20:21], exec, s[14:15]
	s_or_b64 s[18:19], s[20:21], s[18:19]
	s_andn2_b64 exec, exec, s[18:19]
	s_cbranch_execz .LBB180_44
.LBB180_39:                             ; =>This Loop Header: Depth=1
                                        ;     Child Loop BB180_42 Depth 2
	s_or_b64 s[14:15], s[14:15], exec
	s_cmp_eq_u32 s25, 0
	s_cbranch_scc1 .LBB180_43
; %bb.40:                               ;   in Loop: Header=BB180_39 Depth=1
	s_add_i32 s25, s25, -1
	v_lshl_or_b32 v12, s25, 8, v2
	v_lshl_add_u64 v[16:17], v[12:13], 2, s[48:49]
	global_load_dword v7, v[16:17], off sc1
	s_waitcnt vmcnt(0)
	v_cmp_gt_u32_e64 s[14:15], 2.0, v7
	s_and_saveexec_b64 s[20:21], s[14:15]
	s_cbranch_execz .LBB180_38
; %bb.41:                               ;   in Loop: Header=BB180_39 Depth=1
	s_mov_b64 s[22:23], 0
.LBB180_42:                             ;   Parent Loop BB180_39 Depth=1
                                        ; =>  This Inner Loop Header: Depth=2
	global_load_dword v7, v[16:17], off sc1
	s_waitcnt vmcnt(0)
	v_cmp_lt_u32_e64 s[14:15], s24, v7
	s_or_b64 s[22:23], s[14:15], s[22:23]
	s_andn2_b64 exec, exec, s[22:23]
	s_cbranch_execnz .LBB180_42
	s_branch .LBB180_37
.LBB180_43:                             ;   in Loop: Header=BB180_39 Depth=1
                                        ; implicit-def: $sgpr25
	s_and_b64 s[20:21], exec, s[14:15]
	s_or_b64 s[18:19], s[20:21], s[18:19]
	s_andn2_b64 exec, exec, s[18:19]
	s_cbranch_execnz .LBB180_39
.LBB180_44:
	s_or_b64 exec, exec, s[18:19]
	v_add_u32_e32 v12, v5, v10
	v_or_b32_e32 v12, 0x80000000, v12
	v_lshlrev_b32_e32 v7, 3, v2
	global_store_dword v[14:15], v12, off sc1
	global_load_dwordx2 v[12:13], v7, s[28:29]
	v_sub_co_u32_e64 v14, s[14:15], v5, v8
	s_nop 1
	v_subb_co_u32_e64 v15, s[14:15], 0, v9, s[14:15]
	s_waitcnt vmcnt(0)
	v_lshl_add_u64 v[12:13], v[14:15], 0, v[12:13]
	ds_write_b64 v11, v[12:13]
.LBB180_45:
	s_or_b64 exec, exec, s[16:17]
	v_cmp_gt_u32_e64 s[20:21], s46, v2
	s_waitcnt lgkmcnt(0)
	s_barrier
	s_and_saveexec_b64 s[14:15], s[20:21]
	s_cbranch_execz .LBB180_47
; %bb.46:
	ds_read_u8 v5, v2 offset:2048
	s_waitcnt lgkmcnt(0)
	v_and_b32_e32 v7, 1, v5
	v_lshrrev_b32_e32 v7, s44, v7
	v_and_b32_e32 v7, s33, v7
	v_lshlrev_b32_e32 v7, 3, v7
	ds_read_b64 v[12:13], v7
	s_waitcnt lgkmcnt(0)
	v_lshl_add_u64 v[12:13], s[38:39], 0, v[12:13]
	v_lshl_add_u64 v[12:13], v[12:13], 0, v[2:3]
	global_store_byte v[12:13], v5, off
.LBB180_47:
	s_or_b64 exec, exec, s[14:15]
	v_add_u32_e32 v32, 0x200, v2
	v_cmp_gt_u32_e64 s[24:25], s46, v32
	s_and_saveexec_b64 s[14:15], s[24:25]
	s_cbranch_execz .LBB180_49
; %bb.48:
	ds_read_u8 v5, v2 offset:2560
	s_waitcnt lgkmcnt(0)
	v_and_b32_e32 v7, 1, v5
	v_lshrrev_b32_e32 v7, s44, v7
	v_and_b32_e32 v7, s33, v7
	v_lshlrev_b32_e32 v7, 3, v7
	ds_read_b64 v[12:13], v7
	s_waitcnt lgkmcnt(0)
	v_lshl_add_u64 v[12:13], s[38:39], 0, v[12:13]
	v_lshl_add_u64 v[12:13], v[12:13], 0, v[2:3]
	global_store_byte v[12:13], v5, off offset:512
.LBB180_49:
	s_or_b64 exec, exec, s[14:15]
	v_or_b32_e32 v31, 0x400, v2
	v_cmp_gt_u32_e64 s[22:23], s46, v31
	s_and_saveexec_b64 s[14:15], s[22:23]
	s_cbranch_execz .LBB180_51
; %bb.50:
	ds_read_u8 v5, v2 offset:3072
	s_waitcnt lgkmcnt(0)
	v_and_b32_e32 v7, 1, v5
	v_lshrrev_b32_e32 v7, s44, v7
	v_and_b32_e32 v7, s33, v7
	v_lshlrev_b32_e32 v7, 3, v7
	ds_read_b64 v[12:13], v7
	s_waitcnt lgkmcnt(0)
	v_lshl_add_u64 v[12:13], s[38:39], 0, v[12:13]
	v_lshl_add_u64 v[12:13], v[12:13], 0, v[2:3]
	global_store_byte v[12:13], v5, off offset:1024
.LBB180_51:
	s_or_b64 exec, exec, s[14:15]
	v_add_u32_e32 v30, 0x600, v2
	v_cmp_gt_u32_e64 s[18:19], s46, v30
	s_and_saveexec_b64 s[14:15], s[18:19]
	s_cbranch_execz .LBB180_53
; %bb.52:
	ds_read_u8 v5, v2 offset:3584
	s_waitcnt lgkmcnt(0)
	v_and_b32_e32 v7, 1, v5
	v_lshrrev_b32_e32 v7, s44, v7
	v_and_b32_e32 v7, s33, v7
	v_lshlrev_b32_e32 v7, 3, v7
	ds_read_b64 v[12:13], v7
	s_waitcnt lgkmcnt(0)
	v_lshl_add_u64 v[12:13], s[38:39], 0, v[12:13]
	v_lshl_add_u64 v[12:13], v[12:13], 0, v[2:3]
	global_store_byte v[12:13], v5, off offset:1536
.LBB180_53:
	s_or_b64 exec, exec, s[14:15]
	v_or_b32_e32 v29, 0x800, v2
	v_cmp_gt_u32_e64 s[16:17], s46, v29
	s_and_saveexec_b64 s[14:15], s[16:17]
	s_cbranch_execz .LBB180_55
; %bb.54:
	ds_read_u8 v5, v2 offset:4096
	s_waitcnt lgkmcnt(0)
	v_and_b32_e32 v7, 1, v5
	v_lshrrev_b32_e32 v7, s44, v7
	v_and_b32_e32 v7, s33, v7
	v_lshlrev_b32_e32 v7, 3, v7
	ds_read_b64 v[12:13], v7
	s_waitcnt lgkmcnt(0)
	v_lshl_add_u64 v[12:13], s[38:39], 0, v[12:13]
	v_lshl_add_u64 v[12:13], v[12:13], 0, v[2:3]
	global_store_byte v[12:13], v5, off offset:2048
.LBB180_55:
	s_or_b64 exec, exec, s[14:15]
	v_add_u32_e32 v28, 0xa00, v2
	v_cmp_gt_u32_e64 s[14:15], s46, v28
	s_and_saveexec_b64 s[46:47], s[14:15]
	s_cbranch_execz .LBB180_57
; %bb.56:
	ds_read_u8 v5, v2 offset:4608
	s_waitcnt lgkmcnt(0)
	v_and_b32_e32 v7, 1, v5
	v_lshrrev_b32_e32 v7, s44, v7
	v_and_b32_e32 v7, s33, v7
	v_lshlrev_b32_e32 v7, 3, v7
	ds_read_b64 v[12:13], v7
	s_waitcnt lgkmcnt(0)
	v_lshl_add_u64 v[12:13], s[38:39], 0, v[12:13]
	v_lshl_add_u64 v[12:13], v[12:13], 0, v[2:3]
	global_store_byte v[12:13], v5, off offset:2560
.LBB180_57:
	s_or_b64 exec, exec, s[46:47]
	s_lshl_b64 s[46:47], s[34:35], 3
	s_add_u32 s46, s40, s46
	s_addc_u32 s47, s41, s47
	v_lshlrev_b32_e32 v6, 3, v6
	v_mov_b32_e32 v7, 0
	v_lshl_add_u64 v[12:13], s[46:47], 0, v[6:7]
	v_lshlrev_b32_e32 v6, 3, v4
	v_lshl_add_u64 v[20:21], v[12:13], 0, v[6:7]
                                        ; implicit-def: $vgpr4_vgpr5
	s_and_saveexec_b64 s[46:47], vcc
	s_xor_b64 s[46:47], exec, s[46:47]
	s_cbranch_execz .LBB180_63
; %bb.58:
	global_load_dwordx2 v[4:5], v[20:21], off
	s_or_b64 exec, exec, s[46:47]
                                        ; implicit-def: $vgpr6_vgpr7
	s_and_saveexec_b64 s[46:47], s[26:27]
	s_cbranch_execnz .LBB180_64
.LBB180_59:
	s_or_b64 exec, exec, s[46:47]
                                        ; implicit-def: $vgpr12_vgpr13
	s_and_saveexec_b64 s[26:27], s[4:5]
	s_cbranch_execz .LBB180_65
.LBB180_60:
	global_load_dwordx2 v[12:13], v[20:21], off offset:1024
	s_or_b64 exec, exec, s[26:27]
                                        ; implicit-def: $vgpr14_vgpr15
	s_and_saveexec_b64 s[4:5], s[6:7]
	s_cbranch_execnz .LBB180_66
.LBB180_61:
	s_or_b64 exec, exec, s[4:5]
                                        ; implicit-def: $vgpr16_vgpr17
	s_and_saveexec_b64 s[4:5], s[8:9]
	s_cbranch_execz .LBB180_67
.LBB180_62:
	global_load_dwordx2 v[16:17], v[20:21], off offset:2048
	s_or_b64 exec, exec, s[4:5]
                                        ; implicit-def: $vgpr18_vgpr19
	s_and_saveexec_b64 s[4:5], s[10:11]
	s_cbranch_execnz .LBB180_68
	s_branch .LBB180_69
.LBB180_63:
	s_or_b64 exec, exec, s[46:47]
                                        ; implicit-def: $vgpr6_vgpr7
	s_and_saveexec_b64 s[46:47], s[26:27]
	s_cbranch_execz .LBB180_59
.LBB180_64:
	global_load_dwordx2 v[6:7], v[20:21], off offset:512
	s_or_b64 exec, exec, s[46:47]
                                        ; implicit-def: $vgpr12_vgpr13
	s_and_saveexec_b64 s[26:27], s[4:5]
	s_cbranch_execnz .LBB180_60
.LBB180_65:
	s_or_b64 exec, exec, s[26:27]
                                        ; implicit-def: $vgpr14_vgpr15
	s_and_saveexec_b64 s[4:5], s[6:7]
	s_cbranch_execz .LBB180_61
.LBB180_66:
	global_load_dwordx2 v[14:15], v[20:21], off offset:1536
	s_or_b64 exec, exec, s[4:5]
                                        ; implicit-def: $vgpr16_vgpr17
	s_and_saveexec_b64 s[4:5], s[8:9]
	s_cbranch_execnz .LBB180_62
.LBB180_67:
	s_or_b64 exec, exec, s[4:5]
                                        ; implicit-def: $vgpr18_vgpr19
	s_and_saveexec_b64 s[4:5], s[10:11]
	s_cbranch_execz .LBB180_69
.LBB180_68:
	global_load_dwordx2 v[18:19], v[20:21], off offset:2560
.LBB180_69:
	s_or_b64 exec, exec, s[4:5]
	v_mov_b32_e32 v34, 0
	v_mov_b32_e32 v3, 0
	s_and_saveexec_b64 s[4:5], s[20:21]
	s_cbranch_execz .LBB180_71
; %bb.70:
	ds_read_u8 v3, v2 offset:2048
	s_waitcnt lgkmcnt(0)
	v_lshrrev_b32_e32 v3, s44, v3
	v_and_b32_e32 v3, s33, v3
.LBB180_71:
	s_or_b64 exec, exec, s[4:5]
	s_and_saveexec_b64 s[4:5], s[24:25]
	s_cbranch_execz .LBB180_73
; %bb.72:
	ds_read_u8 v20, v2 offset:2560
	s_waitcnt lgkmcnt(0)
	v_lshrrev_b32_e32 v20, s44, v20
	v_and_b32_e32 v34, s33, v20
.LBB180_73:
	s_or_b64 exec, exec, s[4:5]
	v_mov_b32_e32 v21, 0
	v_mov_b32_e32 v35, 0
	s_and_saveexec_b64 s[4:5], s[22:23]
	s_cbranch_execz .LBB180_75
; %bb.74:
	ds_read_u8 v20, v2 offset:3072
	s_waitcnt lgkmcnt(0)
	v_lshrrev_b32_e32 v20, s44, v20
	v_and_b32_e32 v35, s33, v20
.LBB180_75:
	s_or_b64 exec, exec, s[4:5]
	s_and_saveexec_b64 s[4:5], s[18:19]
	s_cbranch_execz .LBB180_77
; %bb.76:
	ds_read_u8 v20, v2 offset:3584
	s_waitcnt lgkmcnt(0)
	v_lshrrev_b32_e32 v20, s44, v20
	v_and_b32_e32 v21, s33, v20
.LBB180_77:
	;; [unrolled: 20-line block ×3, first 2 shown]
	s_or_b64 exec, exec, s[4:5]
	v_lshlrev_b32_e32 v27, 3, v27
	s_barrier
	s_waitcnt vmcnt(0)
	ds_write_b64 v27, v[4:5] offset:2048
	v_lshlrev_b32_e32 v4, 3, v26
	ds_write_b64 v4, v[6:7] offset:2048
	v_lshlrev_b32_e32 v4, 3, v25
	;; [unrolled: 2-line block ×5, first 2 shown]
	v_lshlrev_b32_e32 v2, 3, v2
	ds_write_b64 v4, v[18:19] offset:2048
	s_waitcnt lgkmcnt(0)
	s_barrier
	s_and_saveexec_b64 s[4:5], s[20:21]
	s_cbranch_execz .LBB180_87
; %bb.82:
	v_lshlrev_b32_e32 v3, 3, v3
	ds_read_b64 v[4:5], v3
	ds_read_b64 v[6:7], v11 offset:2048
	v_mov_b32_e32 v3, 0
	s_waitcnt lgkmcnt(1)
	v_lshl_add_u64 v[4:5], v[4:5], 3, s[42:43]
	v_lshl_add_u64 v[4:5], v[4:5], 0, v[2:3]
	s_waitcnt lgkmcnt(0)
	global_store_dwordx2 v[4:5], v[6:7], off
	s_or_b64 exec, exec, s[4:5]
	s_and_saveexec_b64 s[4:5], s[24:25]
	s_cbranch_execnz .LBB180_88
.LBB180_83:
	s_or_b64 exec, exec, s[4:5]
	s_and_saveexec_b64 s[4:5], s[22:23]
	s_cbranch_execz .LBB180_89
.LBB180_84:
	v_lshlrev_b32_e32 v3, 3, v35
	ds_read_b64 v[4:5], v3
	ds_read_b64 v[6:7], v11 offset:10240
	v_lshlrev_b32_e32 v12, 3, v31
	v_mov_b32_e32 v13, 0
	s_waitcnt lgkmcnt(1)
	v_lshl_add_u64 v[4:5], v[4:5], 3, s[42:43]
	v_lshl_add_u64 v[4:5], v[4:5], 0, v[12:13]
	s_waitcnt lgkmcnt(0)
	global_store_dwordx2 v[4:5], v[6:7], off
	s_or_b64 exec, exec, s[4:5]
	s_and_saveexec_b64 s[4:5], s[18:19]
	s_cbranch_execnz .LBB180_90
.LBB180_85:
	s_or_b64 exec, exec, s[4:5]
	s_and_saveexec_b64 s[4:5], s[16:17]
	s_cbranch_execz .LBB180_91
.LBB180_86:
	v_lshlrev_b32_e32 v3, 3, v33
	ds_read_b64 v[4:5], v3
	ds_read_b64 v[6:7], v11 offset:18432
	v_lshlrev_b32_e32 v12, 3, v29
	v_mov_b32_e32 v13, 0
	s_waitcnt lgkmcnt(1)
	v_lshl_add_u64 v[4:5], v[4:5], 3, s[42:43]
	v_lshl_add_u64 v[4:5], v[4:5], 0, v[12:13]
	s_waitcnt lgkmcnt(0)
	global_store_dwordx2 v[4:5], v[6:7], off
	s_or_b64 exec, exec, s[4:5]
	s_and_saveexec_b64 s[4:5], s[14:15]
	s_cbranch_execnz .LBB180_92
	s_branch .LBB180_93
.LBB180_87:
	s_or_b64 exec, exec, s[4:5]
	s_and_saveexec_b64 s[4:5], s[24:25]
	s_cbranch_execz .LBB180_83
.LBB180_88:
	v_lshlrev_b32_e32 v3, 3, v34
	ds_read_b64 v[4:5], v3
	ds_read_b64 v[6:7], v11 offset:6144
	v_lshlrev_b32_e32 v12, 3, v32
	v_mov_b32_e32 v13, 0
	s_waitcnt lgkmcnt(1)
	v_lshl_add_u64 v[4:5], v[4:5], 3, s[42:43]
	v_lshl_add_u64 v[4:5], v[4:5], 0, v[12:13]
	s_waitcnt lgkmcnt(0)
	global_store_dwordx2 v[4:5], v[6:7], off
	s_or_b64 exec, exec, s[4:5]
	s_and_saveexec_b64 s[4:5], s[22:23]
	s_cbranch_execnz .LBB180_84
.LBB180_89:
	s_or_b64 exec, exec, s[4:5]
	s_and_saveexec_b64 s[4:5], s[18:19]
	s_cbranch_execz .LBB180_85
.LBB180_90:
	v_lshlrev_b32_e32 v3, 3, v21
	ds_read_b64 v[4:5], v3
	ds_read_b64 v[6:7], v11 offset:14336
	v_lshlrev_b32_e32 v12, 3, v30
	v_mov_b32_e32 v13, 0
	s_waitcnt lgkmcnt(1)
	v_lshl_add_u64 v[4:5], v[4:5], 3, s[42:43]
	v_lshl_add_u64 v[4:5], v[4:5], 0, v[12:13]
	s_waitcnt lgkmcnt(0)
	global_store_dwordx2 v[4:5], v[6:7], off
	s_or_b64 exec, exec, s[4:5]
	s_and_saveexec_b64 s[4:5], s[16:17]
	s_cbranch_execnz .LBB180_86
.LBB180_91:
	s_or_b64 exec, exec, s[4:5]
	s_and_saveexec_b64 s[4:5], s[14:15]
	s_cbranch_execz .LBB180_93
.LBB180_92:
	v_lshlrev_b32_e32 v3, 3, v20
	ds_read_b64 v[4:5], v3
	ds_read_b64 v[6:7], v11 offset:22528
	v_lshlrev_b32_e32 v12, 3, v28
	v_mov_b32_e32 v13, 0
	s_waitcnt lgkmcnt(1)
	v_lshl_add_u64 v[4:5], v[4:5], 3, s[42:43]
	v_lshl_add_u64 v[4:5], v[4:5], 0, v[12:13]
	s_waitcnt lgkmcnt(0)
	global_store_dwordx2 v[4:5], v[6:7], off
.LBB180_93:
	s_or_b64 exec, exec, s[4:5]
	s_add_i32 s3, s3, -1
	s_cmp_eq_u32 s2, s3
	s_cselect_b64 s[4:5], -1, 0
	s_xor_b64 s[6:7], s[12:13], -1
	s_and_b64 s[6:7], s[6:7], s[4:5]
	s_and_saveexec_b64 s[4:5], s[6:7]
	s_cbranch_execz .LBB180_95
; %bb.94:
	ds_read_b64 v[4:5], v11
	v_mov_b32_e32 v11, 0
	v_lshl_add_u64 v[6:7], v[8:9], 0, v[10:11]
	s_waitcnt lgkmcnt(0)
	v_lshl_add_u64 v[4:5], v[6:7], 0, v[4:5]
	global_store_dwordx2 v2, v[4:5], s[30:31]
.LBB180_95:
	s_or_b64 exec, exec, s[4:5]
	s_mov_b64 s[4:5], 0
.LBB180_96:
	s_and_b64 vcc, exec, s[4:5]
	s_cbranch_vccz .LBB180_131
; %bb.97:
	s_add_u32 s4, s36, s34
	s_addc_u32 s5, s37, 0
	v_mbcnt_hi_u32_b32 v6, -1, v1
	v_and_b32_e32 v17, 0x1c0, v0
	v_mov_b32_e32 v7, 0
	v_mul_u32_u24_e32 v4, 6, v17
	v_lshl_add_u64 v[2:3], s[4:5], 0, v[6:7]
	v_mov_b32_e32 v5, v7
	v_lshl_add_u64 v[8:9], v[2:3], 0, v[4:5]
	global_load_ubyte v3, v[8:9], off
	s_load_dword s4, s[0:1], 0x5c
	s_load_dword s3, s[0:1], 0x50
	s_add_u32 s0, s0, 0x50
	s_addc_u32 s1, s1, 0
	v_and_b32_e32 v2, 0x3ff, v0
	s_waitcnt lgkmcnt(0)
	s_lshr_b32 s4, s4, 16
	s_cmp_lt_u32 s2, s3
	s_cselect_b32 s5, 12, 18
	s_add_u32 s0, s0, s5
	s_addc_u32 s1, s1, 0
	global_load_ushort v14, v7, s[0:1]
	global_load_ubyte v5, v[8:9], off offset:64
	global_load_ubyte v10, v[8:9], off offset:128
	;; [unrolled: 1-line block ×5, first 2 shown]
	v_bfe_u32 v8, v0, 10, 10
	v_bfe_u32 v0, v0, 20, 10
	v_mad_u32_u24 v8, v0, s4, v8
	s_lshl_b32 s0, -1, s45
	v_mov_b32_e32 v1, v7
	s_not_b32 s12, s0
	s_mov_b32 s35, 0
	v_mul_u32_u24_e32 v15, 20, v2
	ds_write2_b32 v15, v7, v7 offset0:8 offset1:9
	ds_write2_b32 v15, v7, v7 offset0:10 offset1:11
	ds_write_b32 v15, v7 offset:48
	s_waitcnt lgkmcnt(0)
	s_barrier
	s_waitcnt vmcnt(6)
	; wave barrier
	v_and_b32_e32 v0, 1, v3
	v_lshrrev_b32_e32 v0, s44, v0
	v_bitop3_b32 v0, v0, s0, v0 bitop3:0x30
	v_mul_u32_u24_e32 v16, 36, v0
	v_cmp_ne_u32_e32 vcc, 0, v0
	v_lshl_add_u64 v[0:1], v[0:1], 0, -1
	s_waitcnt vmcnt(5)
	v_mad_u64_u32 v[8:9], s[0:1], v8, v14, v[2:3]
	v_xor_b32_e32 v0, vcc_lo, v0
	v_xor_b32_e32 v1, vcc_hi, v1
	v_and_b32_e32 v0, exec_lo, v0
	v_and_b32_e32 v1, exec_hi, v1
	v_mbcnt_lo_u32_b32 v9, v0, 0
	v_lshrrev_b32_e32 v8, 4, v8
	v_mbcnt_hi_u32_b32 v14, v1, v9
	v_cmp_ne_u64_e32 vcc, 0, v[0:1]
	v_and_b32_e32 v29, 0xffffffc, v8
	v_cmp_eq_u32_e64 s[0:1], 0, v14
	s_and_b64 s[4:5], vcc, s[0:1]
	v_add_u32_e32 v18, v29, v16
	s_and_saveexec_b64 s[0:1], s[4:5]
; %bb.98:
	v_bcnt_u32_b32 v0, v0, 0
	v_bcnt_u32_b32 v0, v1, v0
	ds_write_b32 v18, v0 offset:32
; %bb.99:
	s_or_b64 exec, exec, s[0:1]
	s_waitcnt vmcnt(4)
	v_lshrrev_b32_sdwa v0, s44, v5 dst_sel:DWORD dst_unused:UNUSED_PAD src0_sel:DWORD src1_sel:BYTE_0
	v_and_b32_e32 v0, s12, v0
	v_mad_u32_u24 v1, v0, 36, v29
	; wave barrier
	ds_read_b32 v16, v1 offset:32
	v_mov_b32_e32 v1, v7
	v_mul_u32_u24_e32 v8, 36, v0
	v_cmp_ne_u32_e32 vcc, 0, v0
	v_lshl_add_u64 v[0:1], v[0:1], 0, -1
	v_add_u32_e32 v21, v29, v8
	v_xor_b32_e32 v0, vcc_lo, v0
	v_xor_b32_e32 v1, vcc_hi, v1
	v_and_b32_e32 v0, exec_lo, v0
	v_and_b32_e32 v1, exec_hi, v1
	v_mbcnt_lo_u32_b32 v7, v0, 0
	v_mbcnt_hi_u32_b32 v7, v1, v7
	v_cmp_eq_u32_e32 vcc, 0, v7
	v_cmp_ne_u64_e64 s[0:1], 0, v[0:1]
	s_and_b64 s[4:5], s[0:1], vcc
	; wave barrier
	s_and_saveexec_b64 s[0:1], s[4:5]
	s_cbranch_execz .LBB180_101
; %bb.100:
	v_bcnt_u32_b32 v0, v0, 0
	v_bcnt_u32_b32 v0, v1, v0
	s_waitcnt lgkmcnt(0)
	v_add_u32_e32 v0, v16, v0
	ds_write_b32 v21, v0 offset:32
.LBB180_101:
	s_or_b64 exec, exec, s[0:1]
	s_waitcnt vmcnt(3)
	v_lshrrev_b32_sdwa v0, s44, v10 dst_sel:DWORD dst_unused:UNUSED_PAD src0_sel:DWORD src1_sel:BYTE_0
	v_and_b32_e32 v0, s12, v0
	v_mad_u32_u24 v1, v0, 36, v29
	; wave barrier
	ds_read_b32 v19, v1 offset:32
	v_mov_b32_e32 v1, 0
	v_cmp_ne_u32_e32 vcc, 0, v0
	v_lshl_add_u64 v[8:9], v[0:1], 0, -1
	v_mul_u32_u24_e32 v22, 36, v0
	v_xor_b32_e32 v8, vcc_lo, v8
	v_xor_b32_e32 v0, vcc_hi, v9
	v_and_b32_e32 v8, exec_lo, v8
	v_and_b32_e32 v9, exec_hi, v0
	v_mbcnt_lo_u32_b32 v0, v8, 0
	v_mbcnt_hi_u32_b32 v20, v9, v0
	v_cmp_eq_u32_e32 vcc, 0, v20
	v_cmp_ne_u64_e64 s[0:1], 0, v[8:9]
	s_and_b64 s[4:5], s[0:1], vcc
	v_add_u32_e32 v24, v29, v22
	; wave barrier
	s_and_saveexec_b64 s[0:1], s[4:5]
	s_cbranch_execz .LBB180_103
; %bb.102:
	v_bcnt_u32_b32 v0, v8, 0
	v_bcnt_u32_b32 v0, v9, v0
	s_waitcnt lgkmcnt(0)
	v_add_u32_e32 v0, v19, v0
	ds_write_b32 v24, v0 offset:32
.LBB180_103:
	s_or_b64 exec, exec, s[0:1]
	s_waitcnt vmcnt(2)
	v_lshrrev_b32_sdwa v0, s44, v11 dst_sel:DWORD dst_unused:UNUSED_PAD src0_sel:DWORD src1_sel:BYTE_0
	v_and_b32_e32 v0, s12, v0
	v_mul_u32_u24_e32 v8, 36, v0
	v_mad_u32_u24 v9, v0, 36, v29
	v_cmp_ne_u32_e32 vcc, 0, v0
	v_lshl_add_u64 v[0:1], v[0:1], 0, -1
	s_nop 0
	v_xor_b32_e32 v0, vcc_lo, v0
	; wave barrier
	ds_read_b32 v22, v9 offset:32
	v_xor_b32_e32 v1, vcc_hi, v1
	v_and_b32_e32 v0, exec_lo, v0
	v_and_b32_e32 v1, exec_hi, v1
	v_mbcnt_lo_u32_b32 v9, v0, 0
	v_mbcnt_hi_u32_b32 v23, v1, v9
	v_cmp_eq_u32_e32 vcc, 0, v23
	v_cmp_ne_u64_e64 s[0:1], 0, v[0:1]
	s_and_b64 s[4:5], s[0:1], vcc
	v_add_u32_e32 v27, v29, v8
	; wave barrier
	s_and_saveexec_b64 s[0:1], s[4:5]
	s_cbranch_execz .LBB180_105
; %bb.104:
	v_bcnt_u32_b32 v0, v0, 0
	v_bcnt_u32_b32 v0, v1, v0
	s_waitcnt lgkmcnt(0)
	v_add_u32_e32 v0, v22, v0
	ds_write_b32 v27, v0 offset:32
.LBB180_105:
	s_or_b64 exec, exec, s[0:1]
	s_waitcnt vmcnt(1)
	v_lshrrev_b32_sdwa v0, s44, v12 dst_sel:DWORD dst_unused:UNUSED_PAD src0_sel:DWORD src1_sel:BYTE_0
	v_and_b32_e32 v0, s12, v0
	v_mad_u32_u24 v1, v0, 36, v29
	; wave barrier
	ds_read_b32 v25, v1 offset:32
	v_mov_b32_e32 v1, 0
	v_cmp_ne_u32_e32 vcc, 0, v0
	v_lshl_add_u64 v[8:9], v[0:1], 0, -1
	v_mul_u32_u24_e32 v28, 36, v0
	v_xor_b32_e32 v8, vcc_lo, v8
	v_xor_b32_e32 v0, vcc_hi, v9
	v_and_b32_e32 v8, exec_lo, v8
	v_and_b32_e32 v9, exec_hi, v0
	v_mbcnt_lo_u32_b32 v0, v8, 0
	v_mbcnt_hi_u32_b32 v26, v9, v0
	v_cmp_eq_u32_e32 vcc, 0, v26
	v_cmp_ne_u64_e64 s[0:1], 0, v[8:9]
	s_and_b64 s[4:5], s[0:1], vcc
	v_add_u32_e32 v31, v29, v28
	; wave barrier
	s_and_saveexec_b64 s[0:1], s[4:5]
	s_cbranch_execz .LBB180_107
; %bb.106:
	v_bcnt_u32_b32 v0, v8, 0
	v_bcnt_u32_b32 v0, v9, v0
	s_waitcnt lgkmcnt(0)
	v_add_u32_e32 v0, v25, v0
	ds_write_b32 v31, v0 offset:32
.LBB180_107:
	s_or_b64 exec, exec, s[0:1]
	s_waitcnt vmcnt(0)
	v_lshrrev_b32_sdwa v0, s44, v13 dst_sel:DWORD dst_unused:UNUSED_PAD src0_sel:DWORD src1_sel:BYTE_0
	v_and_b32_e32 v0, s12, v0
	v_mul_u32_u24_e32 v8, 36, v0
	v_mad_u32_u24 v9, v0, 36, v29
	v_cmp_ne_u32_e32 vcc, 0, v0
	v_lshl_add_u64 v[0:1], v[0:1], 0, -1
	s_nop 0
	v_xor_b32_e32 v0, vcc_lo, v0
	; wave barrier
	ds_read_b32 v28, v9 offset:32
	v_xor_b32_e32 v1, vcc_hi, v1
	v_and_b32_e32 v0, exec_lo, v0
	v_and_b32_e32 v1, exec_hi, v1
	v_mbcnt_lo_u32_b32 v9, v0, 0
	v_mbcnt_hi_u32_b32 v30, v1, v9
	v_cmp_eq_u32_e32 vcc, 0, v30
	v_cmp_ne_u64_e64 s[0:1], 0, v[0:1]
	s_and_b64 s[4:5], s[0:1], vcc
	v_add_u32_e32 v29, v29, v8
	; wave barrier
	s_and_saveexec_b64 s[0:1], s[4:5]
	s_cbranch_execz .LBB180_109
; %bb.108:
	v_bcnt_u32_b32 v0, v0, 0
	v_bcnt_u32_b32 v0, v1, v0
	s_waitcnt lgkmcnt(0)
	v_add_u32_e32 v0, v28, v0
	ds_write_b32 v29, v0 offset:32
.LBB180_109:
	s_or_b64 exec, exec, s[0:1]
	; wave barrier
	s_waitcnt lgkmcnt(0)
	s_barrier
	ds_read2_b32 v[8:9], v15 offset0:8 offset1:9
	ds_read2_b32 v[0:1], v15 offset0:10 offset1:11
	ds_read_b32 v32, v15 offset:48
	v_min_u32_e32 v17, 0x1c0, v17
	v_or_b32_e32 v17, 63, v17
	s_waitcnt lgkmcnt(1)
	v_add3_u32 v33, v9, v8, v0
	s_waitcnt lgkmcnt(0)
	v_add3_u32 v32, v33, v1, v32
	v_and_b32_e32 v33, 15, v6
	v_cmp_ne_u32_e32 vcc, 0, v33
	v_mov_b32_dpp v34, v32 row_shr:1 row_mask:0xf bank_mask:0xf
	s_nop 0
	v_cndmask_b32_e32 v34, 0, v34, vcc
	v_add_u32_e32 v32, v34, v32
	v_cmp_lt_u32_e32 vcc, 1, v33
	s_nop 0
	v_mov_b32_dpp v34, v32 row_shr:2 row_mask:0xf bank_mask:0xf
	v_cndmask_b32_e32 v34, 0, v34, vcc
	v_add_u32_e32 v32, v32, v34
	v_cmp_lt_u32_e32 vcc, 3, v33
	s_nop 0
	v_mov_b32_dpp v34, v32 row_shr:4 row_mask:0xf bank_mask:0xf
	;; [unrolled: 5-line block ×3, first 2 shown]
	v_cndmask_b32_e32 v33, 0, v34, vcc
	v_add_u32_e32 v32, v32, v33
	v_bfe_i32 v34, v6, 4, 1
	v_cmp_lt_u32_e32 vcc, 31, v6
	v_mov_b32_dpp v33, v32 row_bcast:15 row_mask:0xf bank_mask:0xf
	v_and_b32_e32 v33, v34, v33
	v_add_u32_e32 v32, v32, v33
	s_nop 1
	v_mov_b32_dpp v33, v32 row_bcast:31 row_mask:0xf bank_mask:0xf
	v_cndmask_b32_e32 v33, 0, v33, vcc
	v_add_u32_e32 v32, v32, v33
	v_lshrrev_b32_e32 v33, 6, v2
	v_cmp_eq_u32_e32 vcc, v2, v17
	s_and_saveexec_b64 s[0:1], vcc
; %bb.110:
	v_lshlrev_b32_e32 v17, 2, v33
	ds_write_b32 v17, v32
; %bb.111:
	s_or_b64 exec, exec, s[0:1]
	v_cmp_gt_u32_e32 vcc, 8, v2
	s_waitcnt lgkmcnt(0)
	s_barrier
	s_and_saveexec_b64 s[0:1], vcc
	s_cbranch_execz .LBB180_113
; %bb.112:
	v_lshlrev_b32_e32 v17, 2, v2
	ds_read_b32 v34, v17
	v_and_b32_e32 v35, 7, v6
	v_cmp_ne_u32_e32 vcc, 0, v35
	s_waitcnt lgkmcnt(0)
	v_mov_b32_dpp v36, v34 row_shr:1 row_mask:0xf bank_mask:0xf
	v_cndmask_b32_e32 v36, 0, v36, vcc
	v_add_u32_e32 v34, v36, v34
	v_cmp_lt_u32_e32 vcc, 1, v35
	s_nop 0
	v_mov_b32_dpp v36, v34 row_shr:2 row_mask:0xf bank_mask:0xf
	v_cndmask_b32_e32 v36, 0, v36, vcc
	v_add_u32_e32 v34, v34, v36
	v_cmp_lt_u32_e32 vcc, 3, v35
	s_nop 0
	v_mov_b32_dpp v36, v34 row_shr:4 row_mask:0xf bank_mask:0xf
	v_cndmask_b32_e32 v35, 0, v36, vcc
	v_add_u32_e32 v34, v34, v35
	ds_write_b32 v17, v34
.LBB180_113:
	s_or_b64 exec, exec, s[0:1]
	v_cmp_lt_u32_e32 vcc, 63, v2
	v_mov_b32_e32 v17, 0
	s_waitcnt lgkmcnt(0)
	s_barrier
	s_and_saveexec_b64 s[0:1], vcc
; %bb.114:
	v_lshl_add_u32 v17, v33, 2, -4
	ds_read_b32 v17, v17
; %bb.115:
	s_or_b64 exec, exec, s[0:1]
	v_subrev_co_u32_e32 v33, vcc, 1, v6
	v_and_b32_e32 v34, 64, v6
	v_cmp_lt_i32_e64 s[0:1], v33, v34
	s_waitcnt lgkmcnt(0)
	v_add_u32_e32 v32, v17, v32
	s_movk_i32 s4, 0x100
	v_cndmask_b32_e64 v33, v33, v6, s[0:1]
	v_lshlrev_b32_e32 v33, 2, v33
	ds_bpermute_b32 v32, v33, v32
	s_movk_i32 s0, 0xff
	s_waitcnt lgkmcnt(0)
	v_cndmask_b32_e32 v17, v32, v17, vcc
	v_cmp_ne_u32_e32 vcc, 0, v2
	s_nop 1
	v_cndmask_b32_e32 v17, 0, v17, vcc
	v_add_u32_e32 v8, v17, v8
	v_add_u32_e32 v9, v8, v9
	;; [unrolled: 1-line block ×4, first 2 shown]
	ds_write2_b32 v15, v17, v8 offset0:8 offset1:9
	ds_write2_b32 v15, v9, v0 offset0:10 offset1:11
	ds_write_b32 v15, v1 offset:48
	s_waitcnt lgkmcnt(0)
	s_barrier
	ds_read_b32 v9, v18 offset:32
	ds_read_b32 v15, v21 offset:32
	;; [unrolled: 1-line block ×6, first 2 shown]
	v_cmp_lt_u32_e32 vcc, s0, v2
	v_cmp_gt_u32_e64 s[0:1], s4, v2
	v_mov_b64_e32 v[0:1], 0
                                        ; implicit-def: $vgpr8
	s_and_saveexec_b64 s[6:7], s[0:1]
	s_cbranch_execz .LBB180_119
; %bb.116:
	v_mul_u32_u24_e32 v0, 36, v2
	ds_read_b32 v0, v0 offset:32
	v_add_u32_e32 v8, 1, v2
	v_cmp_ne_u32_e64 s[4:5], s4, v8
	v_mov_b32_e32 v1, 0xc00
	s_and_saveexec_b64 s[8:9], s[4:5]
; %bb.117:
	v_mul_u32_u24_e32 v1, 36, v8
	ds_read_b32 v1, v1 offset:32
; %bb.118:
	s_or_b64 exec, exec, s[8:9]
	s_waitcnt lgkmcnt(0)
	v_sub_u32_e32 v8, v1, v0
	v_mov_b32_e32 v1, 0
.LBB180_119:
	s_or_b64 exec, exec, s[6:7]
	s_waitcnt lgkmcnt(5)
	v_add_u32_e32 v24, v9, v14
	s_waitcnt lgkmcnt(4)
	v_add3_u32 v21, v7, v16, v15
	s_waitcnt lgkmcnt(3)
	v_add3_u32 v18, v20, v19, v17
	;; [unrolled: 2-line block ×5, first 2 shown]
	s_barrier
	ds_write_b8 v24, v3 offset:2048
	ds_write_b8 v21, v5 offset:2048
	;; [unrolled: 1-line block ×6, first 2 shown]
	v_mov_b32_e32 v11, 0
	v_mov_b32_e32 v3, v11
	v_lshlrev_b32_e32 v5, 3, v2
	s_waitcnt lgkmcnt(0)
	s_barrier
	s_and_saveexec_b64 s[4:5], s[0:1]
	s_cbranch_execz .LBB180_129
; %bb.120:
	v_lshl_add_u32 v10, s2, 8, v2
	v_lshl_add_u64 v[12:13], v[10:11], 2, s[48:49]
	v_or_b32_e32 v7, 2.0, v8
	global_store_dword v[12:13], v7, off sc1
	s_mov_b64 s[6:7], 0
	s_brev_b32 s13, -4
	s_mov_b32 s14, s2
	v_mov_b32_e32 v7, 0
                                        ; implicit-def: $sgpr0_sgpr1
	s_branch .LBB180_123
.LBB180_121:                            ;   in Loop: Header=BB180_123 Depth=1
	s_or_b64 exec, exec, s[10:11]
.LBB180_122:                            ;   in Loop: Header=BB180_123 Depth=1
	s_or_b64 exec, exec, s[8:9]
	v_and_b32_e32 v14, 0x3fffffff, v10
	v_add_u32_e32 v7, v14, v7
	v_cmp_gt_i32_e64 s[0:1], -2.0, v10
	s_and_b64 s[8:9], exec, s[0:1]
	s_or_b64 s[6:7], s[8:9], s[6:7]
	s_andn2_b64 exec, exec, s[6:7]
	s_cbranch_execz .LBB180_128
.LBB180_123:                            ; =>This Loop Header: Depth=1
                                        ;     Child Loop BB180_126 Depth 2
	s_or_b64 s[0:1], s[0:1], exec
	s_cmp_eq_u32 s14, 0
	s_cbranch_scc1 .LBB180_127
; %bb.124:                              ;   in Loop: Header=BB180_123 Depth=1
	s_add_i32 s14, s14, -1
	v_lshl_or_b32 v10, s14, 8, v2
	v_lshl_add_u64 v[14:15], v[10:11], 2, s[48:49]
	global_load_dword v10, v[14:15], off sc1
	s_waitcnt vmcnt(0)
	v_cmp_gt_u32_e64 s[0:1], 2.0, v10
	s_and_saveexec_b64 s[8:9], s[0:1]
	s_cbranch_execz .LBB180_122
; %bb.125:                              ;   in Loop: Header=BB180_123 Depth=1
	s_mov_b64 s[10:11], 0
.LBB180_126:                            ;   Parent Loop BB180_123 Depth=1
                                        ; =>  This Inner Loop Header: Depth=2
	global_load_dword v10, v[14:15], off sc1
	s_waitcnt vmcnt(0)
	v_cmp_lt_u32_e64 s[0:1], s13, v10
	s_or_b64 s[10:11], s[0:1], s[10:11]
	s_andn2_b64 exec, exec, s[10:11]
	s_cbranch_execnz .LBB180_126
	s_branch .LBB180_121
.LBB180_127:                            ;   in Loop: Header=BB180_123 Depth=1
                                        ; implicit-def: $sgpr14
	s_and_b64 s[8:9], exec, s[0:1]
	s_or_b64 s[6:7], s[8:9], s[6:7]
	s_andn2_b64 exec, exec, s[6:7]
	s_cbranch_execnz .LBB180_123
.LBB180_128:
	s_or_b64 exec, exec, s[6:7]
	v_add_u32_e32 v11, v7, v8
	v_or_b32_e32 v11, 0x80000000, v11
	v_lshlrev_b32_e32 v10, 3, v2
	global_store_dword v[12:13], v11, off sc1
	global_load_dwordx2 v[10:11], v10, s[28:29]
	v_sub_co_u32_e64 v12, s[0:1], v7, v0
	s_nop 1
	v_subb_co_u32_e64 v13, s[0:1], 0, v1, s[0:1]
	s_waitcnt vmcnt(0)
	v_lshl_add_u64 v[10:11], v[12:13], 0, v[10:11]
	ds_write_b64 v5, v[10:11]
.LBB180_129:
	s_or_b64 exec, exec, s[4:5]
	s_lshl_b64 s[0:1], s[34:35], 3
	s_add_u32 s0, s40, s0
	s_addc_u32 s1, s41, s1
	v_lshlrev_b32_e32 v6, 3, v6
	v_mov_b32_e32 v7, 0
	v_lshl_add_u64 v[10:11], s[0:1], 0, v[6:7]
	v_lshlrev_b32_e32 v6, 3, v4
	v_lshl_add_u64 v[10:11], v[10:11], 0, v[6:7]
	s_waitcnt lgkmcnt(0)
	s_barrier
	global_load_dwordx2 v[12:13], v[10:11], off
	global_load_dwordx2 v[14:15], v[10:11], off offset:512
	global_load_dwordx2 v[22:23], v[10:11], off offset:1024
	;; [unrolled: 1-line block ×5, first 2 shown]
	ds_read_u8 v4, v2 offset:2048
	ds_read_u8 v6, v2 offset:2560
	ds_read_u8 v34, v2 offset:3072
	ds_read_u8 v35, v2 offset:3584
	ds_read_u8 v36, v2 offset:4096
	ds_read_u8 v37, v2 offset:4608
	s_waitcnt lgkmcnt(5)
	v_and_b32_e32 v10, 1, v4
	v_lshlrev_b32_e32 v40, 3, v18
	v_lshlrev_b32_e32 v41, 3, v17
	v_lshlrev_b32_e32 v42, 3, v16
	s_waitcnt lgkmcnt(4)
	v_and_b32_e32 v11, 1, v6
	s_waitcnt lgkmcnt(3)
	v_and_b32_e32 v16, 1, v34
	;; [unrolled: 2-line block ×5, first 2 shown]
	v_lshrrev_b32_e32 v10, s44, v10
	v_lshrrev_b32_e32 v11, s44, v11
	v_lshrrev_b32_e32 v16, s44, v16
	v_lshrrev_b32_e32 v17, s44, v17
	v_lshrrev_b32_e32 v18, s44, v18
	v_lshrrev_b32_e32 v19, s44, v19
	v_and_b32_e32 v10, s12, v10
	v_and_b32_e32 v11, s12, v11
	;; [unrolled: 1-line block ×6, first 2 shown]
	v_lshlrev_b32_e32 v43, 3, v10
	v_lshlrev_b32_e32 v38, 3, v24
	;; [unrolled: 1-line block ×8, first 2 shown]
	ds_read_b64 v[10:11], v43
	ds_read_b64 v[16:17], v44
	;; [unrolled: 1-line block ×6, first 2 shown]
	s_waitcnt lgkmcnt(5)
	v_lshl_add_u64 v[10:11], s[38:39], 0, v[10:11]
	s_waitcnt lgkmcnt(4)
	v_lshl_add_u64 v[16:17], s[38:39], 0, v[16:17]
	;; [unrolled: 2-line block ×6, first 2 shown]
	v_lshl_add_u64 v[10:11], v[10:11], 0, v[2:3]
	v_lshl_add_u64 v[16:17], v[16:17], 0, v[2:3]
	;; [unrolled: 1-line block ×4, first 2 shown]
	v_lshlrev_b32_e32 v9, 3, v9
	v_lshl_add_u64 v[24:25], v[24:25], 0, v[2:3]
	v_lshl_add_u64 v[32:33], v[32:33], 0, v[2:3]
	global_store_byte v[10:11], v4, off
	global_store_byte v[16:17], v6, off offset:512
	global_store_byte v[18:19], v34, off offset:1024
	global_store_byte v[20:21], v35, off offset:1536
	global_store_byte v[24:25], v36, off offset:2048
	global_store_byte v[32:33], v37, off offset:2560
	s_barrier
	v_mad_u32_u24 v4, v2, 7, v2
	v_lshlrev_b32_e32 v6, 3, v2
	s_add_i32 s3, s3, -1
	s_cmp_eq_u32 s2, s3
	s_cselect_b64 s[0:1], -1, 0
	s_xor_b64 s[2:3], vcc, -1
	s_and_b64 s[0:1], s[2:3], s[0:1]
	s_waitcnt vmcnt(11)
	ds_write_b64 v38, v[12:13] offset:2048
	s_waitcnt vmcnt(10)
	ds_write_b64 v39, v[14:15] offset:2048
	;; [unrolled: 2-line block ×6, first 2 shown]
	s_waitcnt lgkmcnt(0)
	s_barrier
	ds_read_b64 v[14:15], v43
	ds_read2st64_b64 v[10:13], v4 offset0:4 offset1:12
	ds_read_b64 v[16:17], v44
	ds_read_b64 v[18:19], v45
	;; [unrolled: 1-line block ×3, first 2 shown]
	s_waitcnt lgkmcnt(4)
	v_lshl_add_u64 v[14:15], v[14:15], 3, s[42:43]
	v_lshl_add_u64 v[2:3], v[14:15], 0, v[6:7]
	s_waitcnt lgkmcnt(3)
	global_store_dwordx2 v[2:3], v[10:11], off
	s_waitcnt lgkmcnt(2)
	v_lshl_add_u64 v[2:3], v[16:17], 3, s[42:43]
	v_add_u32_e32 v10, 0x1000, v5
	v_mov_b32_e32 v11, v7
	v_lshl_add_u64 v[2:3], v[2:3], 0, v[10:11]
	global_store_dwordx2 v[2:3], v[12:13], off
	ds_read2st64_b64 v[10:13], v4 offset0:20 offset1:28
	s_waitcnt lgkmcnt(2)
	v_lshl_add_u64 v[2:3], v[18:19], 3, s[42:43]
	v_or_b32_e32 v14, 0x2000, v5
	v_mov_b32_e32 v15, v7
	v_lshl_add_u64 v[2:3], v[2:3], 0, v[14:15]
	s_waitcnt lgkmcnt(0)
	global_store_dwordx2 v[2:3], v[10:11], off
	v_lshl_add_u64 v[2:3], v[20:21], 3, s[42:43]
	v_add_u32_e32 v10, 0x3000, v5
	v_mov_b32_e32 v11, v7
	ds_read_b64 v[14:15], v47
	v_lshl_add_u64 v[2:3], v[2:3], 0, v[10:11]
	global_store_dwordx2 v[2:3], v[12:13], off
	ds_read2st64_b64 v[10:13], v4 offset0:36 offset1:44
	ds_read_b64 v[2:3], v48
	v_or_b32_e32 v16, 0x4000, v5
	s_waitcnt lgkmcnt(2)
	v_lshl_add_u64 v[14:15], v[14:15], 3, s[42:43]
	v_mov_b32_e32 v17, v7
	v_lshl_add_u64 v[14:15], v[14:15], 0, v[16:17]
	s_waitcnt lgkmcnt(1)
	global_store_dwordx2 v[14:15], v[10:11], off
	s_waitcnt lgkmcnt(0)
	v_lshl_add_u64 v[2:3], v[2:3], 3, s[42:43]
	v_add_u32_e32 v10, 0x5000, v5
	v_mov_b32_e32 v11, v7
	v_lshl_add_u64 v[2:3], v[2:3], 0, v[10:11]
	global_store_dwordx2 v[2:3], v[12:13], off
	s_and_saveexec_b64 s[2:3], s[0:1]
	s_cbranch_execz .LBB180_131
; %bb.130:
	ds_read_b64 v[2:3], v5
	v_mov_b32_e32 v9, v7
	v_lshl_add_u64 v[0:1], v[0:1], 0, v[8:9]
	s_waitcnt lgkmcnt(0)
	v_lshl_add_u64 v[0:1], v[0:1], 0, v[2:3]
	global_store_dwordx2 v6, v[0:1], s[30:31]
.LBB180_131:
	s_endpgm
	.section	.rodata,"a",@progbits
	.p2align	6, 0x0
	.amdhsa_kernel _ZN7rocprim17ROCPRIM_304000_NS6detail25onesweep_iteration_kernelINS1_34wrapped_radix_sort_onesweep_configINS0_14default_configEbN2at4cuda3cub6detail10OpaqueTypeILi8EEEEELb0EPKbPbPKSA_PSA_mNS0_19identity_decomposerEEEvT1_T2_T3_T4_jPT5_SO_PNS1_23onesweep_lookback_stateET6_jjj
		.amdhsa_group_segment_fixed_size 26624
		.amdhsa_private_segment_fixed_size 0
		.amdhsa_kernarg_size 336
		.amdhsa_user_sgpr_count 2
		.amdhsa_user_sgpr_dispatch_ptr 0
		.amdhsa_user_sgpr_queue_ptr 0
		.amdhsa_user_sgpr_kernarg_segment_ptr 1
		.amdhsa_user_sgpr_dispatch_id 0
		.amdhsa_user_sgpr_kernarg_preload_length 0
		.amdhsa_user_sgpr_kernarg_preload_offset 0
		.amdhsa_user_sgpr_private_segment_size 0
		.amdhsa_uses_dynamic_stack 0
		.amdhsa_enable_private_segment 0
		.amdhsa_system_sgpr_workgroup_id_x 1
		.amdhsa_system_sgpr_workgroup_id_y 0
		.amdhsa_system_sgpr_workgroup_id_z 0
		.amdhsa_system_sgpr_workgroup_info 0
		.amdhsa_system_vgpr_workitem_id 2
		.amdhsa_next_free_vgpr 49
		.amdhsa_next_free_sgpr 50
		.amdhsa_accum_offset 52
		.amdhsa_reserve_vcc 1
		.amdhsa_float_round_mode_32 0
		.amdhsa_float_round_mode_16_64 0
		.amdhsa_float_denorm_mode_32 3
		.amdhsa_float_denorm_mode_16_64 3
		.amdhsa_dx10_clamp 1
		.amdhsa_ieee_mode 1
		.amdhsa_fp16_overflow 0
		.amdhsa_tg_split 0
		.amdhsa_exception_fp_ieee_invalid_op 0
		.amdhsa_exception_fp_denorm_src 0
		.amdhsa_exception_fp_ieee_div_zero 0
		.amdhsa_exception_fp_ieee_overflow 0
		.amdhsa_exception_fp_ieee_underflow 0
		.amdhsa_exception_fp_ieee_inexact 0
		.amdhsa_exception_int_div_zero 0
	.end_amdhsa_kernel
	.section	.text._ZN7rocprim17ROCPRIM_304000_NS6detail25onesweep_iteration_kernelINS1_34wrapped_radix_sort_onesweep_configINS0_14default_configEbN2at4cuda3cub6detail10OpaqueTypeILi8EEEEELb0EPKbPbPKSA_PSA_mNS0_19identity_decomposerEEEvT1_T2_T3_T4_jPT5_SO_PNS1_23onesweep_lookback_stateET6_jjj,"axG",@progbits,_ZN7rocprim17ROCPRIM_304000_NS6detail25onesweep_iteration_kernelINS1_34wrapped_radix_sort_onesweep_configINS0_14default_configEbN2at4cuda3cub6detail10OpaqueTypeILi8EEEEELb0EPKbPbPKSA_PSA_mNS0_19identity_decomposerEEEvT1_T2_T3_T4_jPT5_SO_PNS1_23onesweep_lookback_stateET6_jjj,comdat
.Lfunc_end180:
	.size	_ZN7rocprim17ROCPRIM_304000_NS6detail25onesweep_iteration_kernelINS1_34wrapped_radix_sort_onesweep_configINS0_14default_configEbN2at4cuda3cub6detail10OpaqueTypeILi8EEEEELb0EPKbPbPKSA_PSA_mNS0_19identity_decomposerEEEvT1_T2_T3_T4_jPT5_SO_PNS1_23onesweep_lookback_stateET6_jjj, .Lfunc_end180-_ZN7rocprim17ROCPRIM_304000_NS6detail25onesweep_iteration_kernelINS1_34wrapped_radix_sort_onesweep_configINS0_14default_configEbN2at4cuda3cub6detail10OpaqueTypeILi8EEEEELb0EPKbPbPKSA_PSA_mNS0_19identity_decomposerEEEvT1_T2_T3_T4_jPT5_SO_PNS1_23onesweep_lookback_stateET6_jjj
                                        ; -- End function
	.set _ZN7rocprim17ROCPRIM_304000_NS6detail25onesweep_iteration_kernelINS1_34wrapped_radix_sort_onesweep_configINS0_14default_configEbN2at4cuda3cub6detail10OpaqueTypeILi8EEEEELb0EPKbPbPKSA_PSA_mNS0_19identity_decomposerEEEvT1_T2_T3_T4_jPT5_SO_PNS1_23onesweep_lookback_stateET6_jjj.num_vgpr, 49
	.set _ZN7rocprim17ROCPRIM_304000_NS6detail25onesweep_iteration_kernelINS1_34wrapped_radix_sort_onesweep_configINS0_14default_configEbN2at4cuda3cub6detail10OpaqueTypeILi8EEEEELb0EPKbPbPKSA_PSA_mNS0_19identity_decomposerEEEvT1_T2_T3_T4_jPT5_SO_PNS1_23onesweep_lookback_stateET6_jjj.num_agpr, 0
	.set _ZN7rocprim17ROCPRIM_304000_NS6detail25onesweep_iteration_kernelINS1_34wrapped_radix_sort_onesweep_configINS0_14default_configEbN2at4cuda3cub6detail10OpaqueTypeILi8EEEEELb0EPKbPbPKSA_PSA_mNS0_19identity_decomposerEEEvT1_T2_T3_T4_jPT5_SO_PNS1_23onesweep_lookback_stateET6_jjj.numbered_sgpr, 50
	.set _ZN7rocprim17ROCPRIM_304000_NS6detail25onesweep_iteration_kernelINS1_34wrapped_radix_sort_onesweep_configINS0_14default_configEbN2at4cuda3cub6detail10OpaqueTypeILi8EEEEELb0EPKbPbPKSA_PSA_mNS0_19identity_decomposerEEEvT1_T2_T3_T4_jPT5_SO_PNS1_23onesweep_lookback_stateET6_jjj.num_named_barrier, 0
	.set _ZN7rocprim17ROCPRIM_304000_NS6detail25onesweep_iteration_kernelINS1_34wrapped_radix_sort_onesweep_configINS0_14default_configEbN2at4cuda3cub6detail10OpaqueTypeILi8EEEEELb0EPKbPbPKSA_PSA_mNS0_19identity_decomposerEEEvT1_T2_T3_T4_jPT5_SO_PNS1_23onesweep_lookback_stateET6_jjj.private_seg_size, 0
	.set _ZN7rocprim17ROCPRIM_304000_NS6detail25onesweep_iteration_kernelINS1_34wrapped_radix_sort_onesweep_configINS0_14default_configEbN2at4cuda3cub6detail10OpaqueTypeILi8EEEEELb0EPKbPbPKSA_PSA_mNS0_19identity_decomposerEEEvT1_T2_T3_T4_jPT5_SO_PNS1_23onesweep_lookback_stateET6_jjj.uses_vcc, 1
	.set _ZN7rocprim17ROCPRIM_304000_NS6detail25onesweep_iteration_kernelINS1_34wrapped_radix_sort_onesweep_configINS0_14default_configEbN2at4cuda3cub6detail10OpaqueTypeILi8EEEEELb0EPKbPbPKSA_PSA_mNS0_19identity_decomposerEEEvT1_T2_T3_T4_jPT5_SO_PNS1_23onesweep_lookback_stateET6_jjj.uses_flat_scratch, 0
	.set _ZN7rocprim17ROCPRIM_304000_NS6detail25onesweep_iteration_kernelINS1_34wrapped_radix_sort_onesweep_configINS0_14default_configEbN2at4cuda3cub6detail10OpaqueTypeILi8EEEEELb0EPKbPbPKSA_PSA_mNS0_19identity_decomposerEEEvT1_T2_T3_T4_jPT5_SO_PNS1_23onesweep_lookback_stateET6_jjj.has_dyn_sized_stack, 0
	.set _ZN7rocprim17ROCPRIM_304000_NS6detail25onesweep_iteration_kernelINS1_34wrapped_radix_sort_onesweep_configINS0_14default_configEbN2at4cuda3cub6detail10OpaqueTypeILi8EEEEELb0EPKbPbPKSA_PSA_mNS0_19identity_decomposerEEEvT1_T2_T3_T4_jPT5_SO_PNS1_23onesweep_lookback_stateET6_jjj.has_recursion, 0
	.set _ZN7rocprim17ROCPRIM_304000_NS6detail25onesweep_iteration_kernelINS1_34wrapped_radix_sort_onesweep_configINS0_14default_configEbN2at4cuda3cub6detail10OpaqueTypeILi8EEEEELb0EPKbPbPKSA_PSA_mNS0_19identity_decomposerEEEvT1_T2_T3_T4_jPT5_SO_PNS1_23onesweep_lookback_stateET6_jjj.has_indirect_call, 0
	.section	.AMDGPU.csdata,"",@progbits
; Kernel info:
; codeLenInByte = 7532
; TotalNumSgprs: 56
; NumVgprs: 49
; NumAgprs: 0
; TotalNumVgprs: 49
; ScratchSize: 0
; MemoryBound: 0
; FloatMode: 240
; IeeeMode: 1
; LDSByteSize: 26624 bytes/workgroup (compile time only)
; SGPRBlocks: 6
; VGPRBlocks: 6
; NumSGPRsForWavesPerEU: 56
; NumVGPRsForWavesPerEU: 49
; AccumOffset: 52
; Occupancy: 8
; WaveLimiterHint : 1
; COMPUTE_PGM_RSRC2:SCRATCH_EN: 0
; COMPUTE_PGM_RSRC2:USER_SGPR: 2
; COMPUTE_PGM_RSRC2:TRAP_HANDLER: 0
; COMPUTE_PGM_RSRC2:TGID_X_EN: 1
; COMPUTE_PGM_RSRC2:TGID_Y_EN: 0
; COMPUTE_PGM_RSRC2:TGID_Z_EN: 0
; COMPUTE_PGM_RSRC2:TIDIG_COMP_CNT: 2
; COMPUTE_PGM_RSRC3_GFX90A:ACCUM_OFFSET: 12
; COMPUTE_PGM_RSRC3_GFX90A:TG_SPLIT: 0
	.section	.text._ZN7rocprim17ROCPRIM_304000_NS6detail25onesweep_iteration_kernelINS1_34wrapped_radix_sort_onesweep_configINS0_14default_configEbN2at4cuda3cub6detail10OpaqueTypeILi8EEEEELb0EPbSC_PSA_SD_mNS0_19identity_decomposerEEEvT1_T2_T3_T4_jPT5_SK_PNS1_23onesweep_lookback_stateET6_jjj,"axG",@progbits,_ZN7rocprim17ROCPRIM_304000_NS6detail25onesweep_iteration_kernelINS1_34wrapped_radix_sort_onesweep_configINS0_14default_configEbN2at4cuda3cub6detail10OpaqueTypeILi8EEEEELb0EPbSC_PSA_SD_mNS0_19identity_decomposerEEEvT1_T2_T3_T4_jPT5_SK_PNS1_23onesweep_lookback_stateET6_jjj,comdat
	.protected	_ZN7rocprim17ROCPRIM_304000_NS6detail25onesweep_iteration_kernelINS1_34wrapped_radix_sort_onesweep_configINS0_14default_configEbN2at4cuda3cub6detail10OpaqueTypeILi8EEEEELb0EPbSC_PSA_SD_mNS0_19identity_decomposerEEEvT1_T2_T3_T4_jPT5_SK_PNS1_23onesweep_lookback_stateET6_jjj ; -- Begin function _ZN7rocprim17ROCPRIM_304000_NS6detail25onesweep_iteration_kernelINS1_34wrapped_radix_sort_onesweep_configINS0_14default_configEbN2at4cuda3cub6detail10OpaqueTypeILi8EEEEELb0EPbSC_PSA_SD_mNS0_19identity_decomposerEEEvT1_T2_T3_T4_jPT5_SK_PNS1_23onesweep_lookback_stateET6_jjj
	.globl	_ZN7rocprim17ROCPRIM_304000_NS6detail25onesweep_iteration_kernelINS1_34wrapped_radix_sort_onesweep_configINS0_14default_configEbN2at4cuda3cub6detail10OpaqueTypeILi8EEEEELb0EPbSC_PSA_SD_mNS0_19identity_decomposerEEEvT1_T2_T3_T4_jPT5_SK_PNS1_23onesweep_lookback_stateET6_jjj
	.p2align	8
	.type	_ZN7rocprim17ROCPRIM_304000_NS6detail25onesweep_iteration_kernelINS1_34wrapped_radix_sort_onesweep_configINS0_14default_configEbN2at4cuda3cub6detail10OpaqueTypeILi8EEEEELb0EPbSC_PSA_SD_mNS0_19identity_decomposerEEEvT1_T2_T3_T4_jPT5_SK_PNS1_23onesweep_lookback_stateET6_jjj,@function
_ZN7rocprim17ROCPRIM_304000_NS6detail25onesweep_iteration_kernelINS1_34wrapped_radix_sort_onesweep_configINS0_14default_configEbN2at4cuda3cub6detail10OpaqueTypeILi8EEEEELb0EPbSC_PSA_SD_mNS0_19identity_decomposerEEEvT1_T2_T3_T4_jPT5_SK_PNS1_23onesweep_lookback_stateET6_jjj: ; @_ZN7rocprim17ROCPRIM_304000_NS6detail25onesweep_iteration_kernelINS1_34wrapped_radix_sort_onesweep_configINS0_14default_configEbN2at4cuda3cub6detail10OpaqueTypeILi8EEEEELb0EPbSC_PSA_SD_mNS0_19identity_decomposerEEEvT1_T2_T3_T4_jPT5_SK_PNS1_23onesweep_lookback_stateET6_jjj
; %bb.0:
	s_load_dwordx4 s[44:47], s[0:1], 0x44
	s_load_dwordx8 s[36:43], s[0:1], 0x0
	s_load_dwordx4 s[28:31], s[0:1], 0x28
	s_load_dwordx2 s[48:49], s[0:1], 0x38
	s_mov_b64 s[4:5], -1
	s_waitcnt lgkmcnt(0)
	s_cmp_ge_u32 s2, s46
	s_mul_i32 s34, s2, 0xc00
	v_mbcnt_lo_u32_b32 v1, -1, 0
	s_cbranch_scc0 .LBB181_96
; %bb.1:
	s_load_dword s3, s[0:1], 0x20
	s_mulk_i32 s46, 0xf400
	v_and_b32_e32 v15, 0x1c0, v0
	v_mbcnt_hi_u32_b32 v6, -1, v1
	v_mul_u32_u24_e32 v4, 6, v15
	s_waitcnt lgkmcnt(0)
	s_add_i32 s46, s46, s3
	s_add_u32 s4, s36, s34
	s_addc_u32 s5, s37, 0
	v_mov_b32_e32 v7, 0
	v_lshl_add_u64 v[2:3], s[4:5], 0, v[6:7]
	v_mov_b32_e32 v5, v7
	v_or_b32_e32 v11, v6, v4
	s_mov_b32 s35, 0
	v_lshl_add_u64 v[8:9], v[2:3], 0, v[4:5]
	v_cmp_gt_u32_e32 vcc, s46, v11
	v_mov_b32_e32 v10, 1
	v_mov_b32_e32 v3, 1
	;; [unrolled: 1-line block ×3, first 2 shown]
	s_and_saveexec_b64 s[4:5], vcc
	s_cbranch_execz .LBB181_3
; %bb.2:
	global_load_ubyte v5, v[8:9], off
	s_waitcnt vmcnt(0)
	v_and_b32_e32 v10, 1, v5
.LBB181_3:
	s_or_b64 exec, exec, s[4:5]
	v_add_u32_e32 v2, 64, v11
	v_cmp_gt_u32_e64 s[26:27], s46, v2
	v_mov_b32_e32 v18, 1
	s_and_saveexec_b64 s[4:5], s[26:27]
	s_cbranch_execz .LBB181_5
; %bb.4:
	global_load_ubyte v3, v[8:9], off offset:64
	s_waitcnt vmcnt(0)
	v_and_b32_e32 v18, 1, v3
.LBB181_5:
	s_or_b64 exec, exec, s[4:5]
	v_add_u32_e32 v2, 0x80, v11
	v_cmp_gt_u32_e64 s[4:5], s46, v2
	v_mov_b32_e32 v21, 1
	v_mov_b32_e32 v7, 1
	;; [unrolled: 1-line block ×3, first 2 shown]
	s_and_saveexec_b64 s[6:7], s[4:5]
	s_cbranch_execz .LBB181_7
; %bb.6:
	global_load_ubyte v12, v[8:9], off offset:128
	s_waitcnt vmcnt(0)
	v_and_b32_e32 v21, 1, v12
.LBB181_7:
	s_or_b64 exec, exec, s[6:7]
	v_add_u32_e32 v2, 0xc0, v11
	v_cmp_gt_u32_e64 s[6:7], s46, v2
	v_mov_b32_e32 v24, 1
	s_and_saveexec_b64 s[8:9], s[6:7]
	s_cbranch_execz .LBB181_9
; %bb.8:
	global_load_ubyte v7, v[8:9], off offset:192
	s_waitcnt vmcnt(0)
	v_and_b32_e32 v24, 1, v7
.LBB181_9:
	s_or_b64 exec, exec, s[8:9]
	v_add_u32_e32 v2, 0x100, v11
	v_cmp_gt_u32_e64 s[8:9], s46, v2
	v_mov_b32_e32 v27, 1
	v_mov_b32_e32 v13, 1
	v_mov_b32_e32 v14, 1
	s_and_saveexec_b64 s[10:11], s[8:9]
	s_cbranch_execz .LBB181_11
; %bb.10:
	global_load_ubyte v14, v[8:9], off offset:256
	s_waitcnt vmcnt(0)
	v_and_b32_e32 v27, 1, v14
.LBB181_11:
	s_or_b64 exec, exec, s[10:11]
	v_add_u32_e32 v11, 0x140, v11
	v_and_b32_e32 v2, 0x3ff, v0
	v_cmp_gt_u32_e64 s[10:11], s46, v11
	v_mov_b32_e32 v25, 1
	s_and_saveexec_b64 s[12:13], s[10:11]
	s_cbranch_execz .LBB181_13
; %bb.12:
	global_load_ubyte v13, v[8:9], off offset:320
	s_waitcnt vmcnt(0)
	v_and_b32_e32 v25, 1, v13
.LBB181_13:
	s_or_b64 exec, exec, s[12:13]
	s_load_dword s12, s[0:1], 0x5c
	s_load_dword s3, s[0:1], 0x50
	s_add_u32 s13, s0, 0x50
	s_addc_u32 s14, s1, 0
	v_mov_b32_e32 v9, 0
	s_waitcnt lgkmcnt(0)
	s_lshr_b32 s15, s12, 16
	s_cmp_lt_u32 s2, s3
	s_cselect_b32 s12, 12, 18
	s_add_u32 s12, s13, s12
	s_addc_u32 s13, s14, 0
	global_load_ushort v19, v9, s[12:13]
	v_bfe_u32 v8, v0, 10, 10
	v_bfe_u32 v11, v0, 20, 10
	v_lshrrev_b32_e32 v10, s44, v10
	s_lshl_b32 s12, -1, s45
	v_mad_u32_u24 v20, v11, s15, v8
	v_bitop3_b32 v8, v10, s12, v10 bitop3:0x30
	s_not_b32 s33, s12
	v_cmp_ne_u32_e64 s[12:13], 0, v8
	v_lshl_add_u64 v[10:11], v[8:9], 0, -1
	v_mul_u32_u24_e32 v26, 36, v8
	v_xor_b32_e32 v10, s12, v10
	v_xor_b32_e32 v8, s13, v11
	v_and_b32_e32 v10, exec_lo, v10
	v_and_b32_e32 v11, exec_hi, v8
	v_mbcnt_lo_u32_b32 v8, v10, 0
	v_mbcnt_hi_u32_b32 v16, v11, v8
	v_cmp_ne_u64_e64 s[12:13], 0, v[10:11]
	v_cmp_eq_u32_e64 s[14:15], 0, v16
	v_mul_u32_u24_e32 v17, 20, v2
	s_and_b64 s[14:15], s[12:13], s[14:15]
	ds_write2_b32 v17, v9, v9 offset0:8 offset1:9
	ds_write2_b32 v17, v9, v9 offset0:10 offset1:11
	ds_write_b32 v17, v9 offset:48
	s_waitcnt lgkmcnt(0)
	s_barrier
	s_waitcnt vmcnt(0)
	; wave barrier
	v_mad_u64_u32 v[22:23], s[16:17], v20, v19, v[2:3]
	v_lshrrev_b32_e32 v8, 4, v22
	v_and_b32_e32 v33, 0xffffffc, v8
	v_add_u32_e32 v20, v33, v26
	s_and_saveexec_b64 s[12:13], s[14:15]
; %bb.14:
	v_bcnt_u32_b32 v8, v10, 0
	v_bcnt_u32_b32 v8, v11, v8
	ds_write_b32 v20, v8 offset:32
; %bb.15:
	s_or_b64 exec, exec, s[12:13]
	v_lshrrev_b32_e32 v8, s44, v18
	v_and_b32_e32 v8, s33, v8
	v_mul_u32_u24_e32 v10, 36, v8
	v_mad_u32_u24 v11, v8, 36, v33
	v_cmp_ne_u32_e64 s[12:13], 0, v8
	v_lshl_add_u64 v[8:9], v[8:9], 0, -1
	s_nop 0
	v_xor_b32_e32 v8, s12, v8
	; wave barrier
	ds_read_b32 v18, v11 offset:32
	v_xor_b32_e32 v9, s13, v9
	v_and_b32_e32 v8, exec_lo, v8
	v_and_b32_e32 v9, exec_hi, v9
	v_mbcnt_lo_u32_b32 v11, v8, 0
	v_mbcnt_hi_u32_b32 v19, v9, v11
	v_cmp_eq_u32_e64 s[12:13], 0, v19
	v_cmp_ne_u64_e64 s[14:15], 0, v[8:9]
	s_and_b64 s[14:15], s[14:15], s[12:13]
	v_add_u32_e32 v23, v33, v10
	; wave barrier
	s_and_saveexec_b64 s[12:13], s[14:15]
	s_cbranch_execz .LBB181_17
; %bb.16:
	v_bcnt_u32_b32 v8, v8, 0
	v_bcnt_u32_b32 v8, v9, v8
	s_waitcnt lgkmcnt(0)
	v_add_u32_e32 v8, v18, v8
	ds_write_b32 v23, v8 offset:32
.LBB181_17:
	s_or_b64 exec, exec, s[12:13]
	v_lshrrev_b32_e32 v8, s44, v21
	v_and_b32_e32 v8, s33, v8
	v_mad_u32_u24 v9, v8, 36, v33
	; wave barrier
	ds_read_b32 v21, v9 offset:32
	v_mov_b32_e32 v9, 0
	v_cmp_ne_u32_e64 s[12:13], 0, v8
	v_lshl_add_u64 v[10:11], v[8:9], 0, -1
	v_mul_u32_u24_e32 v26, 36, v8
	v_xor_b32_e32 v10, s12, v10
	v_xor_b32_e32 v8, s13, v11
	v_and_b32_e32 v10, exec_lo, v10
	v_and_b32_e32 v11, exec_hi, v8
	v_mbcnt_lo_u32_b32 v8, v10, 0
	v_mbcnt_hi_u32_b32 v22, v11, v8
	v_cmp_eq_u32_e64 s[12:13], 0, v22
	v_cmp_ne_u64_e64 s[14:15], 0, v[10:11]
	s_and_b64 s[14:15], s[14:15], s[12:13]
	v_add_u32_e32 v26, v33, v26
	; wave barrier
	s_and_saveexec_b64 s[12:13], s[14:15]
	s_cbranch_execz .LBB181_19
; %bb.18:
	v_bcnt_u32_b32 v8, v10, 0
	v_bcnt_u32_b32 v8, v11, v8
	s_waitcnt lgkmcnt(0)
	v_add_u32_e32 v8, v21, v8
	ds_write_b32 v26, v8 offset:32
.LBB181_19:
	s_or_b64 exec, exec, s[12:13]
	v_lshrrev_b32_e32 v8, s44, v24
	v_and_b32_e32 v8, s33, v8
	v_mul_u32_u24_e32 v10, 36, v8
	v_mad_u32_u24 v11, v8, 36, v33
	v_cmp_ne_u32_e64 s[12:13], 0, v8
	v_lshl_add_u64 v[8:9], v[8:9], 0, -1
	s_nop 0
	v_xor_b32_e32 v8, s12, v8
	; wave barrier
	ds_read_b32 v24, v11 offset:32
	v_xor_b32_e32 v9, s13, v9
	v_and_b32_e32 v8, exec_lo, v8
	v_and_b32_e32 v9, exec_hi, v9
	v_mbcnt_lo_u32_b32 v11, v8, 0
	v_mbcnt_hi_u32_b32 v28, v9, v11
	v_cmp_eq_u32_e64 s[12:13], 0, v28
	v_cmp_ne_u64_e64 s[14:15], 0, v[8:9]
	s_and_b64 s[14:15], s[14:15], s[12:13]
	v_add_u32_e32 v31, v33, v10
	; wave barrier
	s_and_saveexec_b64 s[12:13], s[14:15]
	s_cbranch_execz .LBB181_21
; %bb.20:
	v_bcnt_u32_b32 v8, v8, 0
	v_bcnt_u32_b32 v8, v9, v8
	s_waitcnt lgkmcnt(0)
	v_add_u32_e32 v8, v24, v8
	ds_write_b32 v31, v8 offset:32
.LBB181_21:
	s_or_b64 exec, exec, s[12:13]
	v_lshrrev_b32_e32 v8, s44, v27
	v_and_b32_e32 v8, s33, v8
	v_mad_u32_u24 v9, v8, 36, v33
	; wave barrier
	ds_read_b32 v29, v9 offset:32
	v_mov_b32_e32 v9, 0
	v_cmp_ne_u32_e64 s[12:13], 0, v8
	v_lshl_add_u64 v[10:11], v[8:9], 0, -1
	v_mul_u32_u24_e32 v27, 36, v8
	v_xor_b32_e32 v10, s12, v10
	v_xor_b32_e32 v8, s13, v11
	v_and_b32_e32 v10, exec_lo, v10
	v_and_b32_e32 v11, exec_hi, v8
	v_mbcnt_lo_u32_b32 v8, v10, 0
	v_mbcnt_hi_u32_b32 v30, v11, v8
	v_cmp_eq_u32_e64 s[12:13], 0, v30
	v_cmp_ne_u64_e64 s[14:15], 0, v[10:11]
	s_and_b64 s[14:15], s[14:15], s[12:13]
	v_add_u32_e32 v27, v33, v27
	; wave barrier
	s_and_saveexec_b64 s[12:13], s[14:15]
	s_cbranch_execz .LBB181_23
; %bb.22:
	v_bcnt_u32_b32 v8, v10, 0
	v_bcnt_u32_b32 v8, v11, v8
	s_waitcnt lgkmcnt(0)
	v_add_u32_e32 v8, v29, v8
	ds_write_b32 v27, v8 offset:32
.LBB181_23:
	s_or_b64 exec, exec, s[12:13]
	v_lshrrev_b32_e32 v8, s44, v25
	v_and_b32_e32 v8, s33, v8
	v_mul_u32_u24_e32 v10, 36, v8
	v_mad_u32_u24 v11, v8, 36, v33
	v_cmp_ne_u32_e64 s[12:13], 0, v8
	v_lshl_add_u64 v[8:9], v[8:9], 0, -1
	s_nop 0
	v_xor_b32_e32 v8, s12, v8
	; wave barrier
	ds_read_b32 v32, v11 offset:32
	v_xor_b32_e32 v9, s13, v9
	v_and_b32_e32 v8, exec_lo, v8
	v_and_b32_e32 v9, exec_hi, v9
	v_mbcnt_lo_u32_b32 v11, v8, 0
	v_mbcnt_hi_u32_b32 v34, v9, v11
	v_cmp_eq_u32_e64 s[12:13], 0, v34
	v_cmp_ne_u64_e64 s[14:15], 0, v[8:9]
	s_and_b64 s[14:15], s[14:15], s[12:13]
	v_add_u32_e32 v25, v33, v10
	; wave barrier
	s_and_saveexec_b64 s[12:13], s[14:15]
	s_cbranch_execz .LBB181_25
; %bb.24:
	v_bcnt_u32_b32 v8, v8, 0
	v_bcnt_u32_b32 v8, v9, v8
	s_waitcnt lgkmcnt(0)
	v_add_u32_e32 v8, v32, v8
	ds_write_b32 v25, v8 offset:32
.LBB181_25:
	s_or_b64 exec, exec, s[12:13]
	; wave barrier
	s_waitcnt lgkmcnt(0)
	s_barrier
	ds_read2_b32 v[10:11], v17 offset0:8 offset1:9
	ds_read2_b32 v[8:9], v17 offset0:10 offset1:11
	ds_read_b32 v33, v17 offset:48
	v_min_u32_e32 v15, 0x1c0, v15
	v_or_b32_e32 v15, 63, v15
	s_waitcnt lgkmcnt(1)
	v_add3_u32 v35, v11, v10, v8
	s_waitcnt lgkmcnt(0)
	v_add3_u32 v33, v35, v9, v33
	v_and_b32_e32 v35, 15, v6
	v_cmp_ne_u32_e64 s[12:13], 0, v35
	v_mov_b32_dpp v36, v33 row_shr:1 row_mask:0xf bank_mask:0xf
	s_nop 0
	v_cndmask_b32_e64 v36, 0, v36, s[12:13]
	v_add_u32_e32 v33, v36, v33
	v_cmp_lt_u32_e64 s[12:13], 1, v35
	s_nop 0
	v_mov_b32_dpp v36, v33 row_shr:2 row_mask:0xf bank_mask:0xf
	v_cndmask_b32_e64 v36, 0, v36, s[12:13]
	v_add_u32_e32 v33, v33, v36
	v_cmp_lt_u32_e64 s[12:13], 3, v35
	s_nop 0
	v_mov_b32_dpp v36, v33 row_shr:4 row_mask:0xf bank_mask:0xf
	;; [unrolled: 5-line block ×3, first 2 shown]
	v_cndmask_b32_e64 v35, 0, v36, s[12:13]
	v_add_u32_e32 v33, v33, v35
	v_bfe_i32 v36, v6, 4, 1
	v_cmp_lt_u32_e64 s[12:13], 31, v6
	v_mov_b32_dpp v35, v33 row_bcast:15 row_mask:0xf bank_mask:0xf
	v_and_b32_e32 v35, v36, v35
	v_add_u32_e32 v33, v33, v35
	s_nop 1
	v_mov_b32_dpp v35, v33 row_bcast:31 row_mask:0xf bank_mask:0xf
	v_cndmask_b32_e64 v35, 0, v35, s[12:13]
	v_add_u32_e32 v33, v33, v35
	v_lshrrev_b32_e32 v35, 6, v2
	v_cmp_eq_u32_e64 s[12:13], v2, v15
	s_and_saveexec_b64 s[14:15], s[12:13]
; %bb.26:
	v_lshlrev_b32_e32 v15, 2, v35
	ds_write_b32 v15, v33
; %bb.27:
	s_or_b64 exec, exec, s[14:15]
	v_cmp_gt_u32_e64 s[12:13], 8, v2
	s_waitcnt lgkmcnt(0)
	s_barrier
	s_and_saveexec_b64 s[14:15], s[12:13]
	s_cbranch_execz .LBB181_29
; %bb.28:
	v_lshlrev_b32_e32 v15, 2, v2
	ds_read_b32 v36, v15
	v_and_b32_e32 v37, 7, v6
	v_cmp_ne_u32_e64 s[12:13], 0, v37
	s_waitcnt lgkmcnt(0)
	v_mov_b32_dpp v38, v36 row_shr:1 row_mask:0xf bank_mask:0xf
	v_cndmask_b32_e64 v38, 0, v38, s[12:13]
	v_add_u32_e32 v36, v38, v36
	v_cmp_lt_u32_e64 s[12:13], 1, v37
	s_nop 0
	v_mov_b32_dpp v38, v36 row_shr:2 row_mask:0xf bank_mask:0xf
	v_cndmask_b32_e64 v38, 0, v38, s[12:13]
	v_add_u32_e32 v36, v36, v38
	v_cmp_lt_u32_e64 s[12:13], 3, v37
	s_nop 0
	v_mov_b32_dpp v38, v36 row_shr:4 row_mask:0xf bank_mask:0xf
	v_cndmask_b32_e64 v37, 0, v38, s[12:13]
	v_add_u32_e32 v36, v36, v37
	ds_write_b32 v15, v36
.LBB181_29:
	s_or_b64 exec, exec, s[14:15]
	v_cmp_lt_u32_e64 s[12:13], 63, v2
	v_mov_b32_e32 v15, 0
	s_waitcnt lgkmcnt(0)
	s_barrier
	s_and_saveexec_b64 s[14:15], s[12:13]
; %bb.30:
	v_lshl_add_u32 v15, v35, 2, -4
	ds_read_b32 v15, v15
; %bb.31:
	s_or_b64 exec, exec, s[14:15]
	v_subrev_co_u32_e64 v35, s[12:13], 1, v6
	v_and_b32_e32 v36, 64, v6
	v_cmp_lt_i32_e64 s[14:15], v35, v36
	s_waitcnt lgkmcnt(0)
	v_add_u32_e32 v33, v15, v33
	s_movk_i32 s16, 0x100
	v_cndmask_b32_e64 v35, v35, v6, s[14:15]
	v_lshlrev_b32_e32 v35, 2, v35
	ds_bpermute_b32 v33, v35, v33
	v_cmp_gt_u32_e64 s[14:15], s16, v2
	s_waitcnt lgkmcnt(0)
	v_cndmask_b32_e64 v15, v33, v15, s[12:13]
	v_cmp_ne_u32_e64 s[12:13], 0, v2
	s_nop 1
	v_cndmask_b32_e64 v15, 0, v15, s[12:13]
	v_add_u32_e32 v10, v15, v10
	v_add_u32_e32 v11, v10, v11
	;; [unrolled: 1-line block ×4, first 2 shown]
	ds_write2_b32 v17, v15, v10 offset0:8 offset1:9
	ds_write2_b32 v17, v11, v8 offset0:10 offset1:11
	ds_write_b32 v17, v9 offset:48
	s_waitcnt lgkmcnt(0)
	s_barrier
	ds_read_b32 v11, v20 offset:32
	ds_read_b32 v15, v23 offset:32
	;; [unrolled: 1-line block ×6, first 2 shown]
	s_movk_i32 s12, 0xff
	v_cmp_lt_u32_e64 s[12:13], s12, v2
	v_mov_b64_e32 v[8:9], 0
                                        ; implicit-def: $vgpr10
	s_and_saveexec_b64 s[18:19], s[14:15]
	s_cbranch_execz .LBB181_35
; %bb.32:
	v_mul_u32_u24_e32 v8, 36, v2
	ds_read_b32 v8, v8 offset:32
	v_add_u32_e32 v10, 1, v2
	v_cmp_ne_u32_e64 s[16:17], s16, v10
	v_mov_b32_e32 v9, 0xc00
	s_and_saveexec_b64 s[20:21], s[16:17]
; %bb.33:
	v_mul_u32_u24_e32 v9, 36, v10
	ds_read_b32 v9, v9 offset:32
; %bb.34:
	s_or_b64 exec, exec, s[20:21]
	s_waitcnt lgkmcnt(0)
	v_sub_u32_e32 v10, v9, v8
	v_mov_b32_e32 v9, 0
.LBB181_35:
	s_or_b64 exec, exec, s[18:19]
	s_waitcnt lgkmcnt(5)
	v_add_u32_e32 v27, v11, v16
	s_waitcnt lgkmcnt(4)
	v_add3_u32 v26, v19, v18, v15
	s_waitcnt lgkmcnt(3)
	v_add3_u32 v25, v22, v21, v17
	;; [unrolled: 2-line block ×5, first 2 shown]
	s_barrier
	ds_write_b8 v27, v5 offset:2048
	ds_write_b8 v26, v3 offset:2048
	;; [unrolled: 1-line block ×6, first 2 shown]
	v_mov_b32_e32 v13, 0
	v_mov_b32_e32 v3, v13
	v_lshlrev_b32_e32 v11, 3, v2
	s_waitcnt lgkmcnt(0)
	s_barrier
	s_and_saveexec_b64 s[16:17], s[14:15]
	s_cbranch_execz .LBB181_45
; %bb.36:
	v_lshl_add_u32 v12, s2, 8, v2
	v_lshl_add_u64 v[14:15], v[12:13], 2, s[48:49]
	v_or_b32_e32 v5, 2.0, v10
	global_store_dword v[14:15], v5, off sc1
	s_mov_b64 s[18:19], 0
	s_brev_b32 s24, -4
	s_mov_b32 s25, s2
	v_mov_b32_e32 v5, 0
                                        ; implicit-def: $sgpr14_sgpr15
	s_branch .LBB181_39
.LBB181_37:                             ;   in Loop: Header=BB181_39 Depth=1
	s_or_b64 exec, exec, s[22:23]
.LBB181_38:                             ;   in Loop: Header=BB181_39 Depth=1
	s_or_b64 exec, exec, s[20:21]
	v_and_b32_e32 v12, 0x3fffffff, v7
	v_add_u32_e32 v5, v12, v5
	v_cmp_gt_i32_e64 s[14:15], -2.0, v7
	s_and_b64 s[20:21], exec, s[14:15]
	s_or_b64 s[18:19], s[20:21], s[18:19]
	s_andn2_b64 exec, exec, s[18:19]
	s_cbranch_execz .LBB181_44
.LBB181_39:                             ; =>This Loop Header: Depth=1
                                        ;     Child Loop BB181_42 Depth 2
	s_or_b64 s[14:15], s[14:15], exec
	s_cmp_eq_u32 s25, 0
	s_cbranch_scc1 .LBB181_43
; %bb.40:                               ;   in Loop: Header=BB181_39 Depth=1
	s_add_i32 s25, s25, -1
	v_lshl_or_b32 v12, s25, 8, v2
	v_lshl_add_u64 v[16:17], v[12:13], 2, s[48:49]
	global_load_dword v7, v[16:17], off sc1
	s_waitcnt vmcnt(0)
	v_cmp_gt_u32_e64 s[14:15], 2.0, v7
	s_and_saveexec_b64 s[20:21], s[14:15]
	s_cbranch_execz .LBB181_38
; %bb.41:                               ;   in Loop: Header=BB181_39 Depth=1
	s_mov_b64 s[22:23], 0
.LBB181_42:                             ;   Parent Loop BB181_39 Depth=1
                                        ; =>  This Inner Loop Header: Depth=2
	global_load_dword v7, v[16:17], off sc1
	s_waitcnt vmcnt(0)
	v_cmp_lt_u32_e64 s[14:15], s24, v7
	s_or_b64 s[22:23], s[14:15], s[22:23]
	s_andn2_b64 exec, exec, s[22:23]
	s_cbranch_execnz .LBB181_42
	s_branch .LBB181_37
.LBB181_43:                             ;   in Loop: Header=BB181_39 Depth=1
                                        ; implicit-def: $sgpr25
	s_and_b64 s[20:21], exec, s[14:15]
	s_or_b64 s[18:19], s[20:21], s[18:19]
	s_andn2_b64 exec, exec, s[18:19]
	s_cbranch_execnz .LBB181_39
.LBB181_44:
	s_or_b64 exec, exec, s[18:19]
	v_add_u32_e32 v12, v5, v10
	v_or_b32_e32 v12, 0x80000000, v12
	v_lshlrev_b32_e32 v7, 3, v2
	global_store_dword v[14:15], v12, off sc1
	global_load_dwordx2 v[12:13], v7, s[28:29]
	v_sub_co_u32_e64 v14, s[14:15], v5, v8
	s_nop 1
	v_subb_co_u32_e64 v15, s[14:15], 0, v9, s[14:15]
	s_waitcnt vmcnt(0)
	v_lshl_add_u64 v[12:13], v[14:15], 0, v[12:13]
	ds_write_b64 v11, v[12:13]
.LBB181_45:
	s_or_b64 exec, exec, s[16:17]
	v_cmp_gt_u32_e64 s[20:21], s46, v2
	s_waitcnt lgkmcnt(0)
	s_barrier
	s_and_saveexec_b64 s[14:15], s[20:21]
	s_cbranch_execz .LBB181_47
; %bb.46:
	ds_read_u8 v5, v2 offset:2048
	s_waitcnt lgkmcnt(0)
	v_and_b32_e32 v7, 1, v5
	v_lshrrev_b32_e32 v7, s44, v7
	v_and_b32_e32 v7, s33, v7
	v_lshlrev_b32_e32 v7, 3, v7
	ds_read_b64 v[12:13], v7
	s_waitcnt lgkmcnt(0)
	v_lshl_add_u64 v[12:13], s[38:39], 0, v[12:13]
	v_lshl_add_u64 v[12:13], v[12:13], 0, v[2:3]
	global_store_byte v[12:13], v5, off
.LBB181_47:
	s_or_b64 exec, exec, s[14:15]
	v_add_u32_e32 v32, 0x200, v2
	v_cmp_gt_u32_e64 s[24:25], s46, v32
	s_and_saveexec_b64 s[14:15], s[24:25]
	s_cbranch_execz .LBB181_49
; %bb.48:
	ds_read_u8 v5, v2 offset:2560
	s_waitcnt lgkmcnt(0)
	v_and_b32_e32 v7, 1, v5
	v_lshrrev_b32_e32 v7, s44, v7
	v_and_b32_e32 v7, s33, v7
	v_lshlrev_b32_e32 v7, 3, v7
	ds_read_b64 v[12:13], v7
	s_waitcnt lgkmcnt(0)
	v_lshl_add_u64 v[12:13], s[38:39], 0, v[12:13]
	v_lshl_add_u64 v[12:13], v[12:13], 0, v[2:3]
	global_store_byte v[12:13], v5, off offset:512
.LBB181_49:
	s_or_b64 exec, exec, s[14:15]
	v_or_b32_e32 v31, 0x400, v2
	v_cmp_gt_u32_e64 s[22:23], s46, v31
	s_and_saveexec_b64 s[14:15], s[22:23]
	s_cbranch_execz .LBB181_51
; %bb.50:
	ds_read_u8 v5, v2 offset:3072
	s_waitcnt lgkmcnt(0)
	v_and_b32_e32 v7, 1, v5
	v_lshrrev_b32_e32 v7, s44, v7
	v_and_b32_e32 v7, s33, v7
	v_lshlrev_b32_e32 v7, 3, v7
	ds_read_b64 v[12:13], v7
	s_waitcnt lgkmcnt(0)
	v_lshl_add_u64 v[12:13], s[38:39], 0, v[12:13]
	v_lshl_add_u64 v[12:13], v[12:13], 0, v[2:3]
	global_store_byte v[12:13], v5, off offset:1024
.LBB181_51:
	s_or_b64 exec, exec, s[14:15]
	v_add_u32_e32 v30, 0x600, v2
	v_cmp_gt_u32_e64 s[18:19], s46, v30
	s_and_saveexec_b64 s[14:15], s[18:19]
	s_cbranch_execz .LBB181_53
; %bb.52:
	ds_read_u8 v5, v2 offset:3584
	s_waitcnt lgkmcnt(0)
	v_and_b32_e32 v7, 1, v5
	v_lshrrev_b32_e32 v7, s44, v7
	v_and_b32_e32 v7, s33, v7
	v_lshlrev_b32_e32 v7, 3, v7
	ds_read_b64 v[12:13], v7
	s_waitcnt lgkmcnt(0)
	v_lshl_add_u64 v[12:13], s[38:39], 0, v[12:13]
	v_lshl_add_u64 v[12:13], v[12:13], 0, v[2:3]
	global_store_byte v[12:13], v5, off offset:1536
.LBB181_53:
	s_or_b64 exec, exec, s[14:15]
	v_or_b32_e32 v29, 0x800, v2
	v_cmp_gt_u32_e64 s[16:17], s46, v29
	s_and_saveexec_b64 s[14:15], s[16:17]
	s_cbranch_execz .LBB181_55
; %bb.54:
	ds_read_u8 v5, v2 offset:4096
	s_waitcnt lgkmcnt(0)
	v_and_b32_e32 v7, 1, v5
	v_lshrrev_b32_e32 v7, s44, v7
	v_and_b32_e32 v7, s33, v7
	v_lshlrev_b32_e32 v7, 3, v7
	ds_read_b64 v[12:13], v7
	s_waitcnt lgkmcnt(0)
	v_lshl_add_u64 v[12:13], s[38:39], 0, v[12:13]
	v_lshl_add_u64 v[12:13], v[12:13], 0, v[2:3]
	global_store_byte v[12:13], v5, off offset:2048
.LBB181_55:
	s_or_b64 exec, exec, s[14:15]
	v_add_u32_e32 v28, 0xa00, v2
	v_cmp_gt_u32_e64 s[14:15], s46, v28
	s_and_saveexec_b64 s[46:47], s[14:15]
	s_cbranch_execz .LBB181_57
; %bb.56:
	ds_read_u8 v5, v2 offset:4608
	s_waitcnt lgkmcnt(0)
	v_and_b32_e32 v7, 1, v5
	v_lshrrev_b32_e32 v7, s44, v7
	v_and_b32_e32 v7, s33, v7
	v_lshlrev_b32_e32 v7, 3, v7
	ds_read_b64 v[12:13], v7
	s_waitcnt lgkmcnt(0)
	v_lshl_add_u64 v[12:13], s[38:39], 0, v[12:13]
	v_lshl_add_u64 v[12:13], v[12:13], 0, v[2:3]
	global_store_byte v[12:13], v5, off offset:2560
.LBB181_57:
	s_or_b64 exec, exec, s[46:47]
	s_lshl_b64 s[46:47], s[34:35], 3
	s_add_u32 s46, s40, s46
	s_addc_u32 s47, s41, s47
	v_lshlrev_b32_e32 v6, 3, v6
	v_mov_b32_e32 v7, 0
	v_lshl_add_u64 v[12:13], s[46:47], 0, v[6:7]
	v_lshlrev_b32_e32 v6, 3, v4
	v_lshl_add_u64 v[20:21], v[12:13], 0, v[6:7]
                                        ; implicit-def: $vgpr4_vgpr5
	s_and_saveexec_b64 s[46:47], vcc
	s_xor_b64 s[46:47], exec, s[46:47]
	s_cbranch_execz .LBB181_63
; %bb.58:
	global_load_dwordx2 v[4:5], v[20:21], off
	s_or_b64 exec, exec, s[46:47]
                                        ; implicit-def: $vgpr6_vgpr7
	s_and_saveexec_b64 s[46:47], s[26:27]
	s_cbranch_execnz .LBB181_64
.LBB181_59:
	s_or_b64 exec, exec, s[46:47]
                                        ; implicit-def: $vgpr12_vgpr13
	s_and_saveexec_b64 s[26:27], s[4:5]
	s_cbranch_execz .LBB181_65
.LBB181_60:
	global_load_dwordx2 v[12:13], v[20:21], off offset:1024
	s_or_b64 exec, exec, s[26:27]
                                        ; implicit-def: $vgpr14_vgpr15
	s_and_saveexec_b64 s[4:5], s[6:7]
	s_cbranch_execnz .LBB181_66
.LBB181_61:
	s_or_b64 exec, exec, s[4:5]
                                        ; implicit-def: $vgpr16_vgpr17
	s_and_saveexec_b64 s[4:5], s[8:9]
	s_cbranch_execz .LBB181_67
.LBB181_62:
	global_load_dwordx2 v[16:17], v[20:21], off offset:2048
	s_or_b64 exec, exec, s[4:5]
                                        ; implicit-def: $vgpr18_vgpr19
	s_and_saveexec_b64 s[4:5], s[10:11]
	s_cbranch_execnz .LBB181_68
	s_branch .LBB181_69
.LBB181_63:
	s_or_b64 exec, exec, s[46:47]
                                        ; implicit-def: $vgpr6_vgpr7
	s_and_saveexec_b64 s[46:47], s[26:27]
	s_cbranch_execz .LBB181_59
.LBB181_64:
	global_load_dwordx2 v[6:7], v[20:21], off offset:512
	s_or_b64 exec, exec, s[46:47]
                                        ; implicit-def: $vgpr12_vgpr13
	s_and_saveexec_b64 s[26:27], s[4:5]
	s_cbranch_execnz .LBB181_60
.LBB181_65:
	s_or_b64 exec, exec, s[26:27]
                                        ; implicit-def: $vgpr14_vgpr15
	s_and_saveexec_b64 s[4:5], s[6:7]
	s_cbranch_execz .LBB181_61
.LBB181_66:
	global_load_dwordx2 v[14:15], v[20:21], off offset:1536
	s_or_b64 exec, exec, s[4:5]
                                        ; implicit-def: $vgpr16_vgpr17
	s_and_saveexec_b64 s[4:5], s[8:9]
	s_cbranch_execnz .LBB181_62
.LBB181_67:
	s_or_b64 exec, exec, s[4:5]
                                        ; implicit-def: $vgpr18_vgpr19
	s_and_saveexec_b64 s[4:5], s[10:11]
	s_cbranch_execz .LBB181_69
.LBB181_68:
	global_load_dwordx2 v[18:19], v[20:21], off offset:2560
.LBB181_69:
	s_or_b64 exec, exec, s[4:5]
	v_mov_b32_e32 v34, 0
	v_mov_b32_e32 v3, 0
	s_and_saveexec_b64 s[4:5], s[20:21]
	s_cbranch_execz .LBB181_71
; %bb.70:
	ds_read_u8 v3, v2 offset:2048
	s_waitcnt lgkmcnt(0)
	v_lshrrev_b32_e32 v3, s44, v3
	v_and_b32_e32 v3, s33, v3
.LBB181_71:
	s_or_b64 exec, exec, s[4:5]
	s_and_saveexec_b64 s[4:5], s[24:25]
	s_cbranch_execz .LBB181_73
; %bb.72:
	ds_read_u8 v20, v2 offset:2560
	s_waitcnt lgkmcnt(0)
	v_lshrrev_b32_e32 v20, s44, v20
	v_and_b32_e32 v34, s33, v20
.LBB181_73:
	s_or_b64 exec, exec, s[4:5]
	v_mov_b32_e32 v21, 0
	v_mov_b32_e32 v35, 0
	s_and_saveexec_b64 s[4:5], s[22:23]
	s_cbranch_execz .LBB181_75
; %bb.74:
	ds_read_u8 v20, v2 offset:3072
	s_waitcnt lgkmcnt(0)
	v_lshrrev_b32_e32 v20, s44, v20
	v_and_b32_e32 v35, s33, v20
.LBB181_75:
	s_or_b64 exec, exec, s[4:5]
	s_and_saveexec_b64 s[4:5], s[18:19]
	s_cbranch_execz .LBB181_77
; %bb.76:
	ds_read_u8 v20, v2 offset:3584
	s_waitcnt lgkmcnt(0)
	v_lshrrev_b32_e32 v20, s44, v20
	v_and_b32_e32 v21, s33, v20
.LBB181_77:
	;; [unrolled: 20-line block ×3, first 2 shown]
	s_or_b64 exec, exec, s[4:5]
	v_lshlrev_b32_e32 v27, 3, v27
	s_barrier
	s_waitcnt vmcnt(0)
	ds_write_b64 v27, v[4:5] offset:2048
	v_lshlrev_b32_e32 v4, 3, v26
	ds_write_b64 v4, v[6:7] offset:2048
	v_lshlrev_b32_e32 v4, 3, v25
	;; [unrolled: 2-line block ×5, first 2 shown]
	v_lshlrev_b32_e32 v2, 3, v2
	ds_write_b64 v4, v[18:19] offset:2048
	s_waitcnt lgkmcnt(0)
	s_barrier
	s_and_saveexec_b64 s[4:5], s[20:21]
	s_cbranch_execz .LBB181_87
; %bb.82:
	v_lshlrev_b32_e32 v3, 3, v3
	ds_read_b64 v[4:5], v3
	ds_read_b64 v[6:7], v11 offset:2048
	v_mov_b32_e32 v3, 0
	s_waitcnt lgkmcnt(1)
	v_lshl_add_u64 v[4:5], v[4:5], 3, s[42:43]
	v_lshl_add_u64 v[4:5], v[4:5], 0, v[2:3]
	s_waitcnt lgkmcnt(0)
	global_store_dwordx2 v[4:5], v[6:7], off
	s_or_b64 exec, exec, s[4:5]
	s_and_saveexec_b64 s[4:5], s[24:25]
	s_cbranch_execnz .LBB181_88
.LBB181_83:
	s_or_b64 exec, exec, s[4:5]
	s_and_saveexec_b64 s[4:5], s[22:23]
	s_cbranch_execz .LBB181_89
.LBB181_84:
	v_lshlrev_b32_e32 v3, 3, v35
	ds_read_b64 v[4:5], v3
	ds_read_b64 v[6:7], v11 offset:10240
	v_lshlrev_b32_e32 v12, 3, v31
	v_mov_b32_e32 v13, 0
	s_waitcnt lgkmcnt(1)
	v_lshl_add_u64 v[4:5], v[4:5], 3, s[42:43]
	v_lshl_add_u64 v[4:5], v[4:5], 0, v[12:13]
	s_waitcnt lgkmcnt(0)
	global_store_dwordx2 v[4:5], v[6:7], off
	s_or_b64 exec, exec, s[4:5]
	s_and_saveexec_b64 s[4:5], s[18:19]
	s_cbranch_execnz .LBB181_90
.LBB181_85:
	s_or_b64 exec, exec, s[4:5]
	s_and_saveexec_b64 s[4:5], s[16:17]
	s_cbranch_execz .LBB181_91
.LBB181_86:
	v_lshlrev_b32_e32 v3, 3, v33
	ds_read_b64 v[4:5], v3
	ds_read_b64 v[6:7], v11 offset:18432
	v_lshlrev_b32_e32 v12, 3, v29
	v_mov_b32_e32 v13, 0
	s_waitcnt lgkmcnt(1)
	v_lshl_add_u64 v[4:5], v[4:5], 3, s[42:43]
	v_lshl_add_u64 v[4:5], v[4:5], 0, v[12:13]
	s_waitcnt lgkmcnt(0)
	global_store_dwordx2 v[4:5], v[6:7], off
	s_or_b64 exec, exec, s[4:5]
	s_and_saveexec_b64 s[4:5], s[14:15]
	s_cbranch_execnz .LBB181_92
	s_branch .LBB181_93
.LBB181_87:
	s_or_b64 exec, exec, s[4:5]
	s_and_saveexec_b64 s[4:5], s[24:25]
	s_cbranch_execz .LBB181_83
.LBB181_88:
	v_lshlrev_b32_e32 v3, 3, v34
	ds_read_b64 v[4:5], v3
	ds_read_b64 v[6:7], v11 offset:6144
	v_lshlrev_b32_e32 v12, 3, v32
	v_mov_b32_e32 v13, 0
	s_waitcnt lgkmcnt(1)
	v_lshl_add_u64 v[4:5], v[4:5], 3, s[42:43]
	v_lshl_add_u64 v[4:5], v[4:5], 0, v[12:13]
	s_waitcnt lgkmcnt(0)
	global_store_dwordx2 v[4:5], v[6:7], off
	s_or_b64 exec, exec, s[4:5]
	s_and_saveexec_b64 s[4:5], s[22:23]
	s_cbranch_execnz .LBB181_84
.LBB181_89:
	s_or_b64 exec, exec, s[4:5]
	s_and_saveexec_b64 s[4:5], s[18:19]
	s_cbranch_execz .LBB181_85
.LBB181_90:
	v_lshlrev_b32_e32 v3, 3, v21
	ds_read_b64 v[4:5], v3
	ds_read_b64 v[6:7], v11 offset:14336
	v_lshlrev_b32_e32 v12, 3, v30
	v_mov_b32_e32 v13, 0
	s_waitcnt lgkmcnt(1)
	v_lshl_add_u64 v[4:5], v[4:5], 3, s[42:43]
	v_lshl_add_u64 v[4:5], v[4:5], 0, v[12:13]
	s_waitcnt lgkmcnt(0)
	global_store_dwordx2 v[4:5], v[6:7], off
	s_or_b64 exec, exec, s[4:5]
	s_and_saveexec_b64 s[4:5], s[16:17]
	s_cbranch_execnz .LBB181_86
.LBB181_91:
	s_or_b64 exec, exec, s[4:5]
	s_and_saveexec_b64 s[4:5], s[14:15]
	s_cbranch_execz .LBB181_93
.LBB181_92:
	v_lshlrev_b32_e32 v3, 3, v20
	ds_read_b64 v[4:5], v3
	ds_read_b64 v[6:7], v11 offset:22528
	v_lshlrev_b32_e32 v12, 3, v28
	v_mov_b32_e32 v13, 0
	s_waitcnt lgkmcnt(1)
	v_lshl_add_u64 v[4:5], v[4:5], 3, s[42:43]
	v_lshl_add_u64 v[4:5], v[4:5], 0, v[12:13]
	s_waitcnt lgkmcnt(0)
	global_store_dwordx2 v[4:5], v[6:7], off
.LBB181_93:
	s_or_b64 exec, exec, s[4:5]
	s_add_i32 s3, s3, -1
	s_cmp_eq_u32 s2, s3
	s_cselect_b64 s[4:5], -1, 0
	s_xor_b64 s[6:7], s[12:13], -1
	s_and_b64 s[6:7], s[6:7], s[4:5]
	s_and_saveexec_b64 s[4:5], s[6:7]
	s_cbranch_execz .LBB181_95
; %bb.94:
	ds_read_b64 v[4:5], v11
	v_mov_b32_e32 v11, 0
	v_lshl_add_u64 v[6:7], v[8:9], 0, v[10:11]
	s_waitcnt lgkmcnt(0)
	v_lshl_add_u64 v[4:5], v[6:7], 0, v[4:5]
	global_store_dwordx2 v2, v[4:5], s[30:31]
.LBB181_95:
	s_or_b64 exec, exec, s[4:5]
	s_mov_b64 s[4:5], 0
.LBB181_96:
	s_and_b64 vcc, exec, s[4:5]
	s_cbranch_vccz .LBB181_131
; %bb.97:
	s_add_u32 s4, s36, s34
	s_addc_u32 s5, s37, 0
	v_mbcnt_hi_u32_b32 v6, -1, v1
	v_and_b32_e32 v17, 0x1c0, v0
	v_mov_b32_e32 v7, 0
	v_mul_u32_u24_e32 v4, 6, v17
	v_lshl_add_u64 v[2:3], s[4:5], 0, v[6:7]
	v_mov_b32_e32 v5, v7
	v_lshl_add_u64 v[8:9], v[2:3], 0, v[4:5]
	global_load_ubyte v3, v[8:9], off
	s_load_dword s4, s[0:1], 0x5c
	s_load_dword s3, s[0:1], 0x50
	s_add_u32 s0, s0, 0x50
	s_addc_u32 s1, s1, 0
	v_and_b32_e32 v2, 0x3ff, v0
	s_waitcnt lgkmcnt(0)
	s_lshr_b32 s4, s4, 16
	s_cmp_lt_u32 s2, s3
	s_cselect_b32 s5, 12, 18
	s_add_u32 s0, s0, s5
	s_addc_u32 s1, s1, 0
	global_load_ushort v14, v7, s[0:1]
	global_load_ubyte v5, v[8:9], off offset:64
	global_load_ubyte v10, v[8:9], off offset:128
	;; [unrolled: 1-line block ×5, first 2 shown]
	v_bfe_u32 v8, v0, 10, 10
	v_bfe_u32 v0, v0, 20, 10
	v_mad_u32_u24 v8, v0, s4, v8
	s_lshl_b32 s0, -1, s45
	v_mov_b32_e32 v1, v7
	s_not_b32 s12, s0
	s_mov_b32 s35, 0
	v_mul_u32_u24_e32 v15, 20, v2
	ds_write2_b32 v15, v7, v7 offset0:8 offset1:9
	ds_write2_b32 v15, v7, v7 offset0:10 offset1:11
	ds_write_b32 v15, v7 offset:48
	s_waitcnt lgkmcnt(0)
	s_barrier
	s_waitcnt vmcnt(6)
	; wave barrier
	v_and_b32_e32 v0, 1, v3
	v_lshrrev_b32_e32 v0, s44, v0
	v_bitop3_b32 v0, v0, s0, v0 bitop3:0x30
	v_mul_u32_u24_e32 v16, 36, v0
	v_cmp_ne_u32_e32 vcc, 0, v0
	v_lshl_add_u64 v[0:1], v[0:1], 0, -1
	s_waitcnt vmcnt(5)
	v_mad_u64_u32 v[8:9], s[0:1], v8, v14, v[2:3]
	v_xor_b32_e32 v0, vcc_lo, v0
	v_xor_b32_e32 v1, vcc_hi, v1
	v_and_b32_e32 v0, exec_lo, v0
	v_and_b32_e32 v1, exec_hi, v1
	v_mbcnt_lo_u32_b32 v9, v0, 0
	v_lshrrev_b32_e32 v8, 4, v8
	v_mbcnt_hi_u32_b32 v14, v1, v9
	v_cmp_ne_u64_e32 vcc, 0, v[0:1]
	v_and_b32_e32 v29, 0xffffffc, v8
	v_cmp_eq_u32_e64 s[0:1], 0, v14
	s_and_b64 s[4:5], vcc, s[0:1]
	v_add_u32_e32 v18, v29, v16
	s_and_saveexec_b64 s[0:1], s[4:5]
; %bb.98:
	v_bcnt_u32_b32 v0, v0, 0
	v_bcnt_u32_b32 v0, v1, v0
	ds_write_b32 v18, v0 offset:32
; %bb.99:
	s_or_b64 exec, exec, s[0:1]
	s_waitcnt vmcnt(4)
	v_lshrrev_b32_sdwa v0, s44, v5 dst_sel:DWORD dst_unused:UNUSED_PAD src0_sel:DWORD src1_sel:BYTE_0
	v_and_b32_e32 v0, s12, v0
	v_mad_u32_u24 v1, v0, 36, v29
	; wave barrier
	ds_read_b32 v16, v1 offset:32
	v_mov_b32_e32 v1, v7
	v_mul_u32_u24_e32 v8, 36, v0
	v_cmp_ne_u32_e32 vcc, 0, v0
	v_lshl_add_u64 v[0:1], v[0:1], 0, -1
	v_add_u32_e32 v21, v29, v8
	v_xor_b32_e32 v0, vcc_lo, v0
	v_xor_b32_e32 v1, vcc_hi, v1
	v_and_b32_e32 v0, exec_lo, v0
	v_and_b32_e32 v1, exec_hi, v1
	v_mbcnt_lo_u32_b32 v7, v0, 0
	v_mbcnt_hi_u32_b32 v7, v1, v7
	v_cmp_eq_u32_e32 vcc, 0, v7
	v_cmp_ne_u64_e64 s[0:1], 0, v[0:1]
	s_and_b64 s[4:5], s[0:1], vcc
	; wave barrier
	s_and_saveexec_b64 s[0:1], s[4:5]
	s_cbranch_execz .LBB181_101
; %bb.100:
	v_bcnt_u32_b32 v0, v0, 0
	v_bcnt_u32_b32 v0, v1, v0
	s_waitcnt lgkmcnt(0)
	v_add_u32_e32 v0, v16, v0
	ds_write_b32 v21, v0 offset:32
.LBB181_101:
	s_or_b64 exec, exec, s[0:1]
	s_waitcnt vmcnt(3)
	v_lshrrev_b32_sdwa v0, s44, v10 dst_sel:DWORD dst_unused:UNUSED_PAD src0_sel:DWORD src1_sel:BYTE_0
	v_and_b32_e32 v0, s12, v0
	v_mad_u32_u24 v1, v0, 36, v29
	; wave barrier
	ds_read_b32 v19, v1 offset:32
	v_mov_b32_e32 v1, 0
	v_cmp_ne_u32_e32 vcc, 0, v0
	v_lshl_add_u64 v[8:9], v[0:1], 0, -1
	v_mul_u32_u24_e32 v22, 36, v0
	v_xor_b32_e32 v8, vcc_lo, v8
	v_xor_b32_e32 v0, vcc_hi, v9
	v_and_b32_e32 v8, exec_lo, v8
	v_and_b32_e32 v9, exec_hi, v0
	v_mbcnt_lo_u32_b32 v0, v8, 0
	v_mbcnt_hi_u32_b32 v20, v9, v0
	v_cmp_eq_u32_e32 vcc, 0, v20
	v_cmp_ne_u64_e64 s[0:1], 0, v[8:9]
	s_and_b64 s[4:5], s[0:1], vcc
	v_add_u32_e32 v24, v29, v22
	; wave barrier
	s_and_saveexec_b64 s[0:1], s[4:5]
	s_cbranch_execz .LBB181_103
; %bb.102:
	v_bcnt_u32_b32 v0, v8, 0
	v_bcnt_u32_b32 v0, v9, v0
	s_waitcnt lgkmcnt(0)
	v_add_u32_e32 v0, v19, v0
	ds_write_b32 v24, v0 offset:32
.LBB181_103:
	s_or_b64 exec, exec, s[0:1]
	s_waitcnt vmcnt(2)
	v_lshrrev_b32_sdwa v0, s44, v11 dst_sel:DWORD dst_unused:UNUSED_PAD src0_sel:DWORD src1_sel:BYTE_0
	v_and_b32_e32 v0, s12, v0
	v_mul_u32_u24_e32 v8, 36, v0
	v_mad_u32_u24 v9, v0, 36, v29
	v_cmp_ne_u32_e32 vcc, 0, v0
	v_lshl_add_u64 v[0:1], v[0:1], 0, -1
	s_nop 0
	v_xor_b32_e32 v0, vcc_lo, v0
	; wave barrier
	ds_read_b32 v22, v9 offset:32
	v_xor_b32_e32 v1, vcc_hi, v1
	v_and_b32_e32 v0, exec_lo, v0
	v_and_b32_e32 v1, exec_hi, v1
	v_mbcnt_lo_u32_b32 v9, v0, 0
	v_mbcnt_hi_u32_b32 v23, v1, v9
	v_cmp_eq_u32_e32 vcc, 0, v23
	v_cmp_ne_u64_e64 s[0:1], 0, v[0:1]
	s_and_b64 s[4:5], s[0:1], vcc
	v_add_u32_e32 v27, v29, v8
	; wave barrier
	s_and_saveexec_b64 s[0:1], s[4:5]
	s_cbranch_execz .LBB181_105
; %bb.104:
	v_bcnt_u32_b32 v0, v0, 0
	v_bcnt_u32_b32 v0, v1, v0
	s_waitcnt lgkmcnt(0)
	v_add_u32_e32 v0, v22, v0
	ds_write_b32 v27, v0 offset:32
.LBB181_105:
	s_or_b64 exec, exec, s[0:1]
	s_waitcnt vmcnt(1)
	v_lshrrev_b32_sdwa v0, s44, v12 dst_sel:DWORD dst_unused:UNUSED_PAD src0_sel:DWORD src1_sel:BYTE_0
	v_and_b32_e32 v0, s12, v0
	v_mad_u32_u24 v1, v0, 36, v29
	; wave barrier
	ds_read_b32 v25, v1 offset:32
	v_mov_b32_e32 v1, 0
	v_cmp_ne_u32_e32 vcc, 0, v0
	v_lshl_add_u64 v[8:9], v[0:1], 0, -1
	v_mul_u32_u24_e32 v28, 36, v0
	v_xor_b32_e32 v8, vcc_lo, v8
	v_xor_b32_e32 v0, vcc_hi, v9
	v_and_b32_e32 v8, exec_lo, v8
	v_and_b32_e32 v9, exec_hi, v0
	v_mbcnt_lo_u32_b32 v0, v8, 0
	v_mbcnt_hi_u32_b32 v26, v9, v0
	v_cmp_eq_u32_e32 vcc, 0, v26
	v_cmp_ne_u64_e64 s[0:1], 0, v[8:9]
	s_and_b64 s[4:5], s[0:1], vcc
	v_add_u32_e32 v31, v29, v28
	; wave barrier
	s_and_saveexec_b64 s[0:1], s[4:5]
	s_cbranch_execz .LBB181_107
; %bb.106:
	v_bcnt_u32_b32 v0, v8, 0
	v_bcnt_u32_b32 v0, v9, v0
	s_waitcnt lgkmcnt(0)
	v_add_u32_e32 v0, v25, v0
	ds_write_b32 v31, v0 offset:32
.LBB181_107:
	s_or_b64 exec, exec, s[0:1]
	s_waitcnt vmcnt(0)
	v_lshrrev_b32_sdwa v0, s44, v13 dst_sel:DWORD dst_unused:UNUSED_PAD src0_sel:DWORD src1_sel:BYTE_0
	v_and_b32_e32 v0, s12, v0
	v_mul_u32_u24_e32 v8, 36, v0
	v_mad_u32_u24 v9, v0, 36, v29
	v_cmp_ne_u32_e32 vcc, 0, v0
	v_lshl_add_u64 v[0:1], v[0:1], 0, -1
	s_nop 0
	v_xor_b32_e32 v0, vcc_lo, v0
	; wave barrier
	ds_read_b32 v28, v9 offset:32
	v_xor_b32_e32 v1, vcc_hi, v1
	v_and_b32_e32 v0, exec_lo, v0
	v_and_b32_e32 v1, exec_hi, v1
	v_mbcnt_lo_u32_b32 v9, v0, 0
	v_mbcnt_hi_u32_b32 v30, v1, v9
	v_cmp_eq_u32_e32 vcc, 0, v30
	v_cmp_ne_u64_e64 s[0:1], 0, v[0:1]
	s_and_b64 s[4:5], s[0:1], vcc
	v_add_u32_e32 v29, v29, v8
	; wave barrier
	s_and_saveexec_b64 s[0:1], s[4:5]
	s_cbranch_execz .LBB181_109
; %bb.108:
	v_bcnt_u32_b32 v0, v0, 0
	v_bcnt_u32_b32 v0, v1, v0
	s_waitcnt lgkmcnt(0)
	v_add_u32_e32 v0, v28, v0
	ds_write_b32 v29, v0 offset:32
.LBB181_109:
	s_or_b64 exec, exec, s[0:1]
	; wave barrier
	s_waitcnt lgkmcnt(0)
	s_barrier
	ds_read2_b32 v[8:9], v15 offset0:8 offset1:9
	ds_read2_b32 v[0:1], v15 offset0:10 offset1:11
	ds_read_b32 v32, v15 offset:48
	v_min_u32_e32 v17, 0x1c0, v17
	v_or_b32_e32 v17, 63, v17
	s_waitcnt lgkmcnt(1)
	v_add3_u32 v33, v9, v8, v0
	s_waitcnt lgkmcnt(0)
	v_add3_u32 v32, v33, v1, v32
	v_and_b32_e32 v33, 15, v6
	v_cmp_ne_u32_e32 vcc, 0, v33
	v_mov_b32_dpp v34, v32 row_shr:1 row_mask:0xf bank_mask:0xf
	s_nop 0
	v_cndmask_b32_e32 v34, 0, v34, vcc
	v_add_u32_e32 v32, v34, v32
	v_cmp_lt_u32_e32 vcc, 1, v33
	s_nop 0
	v_mov_b32_dpp v34, v32 row_shr:2 row_mask:0xf bank_mask:0xf
	v_cndmask_b32_e32 v34, 0, v34, vcc
	v_add_u32_e32 v32, v32, v34
	v_cmp_lt_u32_e32 vcc, 3, v33
	s_nop 0
	v_mov_b32_dpp v34, v32 row_shr:4 row_mask:0xf bank_mask:0xf
	v_cndmask_b32_e32 v34, 0, v34, vcc
	v_add_u32_e32 v32, v32, v34
	v_cmp_lt_u32_e32 vcc, 7, v33
	s_nop 0
	v_mov_b32_dpp v34, v32 row_shr:8 row_mask:0xf bank_mask:0xf
	v_cndmask_b32_e32 v33, 0, v34, vcc
	v_add_u32_e32 v32, v32, v33
	v_bfe_i32 v34, v6, 4, 1
	v_cmp_lt_u32_e32 vcc, 31, v6
	v_mov_b32_dpp v33, v32 row_bcast:15 row_mask:0xf bank_mask:0xf
	v_and_b32_e32 v33, v34, v33
	v_add_u32_e32 v32, v32, v33
	s_nop 1
	v_mov_b32_dpp v33, v32 row_bcast:31 row_mask:0xf bank_mask:0xf
	v_cndmask_b32_e32 v33, 0, v33, vcc
	v_add_u32_e32 v32, v32, v33
	v_lshrrev_b32_e32 v33, 6, v2
	v_cmp_eq_u32_e32 vcc, v2, v17
	s_and_saveexec_b64 s[0:1], vcc
; %bb.110:
	v_lshlrev_b32_e32 v17, 2, v33
	ds_write_b32 v17, v32
; %bb.111:
	s_or_b64 exec, exec, s[0:1]
	v_cmp_gt_u32_e32 vcc, 8, v2
	s_waitcnt lgkmcnt(0)
	s_barrier
	s_and_saveexec_b64 s[0:1], vcc
	s_cbranch_execz .LBB181_113
; %bb.112:
	v_lshlrev_b32_e32 v17, 2, v2
	ds_read_b32 v34, v17
	v_and_b32_e32 v35, 7, v6
	v_cmp_ne_u32_e32 vcc, 0, v35
	s_waitcnt lgkmcnt(0)
	v_mov_b32_dpp v36, v34 row_shr:1 row_mask:0xf bank_mask:0xf
	v_cndmask_b32_e32 v36, 0, v36, vcc
	v_add_u32_e32 v34, v36, v34
	v_cmp_lt_u32_e32 vcc, 1, v35
	s_nop 0
	v_mov_b32_dpp v36, v34 row_shr:2 row_mask:0xf bank_mask:0xf
	v_cndmask_b32_e32 v36, 0, v36, vcc
	v_add_u32_e32 v34, v34, v36
	v_cmp_lt_u32_e32 vcc, 3, v35
	s_nop 0
	v_mov_b32_dpp v36, v34 row_shr:4 row_mask:0xf bank_mask:0xf
	v_cndmask_b32_e32 v35, 0, v36, vcc
	v_add_u32_e32 v34, v34, v35
	ds_write_b32 v17, v34
.LBB181_113:
	s_or_b64 exec, exec, s[0:1]
	v_cmp_lt_u32_e32 vcc, 63, v2
	v_mov_b32_e32 v17, 0
	s_waitcnt lgkmcnt(0)
	s_barrier
	s_and_saveexec_b64 s[0:1], vcc
; %bb.114:
	v_lshl_add_u32 v17, v33, 2, -4
	ds_read_b32 v17, v17
; %bb.115:
	s_or_b64 exec, exec, s[0:1]
	v_subrev_co_u32_e32 v33, vcc, 1, v6
	v_and_b32_e32 v34, 64, v6
	v_cmp_lt_i32_e64 s[0:1], v33, v34
	s_waitcnt lgkmcnt(0)
	v_add_u32_e32 v32, v17, v32
	s_movk_i32 s4, 0x100
	v_cndmask_b32_e64 v33, v33, v6, s[0:1]
	v_lshlrev_b32_e32 v33, 2, v33
	ds_bpermute_b32 v32, v33, v32
	s_movk_i32 s0, 0xff
	s_waitcnt lgkmcnt(0)
	v_cndmask_b32_e32 v17, v32, v17, vcc
	v_cmp_ne_u32_e32 vcc, 0, v2
	s_nop 1
	v_cndmask_b32_e32 v17, 0, v17, vcc
	v_add_u32_e32 v8, v17, v8
	v_add_u32_e32 v9, v8, v9
	;; [unrolled: 1-line block ×4, first 2 shown]
	ds_write2_b32 v15, v17, v8 offset0:8 offset1:9
	ds_write2_b32 v15, v9, v0 offset0:10 offset1:11
	ds_write_b32 v15, v1 offset:48
	s_waitcnt lgkmcnt(0)
	s_barrier
	ds_read_b32 v9, v18 offset:32
	ds_read_b32 v15, v21 offset:32
	;; [unrolled: 1-line block ×6, first 2 shown]
	v_cmp_lt_u32_e32 vcc, s0, v2
	v_cmp_gt_u32_e64 s[0:1], s4, v2
	v_mov_b64_e32 v[0:1], 0
                                        ; implicit-def: $vgpr8
	s_and_saveexec_b64 s[6:7], s[0:1]
	s_cbranch_execz .LBB181_119
; %bb.116:
	v_mul_u32_u24_e32 v0, 36, v2
	ds_read_b32 v0, v0 offset:32
	v_add_u32_e32 v8, 1, v2
	v_cmp_ne_u32_e64 s[4:5], s4, v8
	v_mov_b32_e32 v1, 0xc00
	s_and_saveexec_b64 s[8:9], s[4:5]
; %bb.117:
	v_mul_u32_u24_e32 v1, 36, v8
	ds_read_b32 v1, v1 offset:32
; %bb.118:
	s_or_b64 exec, exec, s[8:9]
	s_waitcnt lgkmcnt(0)
	v_sub_u32_e32 v8, v1, v0
	v_mov_b32_e32 v1, 0
.LBB181_119:
	s_or_b64 exec, exec, s[6:7]
	s_waitcnt lgkmcnt(5)
	v_add_u32_e32 v24, v9, v14
	s_waitcnt lgkmcnt(4)
	v_add3_u32 v21, v7, v16, v15
	s_waitcnt lgkmcnt(3)
	v_add3_u32 v18, v20, v19, v17
	;; [unrolled: 2-line block ×5, first 2 shown]
	s_barrier
	ds_write_b8 v24, v3 offset:2048
	ds_write_b8 v21, v5 offset:2048
	;; [unrolled: 1-line block ×6, first 2 shown]
	v_mov_b32_e32 v11, 0
	v_mov_b32_e32 v3, v11
	v_lshlrev_b32_e32 v5, 3, v2
	s_waitcnt lgkmcnt(0)
	s_barrier
	s_and_saveexec_b64 s[4:5], s[0:1]
	s_cbranch_execz .LBB181_129
; %bb.120:
	v_lshl_add_u32 v10, s2, 8, v2
	v_lshl_add_u64 v[12:13], v[10:11], 2, s[48:49]
	v_or_b32_e32 v7, 2.0, v8
	global_store_dword v[12:13], v7, off sc1
	s_mov_b64 s[6:7], 0
	s_brev_b32 s13, -4
	s_mov_b32 s14, s2
	v_mov_b32_e32 v7, 0
                                        ; implicit-def: $sgpr0_sgpr1
	s_branch .LBB181_123
.LBB181_121:                            ;   in Loop: Header=BB181_123 Depth=1
	s_or_b64 exec, exec, s[10:11]
.LBB181_122:                            ;   in Loop: Header=BB181_123 Depth=1
	s_or_b64 exec, exec, s[8:9]
	v_and_b32_e32 v14, 0x3fffffff, v10
	v_add_u32_e32 v7, v14, v7
	v_cmp_gt_i32_e64 s[0:1], -2.0, v10
	s_and_b64 s[8:9], exec, s[0:1]
	s_or_b64 s[6:7], s[8:9], s[6:7]
	s_andn2_b64 exec, exec, s[6:7]
	s_cbranch_execz .LBB181_128
.LBB181_123:                            ; =>This Loop Header: Depth=1
                                        ;     Child Loop BB181_126 Depth 2
	s_or_b64 s[0:1], s[0:1], exec
	s_cmp_eq_u32 s14, 0
	s_cbranch_scc1 .LBB181_127
; %bb.124:                              ;   in Loop: Header=BB181_123 Depth=1
	s_add_i32 s14, s14, -1
	v_lshl_or_b32 v10, s14, 8, v2
	v_lshl_add_u64 v[14:15], v[10:11], 2, s[48:49]
	global_load_dword v10, v[14:15], off sc1
	s_waitcnt vmcnt(0)
	v_cmp_gt_u32_e64 s[0:1], 2.0, v10
	s_and_saveexec_b64 s[8:9], s[0:1]
	s_cbranch_execz .LBB181_122
; %bb.125:                              ;   in Loop: Header=BB181_123 Depth=1
	s_mov_b64 s[10:11], 0
.LBB181_126:                            ;   Parent Loop BB181_123 Depth=1
                                        ; =>  This Inner Loop Header: Depth=2
	global_load_dword v10, v[14:15], off sc1
	s_waitcnt vmcnt(0)
	v_cmp_lt_u32_e64 s[0:1], s13, v10
	s_or_b64 s[10:11], s[0:1], s[10:11]
	s_andn2_b64 exec, exec, s[10:11]
	s_cbranch_execnz .LBB181_126
	s_branch .LBB181_121
.LBB181_127:                            ;   in Loop: Header=BB181_123 Depth=1
                                        ; implicit-def: $sgpr14
	s_and_b64 s[8:9], exec, s[0:1]
	s_or_b64 s[6:7], s[8:9], s[6:7]
	s_andn2_b64 exec, exec, s[6:7]
	s_cbranch_execnz .LBB181_123
.LBB181_128:
	s_or_b64 exec, exec, s[6:7]
	v_add_u32_e32 v11, v7, v8
	v_or_b32_e32 v11, 0x80000000, v11
	v_lshlrev_b32_e32 v10, 3, v2
	global_store_dword v[12:13], v11, off sc1
	global_load_dwordx2 v[10:11], v10, s[28:29]
	v_sub_co_u32_e64 v12, s[0:1], v7, v0
	s_nop 1
	v_subb_co_u32_e64 v13, s[0:1], 0, v1, s[0:1]
	s_waitcnt vmcnt(0)
	v_lshl_add_u64 v[10:11], v[12:13], 0, v[10:11]
	ds_write_b64 v5, v[10:11]
.LBB181_129:
	s_or_b64 exec, exec, s[4:5]
	s_lshl_b64 s[0:1], s[34:35], 3
	s_add_u32 s0, s40, s0
	s_addc_u32 s1, s41, s1
	v_lshlrev_b32_e32 v6, 3, v6
	v_mov_b32_e32 v7, 0
	v_lshl_add_u64 v[10:11], s[0:1], 0, v[6:7]
	v_lshlrev_b32_e32 v6, 3, v4
	v_lshl_add_u64 v[10:11], v[10:11], 0, v[6:7]
	s_waitcnt lgkmcnt(0)
	s_barrier
	global_load_dwordx2 v[12:13], v[10:11], off
	global_load_dwordx2 v[14:15], v[10:11], off offset:512
	global_load_dwordx2 v[22:23], v[10:11], off offset:1024
	;; [unrolled: 1-line block ×5, first 2 shown]
	ds_read_u8 v4, v2 offset:2048
	ds_read_u8 v6, v2 offset:2560
	ds_read_u8 v34, v2 offset:3072
	ds_read_u8 v35, v2 offset:3584
	ds_read_u8 v36, v2 offset:4096
	ds_read_u8 v37, v2 offset:4608
	s_waitcnt lgkmcnt(5)
	v_and_b32_e32 v10, 1, v4
	v_lshlrev_b32_e32 v40, 3, v18
	v_lshlrev_b32_e32 v41, 3, v17
	;; [unrolled: 1-line block ×3, first 2 shown]
	s_waitcnt lgkmcnt(4)
	v_and_b32_e32 v11, 1, v6
	s_waitcnt lgkmcnt(3)
	v_and_b32_e32 v16, 1, v34
	;; [unrolled: 2-line block ×5, first 2 shown]
	v_lshrrev_b32_e32 v10, s44, v10
	v_lshrrev_b32_e32 v11, s44, v11
	;; [unrolled: 1-line block ×6, first 2 shown]
	v_and_b32_e32 v10, s12, v10
	v_and_b32_e32 v11, s12, v11
	;; [unrolled: 1-line block ×6, first 2 shown]
	v_lshlrev_b32_e32 v43, 3, v10
	v_lshlrev_b32_e32 v38, 3, v24
	;; [unrolled: 1-line block ×8, first 2 shown]
	ds_read_b64 v[10:11], v43
	ds_read_b64 v[16:17], v44
	;; [unrolled: 1-line block ×6, first 2 shown]
	s_waitcnt lgkmcnt(5)
	v_lshl_add_u64 v[10:11], s[38:39], 0, v[10:11]
	s_waitcnt lgkmcnt(4)
	v_lshl_add_u64 v[16:17], s[38:39], 0, v[16:17]
	;; [unrolled: 2-line block ×6, first 2 shown]
	v_lshl_add_u64 v[10:11], v[10:11], 0, v[2:3]
	v_lshl_add_u64 v[16:17], v[16:17], 0, v[2:3]
	;; [unrolled: 1-line block ×4, first 2 shown]
	v_lshlrev_b32_e32 v9, 3, v9
	v_lshl_add_u64 v[24:25], v[24:25], 0, v[2:3]
	v_lshl_add_u64 v[32:33], v[32:33], 0, v[2:3]
	global_store_byte v[10:11], v4, off
	global_store_byte v[16:17], v6, off offset:512
	global_store_byte v[18:19], v34, off offset:1024
	;; [unrolled: 1-line block ×5, first 2 shown]
	s_barrier
	v_mad_u32_u24 v4, v2, 7, v2
	v_lshlrev_b32_e32 v6, 3, v2
	s_add_i32 s3, s3, -1
	s_cmp_eq_u32 s2, s3
	s_cselect_b64 s[0:1], -1, 0
	s_xor_b64 s[2:3], vcc, -1
	s_and_b64 s[0:1], s[2:3], s[0:1]
	s_waitcnt vmcnt(11)
	ds_write_b64 v38, v[12:13] offset:2048
	s_waitcnt vmcnt(10)
	ds_write_b64 v39, v[14:15] offset:2048
	;; [unrolled: 2-line block ×6, first 2 shown]
	s_waitcnt lgkmcnt(0)
	s_barrier
	ds_read_b64 v[14:15], v43
	ds_read2st64_b64 v[10:13], v4 offset0:4 offset1:12
	ds_read_b64 v[16:17], v44
	ds_read_b64 v[18:19], v45
	;; [unrolled: 1-line block ×3, first 2 shown]
	s_waitcnt lgkmcnt(4)
	v_lshl_add_u64 v[14:15], v[14:15], 3, s[42:43]
	v_lshl_add_u64 v[2:3], v[14:15], 0, v[6:7]
	s_waitcnt lgkmcnt(3)
	global_store_dwordx2 v[2:3], v[10:11], off
	s_waitcnt lgkmcnt(2)
	v_lshl_add_u64 v[2:3], v[16:17], 3, s[42:43]
	v_add_u32_e32 v10, 0x1000, v5
	v_mov_b32_e32 v11, v7
	v_lshl_add_u64 v[2:3], v[2:3], 0, v[10:11]
	global_store_dwordx2 v[2:3], v[12:13], off
	ds_read2st64_b64 v[10:13], v4 offset0:20 offset1:28
	s_waitcnt lgkmcnt(2)
	v_lshl_add_u64 v[2:3], v[18:19], 3, s[42:43]
	v_or_b32_e32 v14, 0x2000, v5
	v_mov_b32_e32 v15, v7
	v_lshl_add_u64 v[2:3], v[2:3], 0, v[14:15]
	s_waitcnt lgkmcnt(0)
	global_store_dwordx2 v[2:3], v[10:11], off
	v_lshl_add_u64 v[2:3], v[20:21], 3, s[42:43]
	v_add_u32_e32 v10, 0x3000, v5
	v_mov_b32_e32 v11, v7
	ds_read_b64 v[14:15], v47
	v_lshl_add_u64 v[2:3], v[2:3], 0, v[10:11]
	global_store_dwordx2 v[2:3], v[12:13], off
	ds_read2st64_b64 v[10:13], v4 offset0:36 offset1:44
	ds_read_b64 v[2:3], v48
	v_or_b32_e32 v16, 0x4000, v5
	s_waitcnt lgkmcnt(2)
	v_lshl_add_u64 v[14:15], v[14:15], 3, s[42:43]
	v_mov_b32_e32 v17, v7
	v_lshl_add_u64 v[14:15], v[14:15], 0, v[16:17]
	s_waitcnt lgkmcnt(1)
	global_store_dwordx2 v[14:15], v[10:11], off
	s_waitcnt lgkmcnt(0)
	v_lshl_add_u64 v[2:3], v[2:3], 3, s[42:43]
	v_add_u32_e32 v10, 0x5000, v5
	v_mov_b32_e32 v11, v7
	v_lshl_add_u64 v[2:3], v[2:3], 0, v[10:11]
	global_store_dwordx2 v[2:3], v[12:13], off
	s_and_saveexec_b64 s[2:3], s[0:1]
	s_cbranch_execz .LBB181_131
; %bb.130:
	ds_read_b64 v[2:3], v5
	v_mov_b32_e32 v9, v7
	v_lshl_add_u64 v[0:1], v[0:1], 0, v[8:9]
	s_waitcnt lgkmcnt(0)
	v_lshl_add_u64 v[0:1], v[0:1], 0, v[2:3]
	global_store_dwordx2 v6, v[0:1], s[30:31]
.LBB181_131:
	s_endpgm
	.section	.rodata,"a",@progbits
	.p2align	6, 0x0
	.amdhsa_kernel _ZN7rocprim17ROCPRIM_304000_NS6detail25onesweep_iteration_kernelINS1_34wrapped_radix_sort_onesweep_configINS0_14default_configEbN2at4cuda3cub6detail10OpaqueTypeILi8EEEEELb0EPbSC_PSA_SD_mNS0_19identity_decomposerEEEvT1_T2_T3_T4_jPT5_SK_PNS1_23onesweep_lookback_stateET6_jjj
		.amdhsa_group_segment_fixed_size 26624
		.amdhsa_private_segment_fixed_size 0
		.amdhsa_kernarg_size 336
		.amdhsa_user_sgpr_count 2
		.amdhsa_user_sgpr_dispatch_ptr 0
		.amdhsa_user_sgpr_queue_ptr 0
		.amdhsa_user_sgpr_kernarg_segment_ptr 1
		.amdhsa_user_sgpr_dispatch_id 0
		.amdhsa_user_sgpr_kernarg_preload_length 0
		.amdhsa_user_sgpr_kernarg_preload_offset 0
		.amdhsa_user_sgpr_private_segment_size 0
		.amdhsa_uses_dynamic_stack 0
		.amdhsa_enable_private_segment 0
		.amdhsa_system_sgpr_workgroup_id_x 1
		.amdhsa_system_sgpr_workgroup_id_y 0
		.amdhsa_system_sgpr_workgroup_id_z 0
		.amdhsa_system_sgpr_workgroup_info 0
		.amdhsa_system_vgpr_workitem_id 2
		.amdhsa_next_free_vgpr 49
		.amdhsa_next_free_sgpr 50
		.amdhsa_accum_offset 52
		.amdhsa_reserve_vcc 1
		.amdhsa_float_round_mode_32 0
		.amdhsa_float_round_mode_16_64 0
		.amdhsa_float_denorm_mode_32 3
		.amdhsa_float_denorm_mode_16_64 3
		.amdhsa_dx10_clamp 1
		.amdhsa_ieee_mode 1
		.amdhsa_fp16_overflow 0
		.amdhsa_tg_split 0
		.amdhsa_exception_fp_ieee_invalid_op 0
		.amdhsa_exception_fp_denorm_src 0
		.amdhsa_exception_fp_ieee_div_zero 0
		.amdhsa_exception_fp_ieee_overflow 0
		.amdhsa_exception_fp_ieee_underflow 0
		.amdhsa_exception_fp_ieee_inexact 0
		.amdhsa_exception_int_div_zero 0
	.end_amdhsa_kernel
	.section	.text._ZN7rocprim17ROCPRIM_304000_NS6detail25onesweep_iteration_kernelINS1_34wrapped_radix_sort_onesweep_configINS0_14default_configEbN2at4cuda3cub6detail10OpaqueTypeILi8EEEEELb0EPbSC_PSA_SD_mNS0_19identity_decomposerEEEvT1_T2_T3_T4_jPT5_SK_PNS1_23onesweep_lookback_stateET6_jjj,"axG",@progbits,_ZN7rocprim17ROCPRIM_304000_NS6detail25onesweep_iteration_kernelINS1_34wrapped_radix_sort_onesweep_configINS0_14default_configEbN2at4cuda3cub6detail10OpaqueTypeILi8EEEEELb0EPbSC_PSA_SD_mNS0_19identity_decomposerEEEvT1_T2_T3_T4_jPT5_SK_PNS1_23onesweep_lookback_stateET6_jjj,comdat
.Lfunc_end181:
	.size	_ZN7rocprim17ROCPRIM_304000_NS6detail25onesweep_iteration_kernelINS1_34wrapped_radix_sort_onesweep_configINS0_14default_configEbN2at4cuda3cub6detail10OpaqueTypeILi8EEEEELb0EPbSC_PSA_SD_mNS0_19identity_decomposerEEEvT1_T2_T3_T4_jPT5_SK_PNS1_23onesweep_lookback_stateET6_jjj, .Lfunc_end181-_ZN7rocprim17ROCPRIM_304000_NS6detail25onesweep_iteration_kernelINS1_34wrapped_radix_sort_onesweep_configINS0_14default_configEbN2at4cuda3cub6detail10OpaqueTypeILi8EEEEELb0EPbSC_PSA_SD_mNS0_19identity_decomposerEEEvT1_T2_T3_T4_jPT5_SK_PNS1_23onesweep_lookback_stateET6_jjj
                                        ; -- End function
	.set _ZN7rocprim17ROCPRIM_304000_NS6detail25onesweep_iteration_kernelINS1_34wrapped_radix_sort_onesweep_configINS0_14default_configEbN2at4cuda3cub6detail10OpaqueTypeILi8EEEEELb0EPbSC_PSA_SD_mNS0_19identity_decomposerEEEvT1_T2_T3_T4_jPT5_SK_PNS1_23onesweep_lookback_stateET6_jjj.num_vgpr, 49
	.set _ZN7rocprim17ROCPRIM_304000_NS6detail25onesweep_iteration_kernelINS1_34wrapped_radix_sort_onesweep_configINS0_14default_configEbN2at4cuda3cub6detail10OpaqueTypeILi8EEEEELb0EPbSC_PSA_SD_mNS0_19identity_decomposerEEEvT1_T2_T3_T4_jPT5_SK_PNS1_23onesweep_lookback_stateET6_jjj.num_agpr, 0
	.set _ZN7rocprim17ROCPRIM_304000_NS6detail25onesweep_iteration_kernelINS1_34wrapped_radix_sort_onesweep_configINS0_14default_configEbN2at4cuda3cub6detail10OpaqueTypeILi8EEEEELb0EPbSC_PSA_SD_mNS0_19identity_decomposerEEEvT1_T2_T3_T4_jPT5_SK_PNS1_23onesweep_lookback_stateET6_jjj.numbered_sgpr, 50
	.set _ZN7rocprim17ROCPRIM_304000_NS6detail25onesweep_iteration_kernelINS1_34wrapped_radix_sort_onesweep_configINS0_14default_configEbN2at4cuda3cub6detail10OpaqueTypeILi8EEEEELb0EPbSC_PSA_SD_mNS0_19identity_decomposerEEEvT1_T2_T3_T4_jPT5_SK_PNS1_23onesweep_lookback_stateET6_jjj.num_named_barrier, 0
	.set _ZN7rocprim17ROCPRIM_304000_NS6detail25onesweep_iteration_kernelINS1_34wrapped_radix_sort_onesweep_configINS0_14default_configEbN2at4cuda3cub6detail10OpaqueTypeILi8EEEEELb0EPbSC_PSA_SD_mNS0_19identity_decomposerEEEvT1_T2_T3_T4_jPT5_SK_PNS1_23onesweep_lookback_stateET6_jjj.private_seg_size, 0
	.set _ZN7rocprim17ROCPRIM_304000_NS6detail25onesweep_iteration_kernelINS1_34wrapped_radix_sort_onesweep_configINS0_14default_configEbN2at4cuda3cub6detail10OpaqueTypeILi8EEEEELb0EPbSC_PSA_SD_mNS0_19identity_decomposerEEEvT1_T2_T3_T4_jPT5_SK_PNS1_23onesweep_lookback_stateET6_jjj.uses_vcc, 1
	.set _ZN7rocprim17ROCPRIM_304000_NS6detail25onesweep_iteration_kernelINS1_34wrapped_radix_sort_onesweep_configINS0_14default_configEbN2at4cuda3cub6detail10OpaqueTypeILi8EEEEELb0EPbSC_PSA_SD_mNS0_19identity_decomposerEEEvT1_T2_T3_T4_jPT5_SK_PNS1_23onesweep_lookback_stateET6_jjj.uses_flat_scratch, 0
	.set _ZN7rocprim17ROCPRIM_304000_NS6detail25onesweep_iteration_kernelINS1_34wrapped_radix_sort_onesweep_configINS0_14default_configEbN2at4cuda3cub6detail10OpaqueTypeILi8EEEEELb0EPbSC_PSA_SD_mNS0_19identity_decomposerEEEvT1_T2_T3_T4_jPT5_SK_PNS1_23onesweep_lookback_stateET6_jjj.has_dyn_sized_stack, 0
	.set _ZN7rocprim17ROCPRIM_304000_NS6detail25onesweep_iteration_kernelINS1_34wrapped_radix_sort_onesweep_configINS0_14default_configEbN2at4cuda3cub6detail10OpaqueTypeILi8EEEEELb0EPbSC_PSA_SD_mNS0_19identity_decomposerEEEvT1_T2_T3_T4_jPT5_SK_PNS1_23onesweep_lookback_stateET6_jjj.has_recursion, 0
	.set _ZN7rocprim17ROCPRIM_304000_NS6detail25onesweep_iteration_kernelINS1_34wrapped_radix_sort_onesweep_configINS0_14default_configEbN2at4cuda3cub6detail10OpaqueTypeILi8EEEEELb0EPbSC_PSA_SD_mNS0_19identity_decomposerEEEvT1_T2_T3_T4_jPT5_SK_PNS1_23onesweep_lookback_stateET6_jjj.has_indirect_call, 0
	.section	.AMDGPU.csdata,"",@progbits
; Kernel info:
; codeLenInByte = 7532
; TotalNumSgprs: 56
; NumVgprs: 49
; NumAgprs: 0
; TotalNumVgprs: 49
; ScratchSize: 0
; MemoryBound: 0
; FloatMode: 240
; IeeeMode: 1
; LDSByteSize: 26624 bytes/workgroup (compile time only)
; SGPRBlocks: 6
; VGPRBlocks: 6
; NumSGPRsForWavesPerEU: 56
; NumVGPRsForWavesPerEU: 49
; AccumOffset: 52
; Occupancy: 8
; WaveLimiterHint : 1
; COMPUTE_PGM_RSRC2:SCRATCH_EN: 0
; COMPUTE_PGM_RSRC2:USER_SGPR: 2
; COMPUTE_PGM_RSRC2:TRAP_HANDLER: 0
; COMPUTE_PGM_RSRC2:TGID_X_EN: 1
; COMPUTE_PGM_RSRC2:TGID_Y_EN: 0
; COMPUTE_PGM_RSRC2:TGID_Z_EN: 0
; COMPUTE_PGM_RSRC2:TIDIG_COMP_CNT: 2
; COMPUTE_PGM_RSRC3_GFX90A:ACCUM_OFFSET: 12
; COMPUTE_PGM_RSRC3_GFX90A:TG_SPLIT: 0
	.section	.text._ZN7rocprim17ROCPRIM_304000_NS6detail28radix_sort_block_sort_kernelINS1_36wrapped_radix_sort_block_sort_configINS0_13kernel_configILj256ELj4ELj4294967295EEE6__halfN2at4cuda3cub6detail10OpaqueTypeILi8EEEEELb1EPKS6_PS6_PKSC_PSC_NS0_19identity_decomposerEEEvT1_T2_T3_T4_jT5_jj,"axG",@progbits,_ZN7rocprim17ROCPRIM_304000_NS6detail28radix_sort_block_sort_kernelINS1_36wrapped_radix_sort_block_sort_configINS0_13kernel_configILj256ELj4ELj4294967295EEE6__halfN2at4cuda3cub6detail10OpaqueTypeILi8EEEEELb1EPKS6_PS6_PKSC_PSC_NS0_19identity_decomposerEEEvT1_T2_T3_T4_jT5_jj,comdat
	.protected	_ZN7rocprim17ROCPRIM_304000_NS6detail28radix_sort_block_sort_kernelINS1_36wrapped_radix_sort_block_sort_configINS0_13kernel_configILj256ELj4ELj4294967295EEE6__halfN2at4cuda3cub6detail10OpaqueTypeILi8EEEEELb1EPKS6_PS6_PKSC_PSC_NS0_19identity_decomposerEEEvT1_T2_T3_T4_jT5_jj ; -- Begin function _ZN7rocprim17ROCPRIM_304000_NS6detail28radix_sort_block_sort_kernelINS1_36wrapped_radix_sort_block_sort_configINS0_13kernel_configILj256ELj4ELj4294967295EEE6__halfN2at4cuda3cub6detail10OpaqueTypeILi8EEEEELb1EPKS6_PS6_PKSC_PSC_NS0_19identity_decomposerEEEvT1_T2_T3_T4_jT5_jj
	.globl	_ZN7rocprim17ROCPRIM_304000_NS6detail28radix_sort_block_sort_kernelINS1_36wrapped_radix_sort_block_sort_configINS0_13kernel_configILj256ELj4ELj4294967295EEE6__halfN2at4cuda3cub6detail10OpaqueTypeILi8EEEEELb1EPKS6_PS6_PKSC_PSC_NS0_19identity_decomposerEEEvT1_T2_T3_T4_jT5_jj
	.p2align	8
	.type	_ZN7rocprim17ROCPRIM_304000_NS6detail28radix_sort_block_sort_kernelINS1_36wrapped_radix_sort_block_sort_configINS0_13kernel_configILj256ELj4ELj4294967295EEE6__halfN2at4cuda3cub6detail10OpaqueTypeILi8EEEEELb1EPKS6_PS6_PKSC_PSC_NS0_19identity_decomposerEEEvT1_T2_T3_T4_jT5_jj,@function
_ZN7rocprim17ROCPRIM_304000_NS6detail28radix_sort_block_sort_kernelINS1_36wrapped_radix_sort_block_sort_configINS0_13kernel_configILj256ELj4ELj4294967295EEE6__halfN2at4cuda3cub6detail10OpaqueTypeILi8EEEEELb1EPKS6_PS6_PKSC_PSC_NS0_19identity_decomposerEEEvT1_T2_T3_T4_jT5_jj: ; @_ZN7rocprim17ROCPRIM_304000_NS6detail28radix_sort_block_sort_kernelINS1_36wrapped_radix_sort_block_sort_configINS0_13kernel_configILj256ELj4ELj4294967295EEE6__halfN2at4cuda3cub6detail10OpaqueTypeILi8EEEEELb1EPKS6_PS6_PKSC_PSC_NS0_19identity_decomposerEEEvT1_T2_T3_T4_jT5_jj
; %bb.0:
	s_load_dword s4, s[0:1], 0x20
	s_load_dwordx8 s[36:43], s[0:1], 0x0
	s_lshl_b32 s28, s2, 10
	s_mov_b32 s29, 0
	v_and_b32_e32 v8, 0x3ff, v0
	s_waitcnt lgkmcnt(0)
	s_lshr_b32 s3, s4, 10
	s_cmp_lg_u32 s2, s3
	s_cselect_b64 s[30:31], -1, 0
	s_lshl_b64 s[34:35], s[28:29], 1
	v_mbcnt_lo_u32_b32 v1, -1, 0
	s_add_u32 s6, s36, s34
	v_mbcnt_hi_u32_b32 v1, -1, v1
	v_lshlrev_b32_e32 v10, 2, v8
	s_addc_u32 s7, s37, s35
	v_and_b32_e32 v11, 0x300, v10
	v_mov_b32_e32 v3, 0
	v_lshlrev_b32_e32 v2, 1, v1
	v_lshl_add_u64 v[4:5], s[6:7], 0, v[2:3]
	v_lshlrev_b32_e32 v2, 1, v11
	s_cmp_eq_u32 s2, s3
	v_lshl_add_u64 v[6:7], v[4:5], 0, v[2:3]
	v_lshlrev_b32_e32 v2, 3, v1
	v_lshlrev_b32_e32 v4, 3, v11
	v_add_u32_e32 v9, v1, v11
	s_cbranch_scc1 .LBB182_2
; %bb.1:
	s_lshl_b64 s[2:3], s[28:29], 3
	s_add_u32 s2, s40, s2
	s_addc_u32 s3, s41, s3
	v_lshl_add_u64 v[14:15], s[2:3], 0, v[2:3]
	v_mov_b32_e32 v5, v3
	v_lshl_add_u64 v[14:15], v[14:15], 0, v[4:5]
	global_load_ushort v13, v[6:7], off
	global_load_ushort v12, v[6:7], off offset:128
	global_load_ushort v17, v[6:7], off offset:256
	;; [unrolled: 1-line block ×3, first 2 shown]
	global_load_dwordx2 v[48:49], v[14:15], off
	global_load_dwordx2 v[50:51], v[14:15], off offset:512
	global_load_dwordx2 v[52:53], v[14:15], off offset:1024
	;; [unrolled: 1-line block ×3, first 2 shown]
	v_add_u32_e32 v5, v1, v11
	v_add_u32_e32 v11, 64, v5
	;; [unrolled: 1-line block ×4, first 2 shown]
	s_sub_i32 s33, s4, s28
	s_cbranch_execz .LBB182_3
	s_branch .LBB182_17
.LBB182_2:
                                        ; implicit-def: $vgpr48_vgpr49
                                        ; implicit-def: $vgpr50_vgpr51
                                        ; implicit-def: $vgpr52_vgpr53
                                        ; implicit-def: $vgpr54_vgpr55
                                        ; implicit-def: $vgpr13
                                        ; implicit-def: $vgpr12
                                        ; implicit-def: $vgpr17
                                        ; implicit-def: $vgpr16
                                        ; implicit-def: $vgpr5
                                        ; implicit-def: $vgpr11
                                        ; implicit-def: $vgpr14
                                        ; implicit-def: $vgpr15
	s_sub_i32 s33, s4, s28
.LBB182_3:
	v_cmp_gt_u32_e32 vcc, s33, v9
	s_waitcnt vmcnt(6)
	v_mov_b32_e32 v12, -1
	v_mov_b32_e32 v13, -1
	s_and_saveexec_b64 s[2:3], vcc
	s_cbranch_execz .LBB182_5
; %bb.4:
	global_load_ushort v13, v[6:7], off
.LBB182_5:
	s_or_b64 exec, exec, s[2:3]
	v_add_u32_e32 v11, 64, v9
	v_cmp_gt_u32_e64 s[2:3], s33, v11
	s_and_saveexec_b64 s[4:5], s[2:3]
	s_cbranch_execz .LBB182_7
; %bb.6:
	global_load_ushort v12, v[6:7], off offset:128
.LBB182_7:
	s_or_b64 exec, exec, s[4:5]
	v_add_u32_e32 v14, 0x80, v9
	v_cmp_gt_u32_e64 s[4:5], s33, v14
	s_waitcnt vmcnt(4)
	v_mov_b32_e32 v16, -1
	v_mov_b32_e32 v17, -1
	s_and_saveexec_b64 s[6:7], s[4:5]
	s_cbranch_execz .LBB182_9
; %bb.8:
	global_load_ushort v17, v[6:7], off offset:256
.LBB182_9:
	s_or_b64 exec, exec, s[6:7]
	v_add_u32_e32 v15, 0xc0, v9
	v_cmp_gt_u32_e64 s[6:7], s33, v15
	s_and_saveexec_b64 s[8:9], s[6:7]
	s_cbranch_execz .LBB182_11
; %bb.10:
	global_load_ushort v16, v[6:7], off offset:384
.LBB182_11:
	s_or_b64 exec, exec, s[8:9]
	s_lshl_b64 s[8:9], s[28:29], 3
	s_add_u32 s8, s40, s8
	s_addc_u32 s9, s41, s9
	v_mov_b32_e32 v3, 0
	v_lshl_add_u64 v[6:7], s[8:9], 0, v[2:3]
	v_mov_b32_e32 v5, v3
	v_lshl_add_u64 v[2:3], v[6:7], 0, v[4:5]
                                        ; implicit-def: $vgpr48_vgpr49
	s_and_saveexec_b64 s[8:9], vcc
	s_cbranch_execnz .LBB182_54
; %bb.12:
	s_or_b64 exec, exec, s[8:9]
                                        ; implicit-def: $vgpr50_vgpr51
	s_and_saveexec_b64 s[8:9], s[2:3]
	s_cbranch_execnz .LBB182_55
.LBB182_13:
	s_or_b64 exec, exec, s[8:9]
                                        ; implicit-def: $vgpr52_vgpr53
	s_and_saveexec_b64 s[2:3], s[4:5]
	s_cbranch_execnz .LBB182_56
.LBB182_14:
	s_or_b64 exec, exec, s[2:3]
                                        ; implicit-def: $vgpr54_vgpr55
	s_and_saveexec_b64 s[2:3], s[6:7]
	s_cbranch_execz .LBB182_16
.LBB182_15:
	global_load_dwordx2 v[54:55], v[2:3], off offset:1536
.LBB182_16:
	s_or_b64 exec, exec, s[2:3]
	v_mov_b32_e32 v5, v9
.LBB182_17:
	s_load_dwordx2 s[36:37], s[0:1], 0x28
	v_mov_b32_e32 v9, 0x7fff
	s_load_dword s0, s[0:1], 0x3c
	s_waitcnt vmcnt(0)
	v_cmp_gt_i16_e32 vcc, 0, v13
	s_mov_b32 s26, 0
	v_cmp_lt_u32_e64 s[10:11], 31, v1
	v_cndmask_b32_e64 v2, v9, 0, vcc
	v_cmp_gt_i16_e32 vcc, 0, v12
	v_xor_b32_e32 v3, v2, v13
	s_waitcnt lgkmcnt(0)
	s_lshr_b32 s1, s0, 16
	v_cndmask_b32_e64 v2, v9, 0, vcc
	v_cmp_gt_i16_e32 vcc, 0, v17
	v_xor_b32_e32 v39, v2, v12
	s_and_b32 s0, s0, 0xffff
	v_cndmask_b32_e64 v2, v9, 0, vcc
	v_cmp_gt_i16_e32 vcc, 0, v16
	v_xor_b32_e32 v40, v2, v17
	v_lshlrev_b32_e32 v21, 2, v10
	v_cndmask_b32_e64 v2, v9, 0, vcc
	v_xor_b32_e32 v41, v2, v16
	v_bfe_u32 v2, v0, 10, 10
	v_bfe_u32 v0, v0, 20, 10
	v_mad_u32_u24 v0, v0, s1, v2
	v_mad_u64_u32 v[6:7], s[0:1], v0, s0, v[8:9]
	v_lshrrev_b32_e32 v0, 4, v6
	v_and_b32_e32 v22, 0xffffffc, v0
	v_and_b32_e32 v0, 15, v1
	v_cmp_eq_u32_e64 s[0:1], 0, v0
	v_cmp_lt_u32_e64 s[2:3], 1, v0
	v_cmp_lt_u32_e64 s[4:5], 3, v0
	;; [unrolled: 1-line block ×3, first 2 shown]
	v_and_b32_e32 v0, 16, v1
	v_cmp_eq_u32_e64 s[8:9], 0, v0
	v_and_b32_e32 v0, 0x3c0, v8
	v_min_u32_e32 v0, 0xc0, v0
	v_or_b32_e32 v0, 63, v0
	v_cmp_eq_u32_e64 s[12:13], v8, v0
	v_subrev_co_u32_e64 v0, s[18:19], 1, v1
	v_and_b32_e32 v2, 64, v1
	v_cmp_lt_i32_e32 vcc, v0, v2
	v_lshlrev_b32_e32 v26, 1, v5
	v_lshlrev_b32_e32 v27, 1, v11
	v_cndmask_b32_e32 v0, v0, v1, vcc
	v_lshlrev_b32_e32 v23, 2, v0
	v_lshrrev_b32_e32 v0, 4, v8
	v_and_b32_e32 v1, 3, v1
	v_and_b32_e32 v24, 60, v0
	v_mul_i32_i24_e32 v0, -12, v8
	v_cmp_eq_u32_e64 s[22:23], 0, v1
	v_cmp_lt_u32_e64 s[24:25], 1, v1
	v_lshlrev_b32_e32 v28, 1, v14
	v_lshlrev_b32_e32 v29, 1, v15
	v_mul_lo_u32 v1, v5, 6
	v_mul_lo_u32 v2, v11, 6
	;; [unrolled: 1-line block ×4, first 2 shown]
	s_mov_b32 s27, s26
	s_mov_b32 s44, s26
	;; [unrolled: 1-line block ×3, first 2 shown]
	s_add_i32 s40, s37, s36
	v_cmp_gt_u32_e64 s[14:15], 4, v8
	v_cmp_lt_u32_e64 s[16:17], 63, v8
	v_cmp_eq_u32_e64 s[20:21], 0, v8
	v_add_u32_e32 v25, -4, v24
	v_mov_b64_e32 v[14:15], s[26:27]
	v_mov_b64_e32 v[16:17], s[44:45]
	s_movk_i32 s41, 0x8000
	v_mov_b32_e32 v19, 0
	v_add_u32_e32 v30, v21, v0
	v_add_u32_e32 v31, v26, v1
	;; [unrolled: 1-line block ×5, first 2 shown]
	s_branch .LBB182_19
.LBB182_18:                             ;   in Loop: Header=BB182_19 Depth=1
	s_andn2_b64 vcc, exec, s[26:27]
	s_cbranch_vccz .LBB182_35
.LBB182_19:                             ; =>This Inner Loop Header: Depth=1
	v_mov_b32_e32 v38, v3
	v_cmp_ne_u16_e32 vcc, s41, v38
	s_min_u32 s26, s37, 8
	s_lshl_b32 s44, -1, s26
	v_cndmask_b32_e32 v0, v9, v38, vcc
	v_lshrrev_b32_sdwa v0, s36, v0 dst_sel:DWORD dst_unused:UNUSED_PAD src0_sel:DWORD src1_sel:WORD_0
	v_bitop3_b32 v2, v0, s44, v0 bitop3:0x30
	v_and_b32_e32 v18, 1, v2
	v_lshl_add_u64 v[0:1], v[18:19], 0, -1
	v_cmp_ne_u32_e32 vcc, 0, v18
	v_lshlrev_b32_e32 v3, 4, v2
	v_mov_b64_e32 v[12:13], v[48:49]
	v_xor_b32_e32 v1, vcc_hi, v1
	v_xor_b32_e32 v0, vcc_lo, v0
	v_and_b32_e32 v18, exec_hi, v1
	v_and_b32_e32 v20, exec_lo, v0
	v_lshlrev_b32_e32 v1, 30, v2
	v_mov_b32_e32 v0, v19
	v_cmp_gt_i64_e32 vcc, 0, v[0:1]
	v_not_b32_e32 v0, v1
	v_ashrrev_i32_e32 v0, 31, v0
	v_xor_b32_e32 v1, vcc_hi, v0
	v_xor_b32_e32 v0, vcc_lo, v0
	v_and_b32_e32 v18, v18, v1
	v_and_b32_e32 v20, v20, v0
	v_lshlrev_b32_e32 v1, 29, v2
	v_mov_b32_e32 v0, v19
	v_cmp_gt_i64_e32 vcc, 0, v[0:1]
	v_not_b32_e32 v0, v1
	v_ashrrev_i32_e32 v0, 31, v0
	v_xor_b32_e32 v1, vcc_hi, v0
	v_xor_b32_e32 v0, vcc_lo, v0
	v_and_b32_e32 v18, v18, v1
	v_and_b32_e32 v20, v20, v0
	;; [unrolled: 9-line block ×7, first 2 shown]
	v_mbcnt_lo_u32_b32 v2, v0, 0
	v_mbcnt_hi_u32_b32 v20, v1, v2
	v_cmp_eq_u32_e32 vcc, 0, v20
	v_cmp_ne_u64_e64 s[26:27], 0, v[0:1]
	v_mov_b64_e32 v[10:11], v[50:51]
	v_mov_b64_e32 v[6:7], v[52:53]
	;; [unrolled: 1-line block ×3, first 2 shown]
	v_mov_b32_e32 v37, v39
	v_mov_b32_e32 v36, v40
	;; [unrolled: 1-line block ×3, first 2 shown]
	s_and_b64 s[46:47], s[26:27], vcc
	v_add_u32_e32 v39, v22, v3
	ds_write2_b64 v21, v[14:15], v[16:17] offset0:2 offset1:3
	s_waitcnt lgkmcnt(0)
	s_barrier
	; wave barrier
	s_and_saveexec_b64 s[26:27], s[46:47]
; %bb.20:                               ;   in Loop: Header=BB182_19 Depth=1
	v_bcnt_u32_b32 v0, v0, 0
	v_bcnt_u32_b32 v0, v1, v0
	ds_write_b32 v39, v0 offset:16
; %bb.21:                               ;   in Loop: Header=BB182_19 Depth=1
	s_or_b64 exec, exec, s[26:27]
	v_cmp_ne_u16_e32 vcc, s41, v37
	s_not_b32 s44, s44
	s_nop 0
	v_cndmask_b32_e32 v0, v9, v37, vcc
	v_lshrrev_b32_sdwa v0, s36, v0 dst_sel:DWORD dst_unused:UNUSED_PAD src0_sel:DWORD src1_sel:WORD_0
	v_and_b32_e32 v2, s44, v0
	v_lshlrev_b32_e32 v0, 4, v2
	v_and_b32_e32 v18, 1, v2
	v_add_u32_e32 v41, v22, v0
	v_lshl_add_u64 v[0:1], v[18:19], 0, -1
	v_cmp_ne_u32_e32 vcc, 0, v18
	; wave barrier
	ds_read_b32 v40, v41 offset:16
	s_nop 0
	v_xor_b32_e32 v1, vcc_hi, v1
	v_xor_b32_e32 v0, vcc_lo, v0
	v_and_b32_e32 v3, exec_hi, v1
	v_and_b32_e32 v18, exec_lo, v0
	v_lshlrev_b32_e32 v1, 30, v2
	v_mov_b32_e32 v0, v19
	v_cmp_gt_i64_e32 vcc, 0, v[0:1]
	v_not_b32_e32 v0, v1
	v_ashrrev_i32_e32 v0, 31, v0
	v_xor_b32_e32 v1, vcc_hi, v0
	v_xor_b32_e32 v0, vcc_lo, v0
	v_and_b32_e32 v3, v3, v1
	v_and_b32_e32 v18, v18, v0
	v_lshlrev_b32_e32 v1, 29, v2
	v_mov_b32_e32 v0, v19
	v_cmp_gt_i64_e32 vcc, 0, v[0:1]
	v_not_b32_e32 v0, v1
	v_ashrrev_i32_e32 v0, 31, v0
	v_xor_b32_e32 v1, vcc_hi, v0
	v_xor_b32_e32 v0, vcc_lo, v0
	v_and_b32_e32 v3, v3, v1
	v_and_b32_e32 v18, v18, v0
	;; [unrolled: 9-line block ×7, first 2 shown]
	v_mbcnt_lo_u32_b32 v2, v0, 0
	v_mbcnt_hi_u32_b32 v42, v1, v2
	v_cmp_eq_u32_e32 vcc, 0, v42
	v_cmp_ne_u64_e64 s[26:27], 0, v[0:1]
	s_and_b64 s[46:47], s[26:27], vcc
	; wave barrier
	s_and_saveexec_b64 s[26:27], s[46:47]
	s_cbranch_execz .LBB182_23
; %bb.22:                               ;   in Loop: Header=BB182_19 Depth=1
	v_bcnt_u32_b32 v0, v0, 0
	v_bcnt_u32_b32 v0, v1, v0
	s_waitcnt lgkmcnt(0)
	v_add_u32_e32 v0, v40, v0
	ds_write_b32 v41, v0 offset:16
.LBB182_23:                             ;   in Loop: Header=BB182_19 Depth=1
	s_or_b64 exec, exec, s[26:27]
	v_cmp_ne_u16_e32 vcc, s41, v36
	; wave barrier
	s_nop 1
	v_cndmask_b32_e32 v0, v9, v36, vcc
	v_lshrrev_b32_sdwa v0, s36, v0 dst_sel:DWORD dst_unused:UNUSED_PAD src0_sel:DWORD src1_sel:WORD_0
	v_and_b32_e32 v2, s44, v0
	v_lshlrev_b32_e32 v0, 4, v2
	v_and_b32_e32 v18, 1, v2
	v_add_u32_e32 v44, v22, v0
	v_lshl_add_u64 v[0:1], v[18:19], 0, -1
	v_cmp_ne_u32_e32 vcc, 0, v18
	ds_read_b32 v43, v44 offset:16
	s_nop 0
	v_xor_b32_e32 v1, vcc_hi, v1
	v_xor_b32_e32 v0, vcc_lo, v0
	v_and_b32_e32 v3, exec_hi, v1
	v_and_b32_e32 v18, exec_lo, v0
	v_lshlrev_b32_e32 v1, 30, v2
	v_mov_b32_e32 v0, v19
	v_cmp_gt_i64_e32 vcc, 0, v[0:1]
	v_not_b32_e32 v0, v1
	v_ashrrev_i32_e32 v0, 31, v0
	v_xor_b32_e32 v1, vcc_hi, v0
	v_xor_b32_e32 v0, vcc_lo, v0
	v_and_b32_e32 v3, v3, v1
	v_and_b32_e32 v18, v18, v0
	v_lshlrev_b32_e32 v1, 29, v2
	v_mov_b32_e32 v0, v19
	v_cmp_gt_i64_e32 vcc, 0, v[0:1]
	v_not_b32_e32 v0, v1
	v_ashrrev_i32_e32 v0, 31, v0
	v_xor_b32_e32 v1, vcc_hi, v0
	v_xor_b32_e32 v0, vcc_lo, v0
	v_and_b32_e32 v3, v3, v1
	v_and_b32_e32 v18, v18, v0
	;; [unrolled: 9-line block ×7, first 2 shown]
	v_mbcnt_lo_u32_b32 v2, v0, 0
	v_mbcnt_hi_u32_b32 v45, v1, v2
	v_cmp_eq_u32_e32 vcc, 0, v45
	v_cmp_ne_u64_e64 s[26:27], 0, v[0:1]
	s_and_b64 s[46:47], s[26:27], vcc
	; wave barrier
	s_and_saveexec_b64 s[26:27], s[46:47]
	s_cbranch_execz .LBB182_25
; %bb.24:                               ;   in Loop: Header=BB182_19 Depth=1
	v_bcnt_u32_b32 v0, v0, 0
	v_bcnt_u32_b32 v0, v1, v0
	s_waitcnt lgkmcnt(0)
	v_add_u32_e32 v0, v43, v0
	ds_write_b32 v44, v0 offset:16
.LBB182_25:                             ;   in Loop: Header=BB182_19 Depth=1
	s_or_b64 exec, exec, s[26:27]
	v_cmp_ne_u16_e32 vcc, s41, v35
	; wave barrier
	s_nop 1
	v_cndmask_b32_e32 v0, v9, v35, vcc
	v_lshrrev_b32_sdwa v0, s36, v0 dst_sel:DWORD dst_unused:UNUSED_PAD src0_sel:DWORD src1_sel:WORD_0
	v_and_b32_e32 v2, s44, v0
	v_lshlrev_b32_e32 v0, 4, v2
	v_and_b32_e32 v18, 1, v2
	v_add_u32_e32 v47, v22, v0
	v_lshl_add_u64 v[0:1], v[18:19], 0, -1
	v_cmp_ne_u32_e32 vcc, 0, v18
	ds_read_b32 v46, v47 offset:16
	s_nop 0
	v_xor_b32_e32 v1, vcc_hi, v1
	v_xor_b32_e32 v0, vcc_lo, v0
	v_and_b32_e32 v3, exec_hi, v1
	v_and_b32_e32 v18, exec_lo, v0
	v_lshlrev_b32_e32 v1, 30, v2
	v_mov_b32_e32 v0, v19
	v_cmp_gt_i64_e32 vcc, 0, v[0:1]
	v_not_b32_e32 v0, v1
	v_ashrrev_i32_e32 v0, 31, v0
	v_xor_b32_e32 v1, vcc_hi, v0
	v_xor_b32_e32 v0, vcc_lo, v0
	v_and_b32_e32 v3, v3, v1
	v_and_b32_e32 v18, v18, v0
	v_lshlrev_b32_e32 v1, 29, v2
	v_mov_b32_e32 v0, v19
	v_cmp_gt_i64_e32 vcc, 0, v[0:1]
	v_not_b32_e32 v0, v1
	v_ashrrev_i32_e32 v0, 31, v0
	v_xor_b32_e32 v1, vcc_hi, v0
	v_xor_b32_e32 v0, vcc_lo, v0
	v_and_b32_e32 v3, v3, v1
	v_and_b32_e32 v18, v18, v0
	;; [unrolled: 9-line block ×7, first 2 shown]
	v_mbcnt_lo_u32_b32 v2, v0, 0
	v_mbcnt_hi_u32_b32 v18, v1, v2
	v_cmp_eq_u32_e32 vcc, 0, v18
	v_cmp_ne_u64_e64 s[26:27], 0, v[0:1]
	s_and_b64 s[44:45], s[26:27], vcc
	; wave barrier
	s_and_saveexec_b64 s[26:27], s[44:45]
	s_cbranch_execz .LBB182_27
; %bb.26:                               ;   in Loop: Header=BB182_19 Depth=1
	v_bcnt_u32_b32 v0, v0, 0
	v_bcnt_u32_b32 v0, v1, v0
	s_waitcnt lgkmcnt(0)
	v_add_u32_e32 v0, v46, v0
	ds_write_b32 v47, v0 offset:16
.LBB182_27:                             ;   in Loop: Header=BB182_19 Depth=1
	s_or_b64 exec, exec, s[26:27]
	; wave barrier
	s_waitcnt lgkmcnt(0)
	s_barrier
	ds_read2_b64 v[0:3], v21 offset0:2 offset1:3
	s_waitcnt lgkmcnt(0)
	v_add_u32_e32 v48, v1, v0
	v_add3_u32 v3, v48, v2, v3
	s_nop 1
	v_mov_b32_dpp v48, v3 row_shr:1 row_mask:0xf bank_mask:0xf
	v_cndmask_b32_e64 v48, v48, 0, s[0:1]
	v_add_u32_e32 v3, v48, v3
	s_nop 1
	v_mov_b32_dpp v48, v3 row_shr:2 row_mask:0xf bank_mask:0xf
	v_cndmask_b32_e64 v48, 0, v48, s[2:3]
	v_add_u32_e32 v3, v3, v48
	;; [unrolled: 4-line block ×4, first 2 shown]
	s_nop 1
	v_mov_b32_dpp v48, v3 row_bcast:15 row_mask:0xf bank_mask:0xf
	v_cndmask_b32_e64 v48, v48, 0, s[8:9]
	v_add_u32_e32 v3, v3, v48
	s_nop 1
	v_mov_b32_dpp v48, v3 row_bcast:31 row_mask:0xf bank_mask:0xf
	v_cndmask_b32_e64 v48, 0, v48, s[10:11]
	v_add_u32_e32 v3, v3, v48
	s_and_saveexec_b64 s[26:27], s[12:13]
; %bb.28:                               ;   in Loop: Header=BB182_19 Depth=1
	ds_write_b32 v24, v3
; %bb.29:                               ;   in Loop: Header=BB182_19 Depth=1
	s_or_b64 exec, exec, s[26:27]
	s_waitcnt lgkmcnt(0)
	s_barrier
	s_and_saveexec_b64 s[26:27], s[14:15]
	s_cbranch_execz .LBB182_31
; %bb.30:                               ;   in Loop: Header=BB182_19 Depth=1
	ds_read_b32 v48, v30
	s_waitcnt lgkmcnt(0)
	s_nop 0
	v_mov_b32_dpp v49, v48 row_shr:1 row_mask:0xf bank_mask:0xf
	v_cndmask_b32_e64 v49, v49, 0, s[22:23]
	v_add_u32_e32 v48, v49, v48
	s_nop 1
	v_mov_b32_dpp v49, v48 row_shr:2 row_mask:0xf bank_mask:0xf
	v_cndmask_b32_e64 v49, 0, v49, s[24:25]
	v_add_u32_e32 v48, v48, v49
	ds_write_b32 v30, v48
.LBB182_31:                             ;   in Loop: Header=BB182_19 Depth=1
	s_or_b64 exec, exec, s[26:27]
	v_mov_b32_e32 v48, 0
	s_waitcnt lgkmcnt(0)
	s_barrier
	s_and_saveexec_b64 s[26:27], s[16:17]
; %bb.32:                               ;   in Loop: Header=BB182_19 Depth=1
	ds_read_b32 v48, v25
; %bb.33:                               ;   in Loop: Header=BB182_19 Depth=1
	s_or_b64 exec, exec, s[26:27]
	s_waitcnt lgkmcnt(0)
	v_add_u32_e32 v3, v48, v3
	ds_bpermute_b32 v3, v23, v3
	s_add_i32 s36, s36, 8
	s_cmp_ge_u32 s36, s40
	s_mov_b64 s[26:27], -1
                                        ; implicit-def: $vgpr50_vgpr51
                                        ; implicit-def: $vgpr52_vgpr53
                                        ; implicit-def: $vgpr54_vgpr55
	s_waitcnt lgkmcnt(0)
	v_cndmask_b32_e64 v3, v3, v48, s[18:19]
	v_cndmask_b32_e64 v48, v3, 0, s[20:21]
	v_add_u32_e32 v49, v48, v0
	v_add_u32_e32 v0, v49, v1
	;; [unrolled: 1-line block ×3, first 2 shown]
	ds_write2_b64 v21, v[48:49], v[0:1] offset0:2 offset1:3
	s_waitcnt lgkmcnt(0)
	s_barrier
	ds_read_b32 v0, v39 offset:16
	ds_read_b32 v1, v41 offset:16
	;; [unrolled: 1-line block ×4, first 2 shown]
	s_waitcnt lgkmcnt(0)
	v_add_u32_e32 v47, v0, v20
	v_add3_u32 v44, v42, v40, v1
	v_add3_u32 v42, v45, v43, v2
	;; [unrolled: 1-line block ×3, first 2 shown]
	v_lshlrev_b32_e32 v20, 1, v47
	v_lshlrev_b32_e32 v18, 1, v44
	;; [unrolled: 1-line block ×4, first 2 shown]
                                        ; implicit-def: $vgpr48_vgpr49
                                        ; implicit-def: $vgpr3
                                        ; implicit-def: $vgpr39
                                        ; implicit-def: $vgpr40
                                        ; implicit-def: $vgpr41
	s_cbranch_scc1 .LBB182_18
; %bb.34:                               ;   in Loop: Header=BB182_19 Depth=1
	s_barrier
	ds_write_b16 v20, v38
	ds_write_b16 v18, v37
	;; [unrolled: 1-line block ×4, first 2 shown]
	s_waitcnt lgkmcnt(0)
	s_barrier
	ds_read_u16 v3, v26
	ds_read_u16 v39, v27
	;; [unrolled: 1-line block ×4, first 2 shown]
	v_mad_u64_u32 v[48:49], s[26:27], v47, 6, v[20:21]
	s_waitcnt lgkmcnt(0)
	s_barrier
	ds_write_b64 v48, v[12:13]
	v_mad_u64_u32 v[48:49], s[26:27], v44, 6, v[18:19]
	ds_write_b64 v48, v[10:11]
	v_mad_u64_u32 v[48:49], s[26:27], v42, 6, v[2:3]
	;; [unrolled: 2-line block ×3, first 2 shown]
	ds_write_b64 v48, v[4:5]
	s_waitcnt lgkmcnt(0)
	s_barrier
	ds_read_b64 v[48:49], v31
	ds_read_b64 v[50:51], v32
	;; [unrolled: 1-line block ×4, first 2 shown]
	s_add_i32 s37, s37, -8
	s_mov_b64 s[26:27], 0
	s_waitcnt lgkmcnt(0)
	s_barrier
	s_branch .LBB182_18
.LBB182_35:
	v_lshlrev_b32_e32 v14, 1, v8
	s_barrier
	ds_write_b16 v20, v38
	ds_write_b16 v18, v37
	;; [unrolled: 1-line block ×4, first 2 shown]
	s_waitcnt lgkmcnt(0)
	s_barrier
	ds_read_u16 v9, v14
	ds_read_u16 v15, v14 offset:512
	ds_read_u16 v19, v14 offset:1024
	;; [unrolled: 1-line block ×3, first 2 shown]
	s_waitcnt lgkmcnt(0)
	s_barrier
	v_mad_u64_u32 v[2:3], s[0:1], v42, 6, v[2:3]
	v_mad_u64_u32 v[16:17], s[0:1], v47, 6, v[20:21]
	ds_write_b64 v16, v[12:13]
	v_mad_u64_u32 v[12:13], s[0:1], v44, 6, v[18:19]
	v_mad_u64_u32 v[0:1], s[0:1], v1, 6, v[0:1]
	ds_write_b64 v12, v[10:11]
	ds_write_b64 v2, v[6:7]
	ds_write_b64 v0, v[4:5]
	v_mad_u32_u24 v0, v8, 6, v14
	v_mov_b32_e32 v10, 0x7fff
	v_cmp_gt_i16_e32 vcc, 0, v9
	s_waitcnt lgkmcnt(0)
	s_barrier
	ds_read2st64_b64 v[4:7], v0 offset1:4
	ds_read2st64_b64 v[0:3], v0 offset0:8 offset1:12
	v_cndmask_b32_e64 v11, v10, 0, vcc
	v_cmp_gt_i16_e32 vcc, 0, v15
	v_xor_b32_e32 v16, v11, v9
	s_add_u32 s0, s38, s34
	v_cndmask_b32_e64 v9, v10, 0, vcc
	v_cmp_gt_i16_e32 vcc, 0, v19
	v_xor_b32_e32 v13, v9, v15
	s_addc_u32 s1, s39, s35
	v_cndmask_b32_e64 v9, v10, 0, vcc
	v_cmp_gt_i16_e32 vcc, 0, v21
	v_xor_b32_e32 v12, v9, v19
	v_mov_b32_e32 v15, 0
	v_cndmask_b32_e64 v9, v10, 0, vcc
	v_xor_b32_e32 v9, v9, v21
	v_lshl_add_u64 v[10:11], s[0:1], 0, v[14:15]
	s_andn2_b64 vcc, exec, s[30:31]
	v_lshlrev_b32_e32 v14, 3, v8
	s_cbranch_vccnz .LBB182_37
; %bb.36:
	s_lshl_b64 s[0:1], s[28:29], 3
	s_add_u32 s0, s42, s0
	s_addc_u32 s1, s43, s1
	v_lshl_add_u64 v[18:19], s[0:1], 0, v[14:15]
	v_add_co_u32_e32 v18, vcc, 0x1000, v18
	global_store_short v[10:11], v16, off
	global_store_short v[10:11], v13, off offset:512
	global_store_short v[10:11], v12, off offset:1024
	;; [unrolled: 1-line block ×3, first 2 shown]
	s_waitcnt lgkmcnt(1)
	global_store_dwordx2 v14, v[4:5], s[0:1]
	global_store_dwordx2 v14, v[6:7], s[0:1] offset:2048
	v_addc_co_u32_e32 v19, vcc, 0, v19, vcc
	s_mov_b64 s[4:5], -1
	s_waitcnt lgkmcnt(0)
	global_store_dwordx2 v[18:19], v[0:1], off
	s_cbranch_execz .LBB182_38
	s_branch .LBB182_51
.LBB182_37:
	s_mov_b64 s[4:5], 0
.LBB182_38:
	v_cmp_gt_u32_e32 vcc, s33, v8
	s_and_saveexec_b64 s[0:1], vcc
	s_cbranch_execz .LBB182_40
; %bb.39:
	global_store_short v[10:11], v16, off
.LBB182_40:
	s_or_b64 exec, exec, s[0:1]
	v_add_u32_e32 v15, 0x100, v8
	v_cmp_gt_u32_e64 s[0:1], s33, v15
	s_and_saveexec_b64 s[2:3], s[0:1]
	s_cbranch_execz .LBB182_42
; %bb.41:
	global_store_short v[10:11], v13, off offset:512
.LBB182_42:
	s_or_b64 exec, exec, s[2:3]
	v_add_u32_e32 v13, 0x200, v8
	v_cmp_gt_u32_e64 s[2:3], s33, v13
	s_and_saveexec_b64 s[4:5], s[2:3]
	s_cbranch_execz .LBB182_44
; %bb.43:
	global_store_short v[10:11], v12, off offset:1024
.LBB182_44:
	;; [unrolled: 8-line block ×3, first 2 shown]
	s_or_b64 exec, exec, s[6:7]
	s_lshl_b64 s[6:7], s[28:29], 3
	s_add_u32 s6, s42, s6
	s_addc_u32 s7, s43, s7
	v_mov_b32_e32 v15, 0
	v_lshl_add_u64 v[8:9], s[6:7], 0, v[14:15]
	s_and_saveexec_b64 s[6:7], vcc
	s_cbranch_execnz .LBB182_57
; %bb.47:
	s_or_b64 exec, exec, s[6:7]
	s_and_saveexec_b64 s[6:7], s[0:1]
	s_cbranch_execnz .LBB182_58
.LBB182_48:
	s_or_b64 exec, exec, s[6:7]
	s_and_saveexec_b64 s[0:1], s[2:3]
	s_cbranch_execz .LBB182_50
.LBB182_49:
	s_waitcnt lgkmcnt(1)
	v_add_co_u32_e32 v4, vcc, 0x1000, v8
	s_nop 1
	v_addc_co_u32_e32 v5, vcc, 0, v9, vcc
	s_waitcnt lgkmcnt(0)
	global_store_dwordx2 v[4:5], v[0:1], off
.LBB182_50:
	s_or_b64 exec, exec, s[0:1]
.LBB182_51:
	s_and_saveexec_b64 s[0:1], s[4:5]
	s_cbranch_execnz .LBB182_53
; %bb.52:
	s_endpgm
.LBB182_53:
	s_lshl_b64 s[0:1], s[28:29], 3
	s_add_u32 s0, s42, s0
	s_addc_u32 s1, s43, s1
	v_mov_b32_e32 v15, 0
	s_waitcnt lgkmcnt(0)
	v_lshl_add_u64 v[0:1], s[0:1], 0, v[14:15]
	v_add_co_u32_e32 v0, vcc, 0x1000, v0
	s_nop 1
	v_addc_co_u32_e32 v1, vcc, 0, v1, vcc
	global_store_dwordx2 v[0:1], v[2:3], off offset:2048
	s_endpgm
.LBB182_54:
	global_load_dwordx2 v[48:49], v[2:3], off
	s_or_b64 exec, exec, s[8:9]
                                        ; implicit-def: $vgpr50_vgpr51
	s_and_saveexec_b64 s[8:9], s[2:3]
	s_cbranch_execz .LBB182_13
.LBB182_55:
	global_load_dwordx2 v[50:51], v[2:3], off offset:512
	s_or_b64 exec, exec, s[8:9]
                                        ; implicit-def: $vgpr52_vgpr53
	s_and_saveexec_b64 s[2:3], s[4:5]
	s_cbranch_execz .LBB182_14
.LBB182_56:
	global_load_dwordx2 v[52:53], v[2:3], off offset:1024
	s_or_b64 exec, exec, s[2:3]
                                        ; implicit-def: $vgpr54_vgpr55
	s_and_saveexec_b64 s[2:3], s[6:7]
	s_cbranch_execnz .LBB182_15
	s_branch .LBB182_16
.LBB182_57:
	s_waitcnt lgkmcnt(1)
	global_store_dwordx2 v[8:9], v[4:5], off
	s_or_b64 exec, exec, s[6:7]
	s_and_saveexec_b64 s[6:7], s[0:1]
	s_cbranch_execz .LBB182_48
.LBB182_58:
	s_waitcnt lgkmcnt(1)
	global_store_dwordx2 v[8:9], v[6:7], off offset:2048
	s_or_b64 exec, exec, s[6:7]
	s_and_saveexec_b64 s[0:1], s[2:3]
	s_cbranch_execnz .LBB182_49
	s_branch .LBB182_50
	.section	.rodata,"a",@progbits
	.p2align	6, 0x0
	.amdhsa_kernel _ZN7rocprim17ROCPRIM_304000_NS6detail28radix_sort_block_sort_kernelINS1_36wrapped_radix_sort_block_sort_configINS0_13kernel_configILj256ELj4ELj4294967295EEE6__halfN2at4cuda3cub6detail10OpaqueTypeILi8EEEEELb1EPKS6_PS6_PKSC_PSC_NS0_19identity_decomposerEEEvT1_T2_T3_T4_jT5_jj
		.amdhsa_group_segment_fixed_size 8192
		.amdhsa_private_segment_fixed_size 0
		.amdhsa_kernarg_size 304
		.amdhsa_user_sgpr_count 2
		.amdhsa_user_sgpr_dispatch_ptr 0
		.amdhsa_user_sgpr_queue_ptr 0
		.amdhsa_user_sgpr_kernarg_segment_ptr 1
		.amdhsa_user_sgpr_dispatch_id 0
		.amdhsa_user_sgpr_kernarg_preload_length 0
		.amdhsa_user_sgpr_kernarg_preload_offset 0
		.amdhsa_user_sgpr_private_segment_size 0
		.amdhsa_uses_dynamic_stack 0
		.amdhsa_enable_private_segment 0
		.amdhsa_system_sgpr_workgroup_id_x 1
		.amdhsa_system_sgpr_workgroup_id_y 0
		.amdhsa_system_sgpr_workgroup_id_z 0
		.amdhsa_system_sgpr_workgroup_info 0
		.amdhsa_system_vgpr_workitem_id 2
		.amdhsa_next_free_vgpr 56
		.amdhsa_next_free_sgpr 48
		.amdhsa_accum_offset 56
		.amdhsa_reserve_vcc 1
		.amdhsa_float_round_mode_32 0
		.amdhsa_float_round_mode_16_64 0
		.amdhsa_float_denorm_mode_32 3
		.amdhsa_float_denorm_mode_16_64 3
		.amdhsa_dx10_clamp 1
		.amdhsa_ieee_mode 1
		.amdhsa_fp16_overflow 0
		.amdhsa_tg_split 0
		.amdhsa_exception_fp_ieee_invalid_op 0
		.amdhsa_exception_fp_denorm_src 0
		.amdhsa_exception_fp_ieee_div_zero 0
		.amdhsa_exception_fp_ieee_overflow 0
		.amdhsa_exception_fp_ieee_underflow 0
		.amdhsa_exception_fp_ieee_inexact 0
		.amdhsa_exception_int_div_zero 0
	.end_amdhsa_kernel
	.section	.text._ZN7rocprim17ROCPRIM_304000_NS6detail28radix_sort_block_sort_kernelINS1_36wrapped_radix_sort_block_sort_configINS0_13kernel_configILj256ELj4ELj4294967295EEE6__halfN2at4cuda3cub6detail10OpaqueTypeILi8EEEEELb1EPKS6_PS6_PKSC_PSC_NS0_19identity_decomposerEEEvT1_T2_T3_T4_jT5_jj,"axG",@progbits,_ZN7rocprim17ROCPRIM_304000_NS6detail28radix_sort_block_sort_kernelINS1_36wrapped_radix_sort_block_sort_configINS0_13kernel_configILj256ELj4ELj4294967295EEE6__halfN2at4cuda3cub6detail10OpaqueTypeILi8EEEEELb1EPKS6_PS6_PKSC_PSC_NS0_19identity_decomposerEEEvT1_T2_T3_T4_jT5_jj,comdat
.Lfunc_end182:
	.size	_ZN7rocprim17ROCPRIM_304000_NS6detail28radix_sort_block_sort_kernelINS1_36wrapped_radix_sort_block_sort_configINS0_13kernel_configILj256ELj4ELj4294967295EEE6__halfN2at4cuda3cub6detail10OpaqueTypeILi8EEEEELb1EPKS6_PS6_PKSC_PSC_NS0_19identity_decomposerEEEvT1_T2_T3_T4_jT5_jj, .Lfunc_end182-_ZN7rocprim17ROCPRIM_304000_NS6detail28radix_sort_block_sort_kernelINS1_36wrapped_radix_sort_block_sort_configINS0_13kernel_configILj256ELj4ELj4294967295EEE6__halfN2at4cuda3cub6detail10OpaqueTypeILi8EEEEELb1EPKS6_PS6_PKSC_PSC_NS0_19identity_decomposerEEEvT1_T2_T3_T4_jT5_jj
                                        ; -- End function
	.set _ZN7rocprim17ROCPRIM_304000_NS6detail28radix_sort_block_sort_kernelINS1_36wrapped_radix_sort_block_sort_configINS0_13kernel_configILj256ELj4ELj4294967295EEE6__halfN2at4cuda3cub6detail10OpaqueTypeILi8EEEEELb1EPKS6_PS6_PKSC_PSC_NS0_19identity_decomposerEEEvT1_T2_T3_T4_jT5_jj.num_vgpr, 56
	.set _ZN7rocprim17ROCPRIM_304000_NS6detail28radix_sort_block_sort_kernelINS1_36wrapped_radix_sort_block_sort_configINS0_13kernel_configILj256ELj4ELj4294967295EEE6__halfN2at4cuda3cub6detail10OpaqueTypeILi8EEEEELb1EPKS6_PS6_PKSC_PSC_NS0_19identity_decomposerEEEvT1_T2_T3_T4_jT5_jj.num_agpr, 0
	.set _ZN7rocprim17ROCPRIM_304000_NS6detail28radix_sort_block_sort_kernelINS1_36wrapped_radix_sort_block_sort_configINS0_13kernel_configILj256ELj4ELj4294967295EEE6__halfN2at4cuda3cub6detail10OpaqueTypeILi8EEEEELb1EPKS6_PS6_PKSC_PSC_NS0_19identity_decomposerEEEvT1_T2_T3_T4_jT5_jj.numbered_sgpr, 48
	.set _ZN7rocprim17ROCPRIM_304000_NS6detail28radix_sort_block_sort_kernelINS1_36wrapped_radix_sort_block_sort_configINS0_13kernel_configILj256ELj4ELj4294967295EEE6__halfN2at4cuda3cub6detail10OpaqueTypeILi8EEEEELb1EPKS6_PS6_PKSC_PSC_NS0_19identity_decomposerEEEvT1_T2_T3_T4_jT5_jj.num_named_barrier, 0
	.set _ZN7rocprim17ROCPRIM_304000_NS6detail28radix_sort_block_sort_kernelINS1_36wrapped_radix_sort_block_sort_configINS0_13kernel_configILj256ELj4ELj4294967295EEE6__halfN2at4cuda3cub6detail10OpaqueTypeILi8EEEEELb1EPKS6_PS6_PKSC_PSC_NS0_19identity_decomposerEEEvT1_T2_T3_T4_jT5_jj.private_seg_size, 0
	.set _ZN7rocprim17ROCPRIM_304000_NS6detail28radix_sort_block_sort_kernelINS1_36wrapped_radix_sort_block_sort_configINS0_13kernel_configILj256ELj4ELj4294967295EEE6__halfN2at4cuda3cub6detail10OpaqueTypeILi8EEEEELb1EPKS6_PS6_PKSC_PSC_NS0_19identity_decomposerEEEvT1_T2_T3_T4_jT5_jj.uses_vcc, 1
	.set _ZN7rocprim17ROCPRIM_304000_NS6detail28radix_sort_block_sort_kernelINS1_36wrapped_radix_sort_block_sort_configINS0_13kernel_configILj256ELj4ELj4294967295EEE6__halfN2at4cuda3cub6detail10OpaqueTypeILi8EEEEELb1EPKS6_PS6_PKSC_PSC_NS0_19identity_decomposerEEEvT1_T2_T3_T4_jT5_jj.uses_flat_scratch, 0
	.set _ZN7rocprim17ROCPRIM_304000_NS6detail28radix_sort_block_sort_kernelINS1_36wrapped_radix_sort_block_sort_configINS0_13kernel_configILj256ELj4ELj4294967295EEE6__halfN2at4cuda3cub6detail10OpaqueTypeILi8EEEEELb1EPKS6_PS6_PKSC_PSC_NS0_19identity_decomposerEEEvT1_T2_T3_T4_jT5_jj.has_dyn_sized_stack, 0
	.set _ZN7rocprim17ROCPRIM_304000_NS6detail28radix_sort_block_sort_kernelINS1_36wrapped_radix_sort_block_sort_configINS0_13kernel_configILj256ELj4ELj4294967295EEE6__halfN2at4cuda3cub6detail10OpaqueTypeILi8EEEEELb1EPKS6_PS6_PKSC_PSC_NS0_19identity_decomposerEEEvT1_T2_T3_T4_jT5_jj.has_recursion, 0
	.set _ZN7rocprim17ROCPRIM_304000_NS6detail28radix_sort_block_sort_kernelINS1_36wrapped_radix_sort_block_sort_configINS0_13kernel_configILj256ELj4ELj4294967295EEE6__halfN2at4cuda3cub6detail10OpaqueTypeILi8EEEEELb1EPKS6_PS6_PKSC_PSC_NS0_19identity_decomposerEEEvT1_T2_T3_T4_jT5_jj.has_indirect_call, 0
	.section	.AMDGPU.csdata,"",@progbits
; Kernel info:
; codeLenInByte = 4096
; TotalNumSgprs: 54
; NumVgprs: 56
; NumAgprs: 0
; TotalNumVgprs: 56
; ScratchSize: 0
; MemoryBound: 0
; FloatMode: 240
; IeeeMode: 1
; LDSByteSize: 8192 bytes/workgroup (compile time only)
; SGPRBlocks: 6
; VGPRBlocks: 6
; NumSGPRsForWavesPerEU: 54
; NumVGPRsForWavesPerEU: 56
; AccumOffset: 56
; Occupancy: 8
; WaveLimiterHint : 1
; COMPUTE_PGM_RSRC2:SCRATCH_EN: 0
; COMPUTE_PGM_RSRC2:USER_SGPR: 2
; COMPUTE_PGM_RSRC2:TRAP_HANDLER: 0
; COMPUTE_PGM_RSRC2:TGID_X_EN: 1
; COMPUTE_PGM_RSRC2:TGID_Y_EN: 0
; COMPUTE_PGM_RSRC2:TGID_Z_EN: 0
; COMPUTE_PGM_RSRC2:TIDIG_COMP_CNT: 2
; COMPUTE_PGM_RSRC3_GFX90A:ACCUM_OFFSET: 13
; COMPUTE_PGM_RSRC3_GFX90A:TG_SPLIT: 0
	.section	.text._ZN7rocprim17ROCPRIM_304000_NS6detail39device_merge_sort_compile_time_verifierINS1_36wrapped_merge_sort_block_sort_configINS1_28merge_sort_block_sort_configILj256ELj4ELNS0_20block_sort_algorithmE0EEE6__halfN2at4cuda3cub6detail10OpaqueTypeILi8EEEEENS1_37wrapped_merge_sort_block_merge_configINS0_14default_configES7_SD_EEEEvv,"axG",@progbits,_ZN7rocprim17ROCPRIM_304000_NS6detail39device_merge_sort_compile_time_verifierINS1_36wrapped_merge_sort_block_sort_configINS1_28merge_sort_block_sort_configILj256ELj4ELNS0_20block_sort_algorithmE0EEE6__halfN2at4cuda3cub6detail10OpaqueTypeILi8EEEEENS1_37wrapped_merge_sort_block_merge_configINS0_14default_configES7_SD_EEEEvv,comdat
	.protected	_ZN7rocprim17ROCPRIM_304000_NS6detail39device_merge_sort_compile_time_verifierINS1_36wrapped_merge_sort_block_sort_configINS1_28merge_sort_block_sort_configILj256ELj4ELNS0_20block_sort_algorithmE0EEE6__halfN2at4cuda3cub6detail10OpaqueTypeILi8EEEEENS1_37wrapped_merge_sort_block_merge_configINS0_14default_configES7_SD_EEEEvv ; -- Begin function _ZN7rocprim17ROCPRIM_304000_NS6detail39device_merge_sort_compile_time_verifierINS1_36wrapped_merge_sort_block_sort_configINS1_28merge_sort_block_sort_configILj256ELj4ELNS0_20block_sort_algorithmE0EEE6__halfN2at4cuda3cub6detail10OpaqueTypeILi8EEEEENS1_37wrapped_merge_sort_block_merge_configINS0_14default_configES7_SD_EEEEvv
	.globl	_ZN7rocprim17ROCPRIM_304000_NS6detail39device_merge_sort_compile_time_verifierINS1_36wrapped_merge_sort_block_sort_configINS1_28merge_sort_block_sort_configILj256ELj4ELNS0_20block_sort_algorithmE0EEE6__halfN2at4cuda3cub6detail10OpaqueTypeILi8EEEEENS1_37wrapped_merge_sort_block_merge_configINS0_14default_configES7_SD_EEEEvv
	.p2align	8
	.type	_ZN7rocprim17ROCPRIM_304000_NS6detail39device_merge_sort_compile_time_verifierINS1_36wrapped_merge_sort_block_sort_configINS1_28merge_sort_block_sort_configILj256ELj4ELNS0_20block_sort_algorithmE0EEE6__halfN2at4cuda3cub6detail10OpaqueTypeILi8EEEEENS1_37wrapped_merge_sort_block_merge_configINS0_14default_configES7_SD_EEEEvv,@function
_ZN7rocprim17ROCPRIM_304000_NS6detail39device_merge_sort_compile_time_verifierINS1_36wrapped_merge_sort_block_sort_configINS1_28merge_sort_block_sort_configILj256ELj4ELNS0_20block_sort_algorithmE0EEE6__halfN2at4cuda3cub6detail10OpaqueTypeILi8EEEEENS1_37wrapped_merge_sort_block_merge_configINS0_14default_configES7_SD_EEEEvv: ; @_ZN7rocprim17ROCPRIM_304000_NS6detail39device_merge_sort_compile_time_verifierINS1_36wrapped_merge_sort_block_sort_configINS1_28merge_sort_block_sort_configILj256ELj4ELNS0_20block_sort_algorithmE0EEE6__halfN2at4cuda3cub6detail10OpaqueTypeILi8EEEEENS1_37wrapped_merge_sort_block_merge_configINS0_14default_configES7_SD_EEEEvv
; %bb.0:
	s_endpgm
	.section	.rodata,"a",@progbits
	.p2align	6, 0x0
	.amdhsa_kernel _ZN7rocprim17ROCPRIM_304000_NS6detail39device_merge_sort_compile_time_verifierINS1_36wrapped_merge_sort_block_sort_configINS1_28merge_sort_block_sort_configILj256ELj4ELNS0_20block_sort_algorithmE0EEE6__halfN2at4cuda3cub6detail10OpaqueTypeILi8EEEEENS1_37wrapped_merge_sort_block_merge_configINS0_14default_configES7_SD_EEEEvv
		.amdhsa_group_segment_fixed_size 0
		.amdhsa_private_segment_fixed_size 0
		.amdhsa_kernarg_size 0
		.amdhsa_user_sgpr_count 0
		.amdhsa_user_sgpr_dispatch_ptr 0
		.amdhsa_user_sgpr_queue_ptr 0
		.amdhsa_user_sgpr_kernarg_segment_ptr 0
		.amdhsa_user_sgpr_dispatch_id 0
		.amdhsa_user_sgpr_kernarg_preload_length 0
		.amdhsa_user_sgpr_kernarg_preload_offset 0
		.amdhsa_user_sgpr_private_segment_size 0
		.amdhsa_uses_dynamic_stack 0
		.amdhsa_enable_private_segment 0
		.amdhsa_system_sgpr_workgroup_id_x 1
		.amdhsa_system_sgpr_workgroup_id_y 0
		.amdhsa_system_sgpr_workgroup_id_z 0
		.amdhsa_system_sgpr_workgroup_info 0
		.amdhsa_system_vgpr_workitem_id 0
		.amdhsa_next_free_vgpr 1
		.amdhsa_next_free_sgpr 0
		.amdhsa_accum_offset 4
		.amdhsa_reserve_vcc 0
		.amdhsa_float_round_mode_32 0
		.amdhsa_float_round_mode_16_64 0
		.amdhsa_float_denorm_mode_32 3
		.amdhsa_float_denorm_mode_16_64 3
		.amdhsa_dx10_clamp 1
		.amdhsa_ieee_mode 1
		.amdhsa_fp16_overflow 0
		.amdhsa_tg_split 0
		.amdhsa_exception_fp_ieee_invalid_op 0
		.amdhsa_exception_fp_denorm_src 0
		.amdhsa_exception_fp_ieee_div_zero 0
		.amdhsa_exception_fp_ieee_overflow 0
		.amdhsa_exception_fp_ieee_underflow 0
		.amdhsa_exception_fp_ieee_inexact 0
		.amdhsa_exception_int_div_zero 0
	.end_amdhsa_kernel
	.section	.text._ZN7rocprim17ROCPRIM_304000_NS6detail39device_merge_sort_compile_time_verifierINS1_36wrapped_merge_sort_block_sort_configINS1_28merge_sort_block_sort_configILj256ELj4ELNS0_20block_sort_algorithmE0EEE6__halfN2at4cuda3cub6detail10OpaqueTypeILi8EEEEENS1_37wrapped_merge_sort_block_merge_configINS0_14default_configES7_SD_EEEEvv,"axG",@progbits,_ZN7rocprim17ROCPRIM_304000_NS6detail39device_merge_sort_compile_time_verifierINS1_36wrapped_merge_sort_block_sort_configINS1_28merge_sort_block_sort_configILj256ELj4ELNS0_20block_sort_algorithmE0EEE6__halfN2at4cuda3cub6detail10OpaqueTypeILi8EEEEENS1_37wrapped_merge_sort_block_merge_configINS0_14default_configES7_SD_EEEEvv,comdat
.Lfunc_end183:
	.size	_ZN7rocprim17ROCPRIM_304000_NS6detail39device_merge_sort_compile_time_verifierINS1_36wrapped_merge_sort_block_sort_configINS1_28merge_sort_block_sort_configILj256ELj4ELNS0_20block_sort_algorithmE0EEE6__halfN2at4cuda3cub6detail10OpaqueTypeILi8EEEEENS1_37wrapped_merge_sort_block_merge_configINS0_14default_configES7_SD_EEEEvv, .Lfunc_end183-_ZN7rocprim17ROCPRIM_304000_NS6detail39device_merge_sort_compile_time_verifierINS1_36wrapped_merge_sort_block_sort_configINS1_28merge_sort_block_sort_configILj256ELj4ELNS0_20block_sort_algorithmE0EEE6__halfN2at4cuda3cub6detail10OpaqueTypeILi8EEEEENS1_37wrapped_merge_sort_block_merge_configINS0_14default_configES7_SD_EEEEvv
                                        ; -- End function
	.set _ZN7rocprim17ROCPRIM_304000_NS6detail39device_merge_sort_compile_time_verifierINS1_36wrapped_merge_sort_block_sort_configINS1_28merge_sort_block_sort_configILj256ELj4ELNS0_20block_sort_algorithmE0EEE6__halfN2at4cuda3cub6detail10OpaqueTypeILi8EEEEENS1_37wrapped_merge_sort_block_merge_configINS0_14default_configES7_SD_EEEEvv.num_vgpr, 0
	.set _ZN7rocprim17ROCPRIM_304000_NS6detail39device_merge_sort_compile_time_verifierINS1_36wrapped_merge_sort_block_sort_configINS1_28merge_sort_block_sort_configILj256ELj4ELNS0_20block_sort_algorithmE0EEE6__halfN2at4cuda3cub6detail10OpaqueTypeILi8EEEEENS1_37wrapped_merge_sort_block_merge_configINS0_14default_configES7_SD_EEEEvv.num_agpr, 0
	.set _ZN7rocprim17ROCPRIM_304000_NS6detail39device_merge_sort_compile_time_verifierINS1_36wrapped_merge_sort_block_sort_configINS1_28merge_sort_block_sort_configILj256ELj4ELNS0_20block_sort_algorithmE0EEE6__halfN2at4cuda3cub6detail10OpaqueTypeILi8EEEEENS1_37wrapped_merge_sort_block_merge_configINS0_14default_configES7_SD_EEEEvv.numbered_sgpr, 0
	.set _ZN7rocprim17ROCPRIM_304000_NS6detail39device_merge_sort_compile_time_verifierINS1_36wrapped_merge_sort_block_sort_configINS1_28merge_sort_block_sort_configILj256ELj4ELNS0_20block_sort_algorithmE0EEE6__halfN2at4cuda3cub6detail10OpaqueTypeILi8EEEEENS1_37wrapped_merge_sort_block_merge_configINS0_14default_configES7_SD_EEEEvv.num_named_barrier, 0
	.set _ZN7rocprim17ROCPRIM_304000_NS6detail39device_merge_sort_compile_time_verifierINS1_36wrapped_merge_sort_block_sort_configINS1_28merge_sort_block_sort_configILj256ELj4ELNS0_20block_sort_algorithmE0EEE6__halfN2at4cuda3cub6detail10OpaqueTypeILi8EEEEENS1_37wrapped_merge_sort_block_merge_configINS0_14default_configES7_SD_EEEEvv.private_seg_size, 0
	.set _ZN7rocprim17ROCPRIM_304000_NS6detail39device_merge_sort_compile_time_verifierINS1_36wrapped_merge_sort_block_sort_configINS1_28merge_sort_block_sort_configILj256ELj4ELNS0_20block_sort_algorithmE0EEE6__halfN2at4cuda3cub6detail10OpaqueTypeILi8EEEEENS1_37wrapped_merge_sort_block_merge_configINS0_14default_configES7_SD_EEEEvv.uses_vcc, 0
	.set _ZN7rocprim17ROCPRIM_304000_NS6detail39device_merge_sort_compile_time_verifierINS1_36wrapped_merge_sort_block_sort_configINS1_28merge_sort_block_sort_configILj256ELj4ELNS0_20block_sort_algorithmE0EEE6__halfN2at4cuda3cub6detail10OpaqueTypeILi8EEEEENS1_37wrapped_merge_sort_block_merge_configINS0_14default_configES7_SD_EEEEvv.uses_flat_scratch, 0
	.set _ZN7rocprim17ROCPRIM_304000_NS6detail39device_merge_sort_compile_time_verifierINS1_36wrapped_merge_sort_block_sort_configINS1_28merge_sort_block_sort_configILj256ELj4ELNS0_20block_sort_algorithmE0EEE6__halfN2at4cuda3cub6detail10OpaqueTypeILi8EEEEENS1_37wrapped_merge_sort_block_merge_configINS0_14default_configES7_SD_EEEEvv.has_dyn_sized_stack, 0
	.set _ZN7rocprim17ROCPRIM_304000_NS6detail39device_merge_sort_compile_time_verifierINS1_36wrapped_merge_sort_block_sort_configINS1_28merge_sort_block_sort_configILj256ELj4ELNS0_20block_sort_algorithmE0EEE6__halfN2at4cuda3cub6detail10OpaqueTypeILi8EEEEENS1_37wrapped_merge_sort_block_merge_configINS0_14default_configES7_SD_EEEEvv.has_recursion, 0
	.set _ZN7rocprim17ROCPRIM_304000_NS6detail39device_merge_sort_compile_time_verifierINS1_36wrapped_merge_sort_block_sort_configINS1_28merge_sort_block_sort_configILj256ELj4ELNS0_20block_sort_algorithmE0EEE6__halfN2at4cuda3cub6detail10OpaqueTypeILi8EEEEENS1_37wrapped_merge_sort_block_merge_configINS0_14default_configES7_SD_EEEEvv.has_indirect_call, 0
	.section	.AMDGPU.csdata,"",@progbits
; Kernel info:
; codeLenInByte = 4
; TotalNumSgprs: 6
; NumVgprs: 0
; NumAgprs: 0
; TotalNumVgprs: 0
; ScratchSize: 0
; MemoryBound: 0
; FloatMode: 240
; IeeeMode: 1
; LDSByteSize: 0 bytes/workgroup (compile time only)
; SGPRBlocks: 0
; VGPRBlocks: 0
; NumSGPRsForWavesPerEU: 6
; NumVGPRsForWavesPerEU: 1
; AccumOffset: 4
; Occupancy: 8
; WaveLimiterHint : 0
; COMPUTE_PGM_RSRC2:SCRATCH_EN: 0
; COMPUTE_PGM_RSRC2:USER_SGPR: 0
; COMPUTE_PGM_RSRC2:TRAP_HANDLER: 0
; COMPUTE_PGM_RSRC2:TGID_X_EN: 1
; COMPUTE_PGM_RSRC2:TGID_Y_EN: 0
; COMPUTE_PGM_RSRC2:TGID_Z_EN: 0
; COMPUTE_PGM_RSRC2:TIDIG_COMP_CNT: 0
; COMPUTE_PGM_RSRC3_GFX90A:ACCUM_OFFSET: 0
; COMPUTE_PGM_RSRC3_GFX90A:TG_SPLIT: 0
	.section	.text._ZN7rocprim17ROCPRIM_304000_NS6detail45device_block_merge_mergepath_partition_kernelINS1_37wrapped_merge_sort_block_merge_configINS0_14default_configE6__halfN2at4cuda3cub6detail10OpaqueTypeILi8EEEEEPS5_jNS1_19radix_merge_compareILb1ELb0ES5_NS0_19identity_decomposerEEEEEvT0_T1_jPSI_T2_SI_,"axG",@progbits,_ZN7rocprim17ROCPRIM_304000_NS6detail45device_block_merge_mergepath_partition_kernelINS1_37wrapped_merge_sort_block_merge_configINS0_14default_configE6__halfN2at4cuda3cub6detail10OpaqueTypeILi8EEEEEPS5_jNS1_19radix_merge_compareILb1ELb0ES5_NS0_19identity_decomposerEEEEEvT0_T1_jPSI_T2_SI_,comdat
	.protected	_ZN7rocprim17ROCPRIM_304000_NS6detail45device_block_merge_mergepath_partition_kernelINS1_37wrapped_merge_sort_block_merge_configINS0_14default_configE6__halfN2at4cuda3cub6detail10OpaqueTypeILi8EEEEEPS5_jNS1_19radix_merge_compareILb1ELb0ES5_NS0_19identity_decomposerEEEEEvT0_T1_jPSI_T2_SI_ ; -- Begin function _ZN7rocprim17ROCPRIM_304000_NS6detail45device_block_merge_mergepath_partition_kernelINS1_37wrapped_merge_sort_block_merge_configINS0_14default_configE6__halfN2at4cuda3cub6detail10OpaqueTypeILi8EEEEEPS5_jNS1_19radix_merge_compareILb1ELb0ES5_NS0_19identity_decomposerEEEEEvT0_T1_jPSI_T2_SI_
	.globl	_ZN7rocprim17ROCPRIM_304000_NS6detail45device_block_merge_mergepath_partition_kernelINS1_37wrapped_merge_sort_block_merge_configINS0_14default_configE6__halfN2at4cuda3cub6detail10OpaqueTypeILi8EEEEEPS5_jNS1_19radix_merge_compareILb1ELb0ES5_NS0_19identity_decomposerEEEEEvT0_T1_jPSI_T2_SI_
	.p2align	8
	.type	_ZN7rocprim17ROCPRIM_304000_NS6detail45device_block_merge_mergepath_partition_kernelINS1_37wrapped_merge_sort_block_merge_configINS0_14default_configE6__halfN2at4cuda3cub6detail10OpaqueTypeILi8EEEEEPS5_jNS1_19radix_merge_compareILb1ELb0ES5_NS0_19identity_decomposerEEEEEvT0_T1_jPSI_T2_SI_,@function
_ZN7rocprim17ROCPRIM_304000_NS6detail45device_block_merge_mergepath_partition_kernelINS1_37wrapped_merge_sort_block_merge_configINS0_14default_configE6__halfN2at4cuda3cub6detail10OpaqueTypeILi8EEEEEPS5_jNS1_19radix_merge_compareILb1ELb0ES5_NS0_19identity_decomposerEEEEEvT0_T1_jPSI_T2_SI_: ; @_ZN7rocprim17ROCPRIM_304000_NS6detail45device_block_merge_mergepath_partition_kernelINS1_37wrapped_merge_sort_block_merge_configINS0_14default_configE6__halfN2at4cuda3cub6detail10OpaqueTypeILi8EEEEEPS5_jNS1_19radix_merge_compareILb1ELb0ES5_NS0_19identity_decomposerEEEEEvT0_T1_jPSI_T2_SI_
; %bb.0:
	s_load_dwordx2 s[4:5], s[0:1], 0x8
	v_lshl_or_b32 v0, s2, 7, v0
	s_waitcnt lgkmcnt(0)
	v_cmp_gt_u32_e32 vcc, s5, v0
	s_and_saveexec_b64 s[2:3], vcc
	s_cbranch_execz .LBB184_6
; %bb.1:
	s_load_dword s2, s[0:1], 0x1c
	s_waitcnt lgkmcnt(0)
	s_lshr_b32 s3, s2, 9
	s_and_b32 s3, s3, 0x7ffffe
	s_add_i32 s5, s3, -1
	s_sub_i32 s3, 0, s3
	v_and_b32_e32 v1, s3, v0
	v_and_b32_e32 v2, s5, v0
	v_lshlrev_b32_e32 v1, 10, v1
	v_lshlrev_b32_e32 v3, 10, v2
	v_min_u32_e32 v2, s4, v1
	v_add_u32_e32 v1, s2, v1
	v_min_u32_e32 v4, s4, v1
	v_add_u32_e32 v1, s2, v4
	v_min_u32_e32 v1, s4, v1
	v_sub_u32_e32 v5, v1, v2
	v_min_u32_e32 v10, v5, v3
	v_sub_u32_e32 v3, v4, v2
	v_sub_u32_e32 v1, v1, v4
	v_sub_u32_e64 v1, v10, v1 clamp
	v_min_u32_e32 v11, v10, v3
	v_cmp_lt_u32_e32 vcc, v1, v11
	s_and_saveexec_b64 s[2:3], vcc
	s_cbranch_execz .LBB184_5
; %bb.2:
	s_load_dwordx2 s[6:7], s[0:1], 0x0
	v_mov_b32_e32 v5, 0
	v_mov_b32_e32 v3, v5
	s_mov_b64 s[4:5], 0
	s_waitcnt lgkmcnt(0)
	v_lshl_add_u64 v[6:7], v[2:3], 1, s[6:7]
	v_lshl_add_u64 v[8:9], v[4:5], 1, s[6:7]
	s_movk_i32 s6, 0x8000
	v_mov_b32_e32 v3, 0xffff8000
.LBB184_3:                              ; =>This Inner Loop Header: Depth=1
	v_add_u32_e32 v4, v11, v1
	v_lshrrev_b32_e32 v16, 1, v4
	v_and_b32_e32 v4, -2, v4
	v_mov_b32_e32 v13, v5
	v_xad_u32 v12, v16, -1, v10
	v_lshl_add_u64 v[14:15], v[6:7], 0, v[4:5]
	global_load_ushort v4, v[14:15], off
	v_lshl_add_u64 v[12:13], v[12:13], 1, v[8:9]
	global_load_ushort v12, v[12:13], off
	v_add_u32_e32 v13, 1, v16
	s_waitcnt vmcnt(1)
	v_cmp_ne_u16_e32 vcc, s6, v4
	s_nop 1
	v_cndmask_b32_e32 v4, 0, v4, vcc
	s_waitcnt vmcnt(0)
	v_cmp_ne_u16_e32 vcc, s6, v12
	s_nop 1
	v_cndmask_b32_e32 v12, 0, v12, vcc
	v_cmp_lt_i16_e32 vcc, -1, v4
	s_nop 1
	v_cndmask_b32_e32 v14, -1, v3, vcc
	v_cmp_lt_i16_e32 vcc, -1, v12
	v_xor_b32_e32 v4, v14, v4
	s_nop 0
	v_cndmask_b32_e32 v15, -1, v3, vcc
	v_xor_b32_e32 v12, v15, v12
	v_cmp_gt_u16_e32 vcc, v12, v4
	s_nop 1
	v_cndmask_b32_e32 v11, v11, v16, vcc
	v_cndmask_b32_e32 v1, v13, v1, vcc
	v_cmp_ge_u32_e32 vcc, v1, v11
	s_or_b64 s[4:5], vcc, s[4:5]
	s_andn2_b64 exec, exec, s[4:5]
	s_cbranch_execnz .LBB184_3
; %bb.4:
	s_or_b64 exec, exec, s[4:5]
.LBB184_5:
	s_or_b64 exec, exec, s[2:3]
	s_load_dwordx2 s[0:1], s[0:1], 0x10
	v_add_u32_e32 v2, v1, v2
	v_mov_b32_e32 v1, 0
	s_waitcnt lgkmcnt(0)
	v_lshl_add_u64 v[0:1], v[0:1], 2, s[0:1]
	global_store_dword v[0:1], v2, off
.LBB184_6:
	s_endpgm
	.section	.rodata,"a",@progbits
	.p2align	6, 0x0
	.amdhsa_kernel _ZN7rocprim17ROCPRIM_304000_NS6detail45device_block_merge_mergepath_partition_kernelINS1_37wrapped_merge_sort_block_merge_configINS0_14default_configE6__halfN2at4cuda3cub6detail10OpaqueTypeILi8EEEEEPS5_jNS1_19radix_merge_compareILb1ELb0ES5_NS0_19identity_decomposerEEEEEvT0_T1_jPSI_T2_SI_
		.amdhsa_group_segment_fixed_size 0
		.amdhsa_private_segment_fixed_size 0
		.amdhsa_kernarg_size 32
		.amdhsa_user_sgpr_count 2
		.amdhsa_user_sgpr_dispatch_ptr 0
		.amdhsa_user_sgpr_queue_ptr 0
		.amdhsa_user_sgpr_kernarg_segment_ptr 1
		.amdhsa_user_sgpr_dispatch_id 0
		.amdhsa_user_sgpr_kernarg_preload_length 0
		.amdhsa_user_sgpr_kernarg_preload_offset 0
		.amdhsa_user_sgpr_private_segment_size 0
		.amdhsa_uses_dynamic_stack 0
		.amdhsa_enable_private_segment 0
		.amdhsa_system_sgpr_workgroup_id_x 1
		.amdhsa_system_sgpr_workgroup_id_y 0
		.amdhsa_system_sgpr_workgroup_id_z 0
		.amdhsa_system_sgpr_workgroup_info 0
		.amdhsa_system_vgpr_workitem_id 0
		.amdhsa_next_free_vgpr 17
		.amdhsa_next_free_sgpr 8
		.amdhsa_accum_offset 20
		.amdhsa_reserve_vcc 1
		.amdhsa_float_round_mode_32 0
		.amdhsa_float_round_mode_16_64 0
		.amdhsa_float_denorm_mode_32 3
		.amdhsa_float_denorm_mode_16_64 3
		.amdhsa_dx10_clamp 1
		.amdhsa_ieee_mode 1
		.amdhsa_fp16_overflow 0
		.amdhsa_tg_split 0
		.amdhsa_exception_fp_ieee_invalid_op 0
		.amdhsa_exception_fp_denorm_src 0
		.amdhsa_exception_fp_ieee_div_zero 0
		.amdhsa_exception_fp_ieee_overflow 0
		.amdhsa_exception_fp_ieee_underflow 0
		.amdhsa_exception_fp_ieee_inexact 0
		.amdhsa_exception_int_div_zero 0
	.end_amdhsa_kernel
	.section	.text._ZN7rocprim17ROCPRIM_304000_NS6detail45device_block_merge_mergepath_partition_kernelINS1_37wrapped_merge_sort_block_merge_configINS0_14default_configE6__halfN2at4cuda3cub6detail10OpaqueTypeILi8EEEEEPS5_jNS1_19radix_merge_compareILb1ELb0ES5_NS0_19identity_decomposerEEEEEvT0_T1_jPSI_T2_SI_,"axG",@progbits,_ZN7rocprim17ROCPRIM_304000_NS6detail45device_block_merge_mergepath_partition_kernelINS1_37wrapped_merge_sort_block_merge_configINS0_14default_configE6__halfN2at4cuda3cub6detail10OpaqueTypeILi8EEEEEPS5_jNS1_19radix_merge_compareILb1ELb0ES5_NS0_19identity_decomposerEEEEEvT0_T1_jPSI_T2_SI_,comdat
.Lfunc_end184:
	.size	_ZN7rocprim17ROCPRIM_304000_NS6detail45device_block_merge_mergepath_partition_kernelINS1_37wrapped_merge_sort_block_merge_configINS0_14default_configE6__halfN2at4cuda3cub6detail10OpaqueTypeILi8EEEEEPS5_jNS1_19radix_merge_compareILb1ELb0ES5_NS0_19identity_decomposerEEEEEvT0_T1_jPSI_T2_SI_, .Lfunc_end184-_ZN7rocprim17ROCPRIM_304000_NS6detail45device_block_merge_mergepath_partition_kernelINS1_37wrapped_merge_sort_block_merge_configINS0_14default_configE6__halfN2at4cuda3cub6detail10OpaqueTypeILi8EEEEEPS5_jNS1_19radix_merge_compareILb1ELb0ES5_NS0_19identity_decomposerEEEEEvT0_T1_jPSI_T2_SI_
                                        ; -- End function
	.set _ZN7rocprim17ROCPRIM_304000_NS6detail45device_block_merge_mergepath_partition_kernelINS1_37wrapped_merge_sort_block_merge_configINS0_14default_configE6__halfN2at4cuda3cub6detail10OpaqueTypeILi8EEEEEPS5_jNS1_19radix_merge_compareILb1ELb0ES5_NS0_19identity_decomposerEEEEEvT0_T1_jPSI_T2_SI_.num_vgpr, 17
	.set _ZN7rocprim17ROCPRIM_304000_NS6detail45device_block_merge_mergepath_partition_kernelINS1_37wrapped_merge_sort_block_merge_configINS0_14default_configE6__halfN2at4cuda3cub6detail10OpaqueTypeILi8EEEEEPS5_jNS1_19radix_merge_compareILb1ELb0ES5_NS0_19identity_decomposerEEEEEvT0_T1_jPSI_T2_SI_.num_agpr, 0
	.set _ZN7rocprim17ROCPRIM_304000_NS6detail45device_block_merge_mergepath_partition_kernelINS1_37wrapped_merge_sort_block_merge_configINS0_14default_configE6__halfN2at4cuda3cub6detail10OpaqueTypeILi8EEEEEPS5_jNS1_19radix_merge_compareILb1ELb0ES5_NS0_19identity_decomposerEEEEEvT0_T1_jPSI_T2_SI_.numbered_sgpr, 8
	.set _ZN7rocprim17ROCPRIM_304000_NS6detail45device_block_merge_mergepath_partition_kernelINS1_37wrapped_merge_sort_block_merge_configINS0_14default_configE6__halfN2at4cuda3cub6detail10OpaqueTypeILi8EEEEEPS5_jNS1_19radix_merge_compareILb1ELb0ES5_NS0_19identity_decomposerEEEEEvT0_T1_jPSI_T2_SI_.num_named_barrier, 0
	.set _ZN7rocprim17ROCPRIM_304000_NS6detail45device_block_merge_mergepath_partition_kernelINS1_37wrapped_merge_sort_block_merge_configINS0_14default_configE6__halfN2at4cuda3cub6detail10OpaqueTypeILi8EEEEEPS5_jNS1_19radix_merge_compareILb1ELb0ES5_NS0_19identity_decomposerEEEEEvT0_T1_jPSI_T2_SI_.private_seg_size, 0
	.set _ZN7rocprim17ROCPRIM_304000_NS6detail45device_block_merge_mergepath_partition_kernelINS1_37wrapped_merge_sort_block_merge_configINS0_14default_configE6__halfN2at4cuda3cub6detail10OpaqueTypeILi8EEEEEPS5_jNS1_19radix_merge_compareILb1ELb0ES5_NS0_19identity_decomposerEEEEEvT0_T1_jPSI_T2_SI_.uses_vcc, 1
	.set _ZN7rocprim17ROCPRIM_304000_NS6detail45device_block_merge_mergepath_partition_kernelINS1_37wrapped_merge_sort_block_merge_configINS0_14default_configE6__halfN2at4cuda3cub6detail10OpaqueTypeILi8EEEEEPS5_jNS1_19radix_merge_compareILb1ELb0ES5_NS0_19identity_decomposerEEEEEvT0_T1_jPSI_T2_SI_.uses_flat_scratch, 0
	.set _ZN7rocprim17ROCPRIM_304000_NS6detail45device_block_merge_mergepath_partition_kernelINS1_37wrapped_merge_sort_block_merge_configINS0_14default_configE6__halfN2at4cuda3cub6detail10OpaqueTypeILi8EEEEEPS5_jNS1_19radix_merge_compareILb1ELb0ES5_NS0_19identity_decomposerEEEEEvT0_T1_jPSI_T2_SI_.has_dyn_sized_stack, 0
	.set _ZN7rocprim17ROCPRIM_304000_NS6detail45device_block_merge_mergepath_partition_kernelINS1_37wrapped_merge_sort_block_merge_configINS0_14default_configE6__halfN2at4cuda3cub6detail10OpaqueTypeILi8EEEEEPS5_jNS1_19radix_merge_compareILb1ELb0ES5_NS0_19identity_decomposerEEEEEvT0_T1_jPSI_T2_SI_.has_recursion, 0
	.set _ZN7rocprim17ROCPRIM_304000_NS6detail45device_block_merge_mergepath_partition_kernelINS1_37wrapped_merge_sort_block_merge_configINS0_14default_configE6__halfN2at4cuda3cub6detail10OpaqueTypeILi8EEEEEPS5_jNS1_19radix_merge_compareILb1ELb0ES5_NS0_19identity_decomposerEEEEEvT0_T1_jPSI_T2_SI_.has_indirect_call, 0
	.section	.AMDGPU.csdata,"",@progbits
; Kernel info:
; codeLenInByte = 396
; TotalNumSgprs: 14
; NumVgprs: 17
; NumAgprs: 0
; TotalNumVgprs: 17
; ScratchSize: 0
; MemoryBound: 0
; FloatMode: 240
; IeeeMode: 1
; LDSByteSize: 0 bytes/workgroup (compile time only)
; SGPRBlocks: 1
; VGPRBlocks: 2
; NumSGPRsForWavesPerEU: 14
; NumVGPRsForWavesPerEU: 17
; AccumOffset: 20
; Occupancy: 8
; WaveLimiterHint : 0
; COMPUTE_PGM_RSRC2:SCRATCH_EN: 0
; COMPUTE_PGM_RSRC2:USER_SGPR: 2
; COMPUTE_PGM_RSRC2:TRAP_HANDLER: 0
; COMPUTE_PGM_RSRC2:TGID_X_EN: 1
; COMPUTE_PGM_RSRC2:TGID_Y_EN: 0
; COMPUTE_PGM_RSRC2:TGID_Z_EN: 0
; COMPUTE_PGM_RSRC2:TIDIG_COMP_CNT: 0
; COMPUTE_PGM_RSRC3_GFX90A:ACCUM_OFFSET: 4
; COMPUTE_PGM_RSRC3_GFX90A:TG_SPLIT: 0
	.section	.text._ZN7rocprim17ROCPRIM_304000_NS6detail35device_block_merge_mergepath_kernelINS1_37wrapped_merge_sort_block_merge_configINS0_14default_configE6__halfN2at4cuda3cub6detail10OpaqueTypeILi8EEEEEPS5_SD_PSB_SE_jNS1_19radix_merge_compareILb1ELb0ES5_NS0_19identity_decomposerEEEEEvT0_T1_T2_T3_T4_SM_jT5_PKSM_NS1_7vsmem_tE,"axG",@progbits,_ZN7rocprim17ROCPRIM_304000_NS6detail35device_block_merge_mergepath_kernelINS1_37wrapped_merge_sort_block_merge_configINS0_14default_configE6__halfN2at4cuda3cub6detail10OpaqueTypeILi8EEEEEPS5_SD_PSB_SE_jNS1_19radix_merge_compareILb1ELb0ES5_NS0_19identity_decomposerEEEEEvT0_T1_T2_T3_T4_SM_jT5_PKSM_NS1_7vsmem_tE,comdat
	.protected	_ZN7rocprim17ROCPRIM_304000_NS6detail35device_block_merge_mergepath_kernelINS1_37wrapped_merge_sort_block_merge_configINS0_14default_configE6__halfN2at4cuda3cub6detail10OpaqueTypeILi8EEEEEPS5_SD_PSB_SE_jNS1_19radix_merge_compareILb1ELb0ES5_NS0_19identity_decomposerEEEEEvT0_T1_T2_T3_T4_SM_jT5_PKSM_NS1_7vsmem_tE ; -- Begin function _ZN7rocprim17ROCPRIM_304000_NS6detail35device_block_merge_mergepath_kernelINS1_37wrapped_merge_sort_block_merge_configINS0_14default_configE6__halfN2at4cuda3cub6detail10OpaqueTypeILi8EEEEEPS5_SD_PSB_SE_jNS1_19radix_merge_compareILb1ELb0ES5_NS0_19identity_decomposerEEEEEvT0_T1_T2_T3_T4_SM_jT5_PKSM_NS1_7vsmem_tE
	.globl	_ZN7rocprim17ROCPRIM_304000_NS6detail35device_block_merge_mergepath_kernelINS1_37wrapped_merge_sort_block_merge_configINS0_14default_configE6__halfN2at4cuda3cub6detail10OpaqueTypeILi8EEEEEPS5_SD_PSB_SE_jNS1_19radix_merge_compareILb1ELb0ES5_NS0_19identity_decomposerEEEEEvT0_T1_T2_T3_T4_SM_jT5_PKSM_NS1_7vsmem_tE
	.p2align	8
	.type	_ZN7rocprim17ROCPRIM_304000_NS6detail35device_block_merge_mergepath_kernelINS1_37wrapped_merge_sort_block_merge_configINS0_14default_configE6__halfN2at4cuda3cub6detail10OpaqueTypeILi8EEEEEPS5_SD_PSB_SE_jNS1_19radix_merge_compareILb1ELb0ES5_NS0_19identity_decomposerEEEEEvT0_T1_T2_T3_T4_SM_jT5_PKSM_NS1_7vsmem_tE,@function
_ZN7rocprim17ROCPRIM_304000_NS6detail35device_block_merge_mergepath_kernelINS1_37wrapped_merge_sort_block_merge_configINS0_14default_configE6__halfN2at4cuda3cub6detail10OpaqueTypeILi8EEEEEPS5_SD_PSB_SE_jNS1_19radix_merge_compareILb1ELb0ES5_NS0_19identity_decomposerEEEEEvT0_T1_T2_T3_T4_SM_jT5_PKSM_NS1_7vsmem_tE: ; @_ZN7rocprim17ROCPRIM_304000_NS6detail35device_block_merge_mergepath_kernelINS1_37wrapped_merge_sort_block_merge_configINS0_14default_configE6__halfN2at4cuda3cub6detail10OpaqueTypeILi8EEEEEPS5_SD_PSB_SE_jNS1_19radix_merge_compareILb1ELb0ES5_NS0_19identity_decomposerEEEEEvT0_T1_T2_T3_T4_SM_jT5_PKSM_NS1_7vsmem_tE
; %bb.0:
	s_load_dwordx2 s[26:27], s[0:1], 0x40
	s_load_dwordx4 s[12:15], s[0:1], 0x20
	s_add_u32 s24, s0, 64
	s_addc_u32 s25, s1, 0
	s_waitcnt lgkmcnt(0)
	s_mul_i32 s4, s27, s4
	s_add_i32 s3, s4, s3
	s_mul_i32 s3, s3, s26
	s_add_i32 s22, s3, s2
	s_cmp_ge_u32 s22, s14
	s_cbranch_scc1 .LBB185_83
; %bb.1:
	s_load_dwordx8 s[4:11], s[0:1], 0x0
	s_load_dwordx2 s[14:15], s[0:1], 0x30
	s_lshr_b32 s27, s12, 10
	s_cmp_lg_u32 s22, s27
	s_mov_b32 s23, 0
	s_cselect_b64 s[16:17], -1, 0
	s_lshl_b64 s[0:1], s[22:23], 2
	s_waitcnt lgkmcnt(0)
	s_add_u32 s0, s14, s0
	s_addc_u32 s1, s15, s1
	s_load_dwordx2 s[18:19], s[0:1], 0x0
	s_lshr_b32 s0, s13, 9
	s_and_b32 s0, s0, 0x7ffffe
	s_sub_i32 s0, 0, s0
	s_and_b32 s1, s22, s0
	s_lshl_b32 s3, s1, 10
	s_lshl_b32 s14, s22, 10
	;; [unrolled: 1-line block ×3, first 2 shown]
	s_sub_i32 s15, s14, s3
	s_add_i32 s1, s1, s13
	s_add_i32 s15, s1, s15
	s_waitcnt lgkmcnt(0)
	s_sub_i32 s20, s15, s18
	s_sub_i32 s15, s15, s19
	;; [unrolled: 1-line block ×3, first 2 shown]
	s_min_u32 s20, s12, s20
	s_addk_i32 s15, 0x400
	s_or_b32 s0, s22, s0
	s_min_u32 s3, s12, s1
	s_add_i32 s1, s1, s13
	s_cmp_eq_u32 s0, -1
	s_cselect_b32 s0, s1, s15
	s_cselect_b32 s1, s3, s19
	s_min_u32 s0, s0, s12
	s_mov_b32 s19, s23
	s_sub_i32 s15, s1, s18
	s_sub_i32 s30, s0, s20
	s_lshl_b64 s[0:1], s[18:19], 1
	s_add_u32 s0, s4, s0
	s_mov_b32 s21, s23
	s_addc_u32 s1, s5, s1
	s_lshl_b64 s[28:29], s[20:21], 1
	s_add_u32 s4, s4, s28
	s_addc_u32 s5, s5, s29
	s_cmp_lt_u32 s2, s26
	v_mov_b32_e32 v3, 0
	s_cselect_b32 s2, 12, 18
	global_load_dword v1, v3, s[24:25] offset:14
	s_add_u32 s2, s24, s2
	s_addc_u32 s3, s25, 0
	global_load_ushort v2, v3, s[2:3]
	v_cmp_gt_u32_e32 vcc, s15, v0
	s_cmp_eq_u32 s22, s27
	s_waitcnt vmcnt(1)
	v_lshrrev_b32_e32 v4, 16, v1
	v_and_b32_e32 v1, 0xffff, v1
	v_mul_lo_u32 v1, v1, v4
	s_waitcnt vmcnt(0)
	v_mul_lo_u32 v1, v1, v2
	v_lshlrev_b32_e32 v2, 1, v0
	v_add_u32_e32 v4, v1, v0
	s_cbranch_scc1 .LBB185_3
; %bb.2:
	v_subrev_u32_e32 v5, s15, v0
	v_lshlrev_b32_e32 v8, 1, v5
	v_mov_b32_e32 v9, v3
	v_lshl_add_u64 v[6:7], s[0:1], 0, v[2:3]
	v_lshl_add_u64 v[8:9], s[4:5], 0, v[8:9]
	v_cndmask_b32_e32 v7, v9, v7, vcc
	v_cndmask_b32_e32 v6, v8, v6, vcc
	v_mov_b32_e32 v5, v3
	v_subrev_co_u32_e32 v8, vcc, s15, v4
	v_mov_b32_e32 v9, v3
	global_load_ushort v10, v[6:7], off
	v_lshl_add_u64 v[6:7], v[4:5], 1, s[0:1]
	v_lshl_add_u64 v[8:9], v[8:9], 1, s[4:5]
	v_cndmask_b32_e32 v7, v9, v7, vcc
	v_cndmask_b32_e32 v6, v8, v6, vcc
	global_load_ushort v11, v[6:7], off
	v_add_u32_e32 v6, v4, v1
	v_mov_b32_e32 v7, v3
	v_subrev_co_u32_e32 v12, vcc, s15, v6
	v_mov_b32_e32 v13, v3
	v_lshl_add_u64 v[8:9], v[6:7], 1, s[0:1]
	v_lshl_add_u64 v[12:13], v[12:13], 1, s[4:5]
	v_cndmask_b32_e32 v9, v13, v9, vcc
	v_cndmask_b32_e32 v8, v12, v8, vcc
	v_add_u32_e32 v6, v6, v1
	global_load_ushort v12, v[8:9], off
	v_lshl_add_u64 v[8:9], v[6:7], 1, s[0:1]
	v_subrev_co_u32_e32 v6, vcc, s15, v6
	v_lshl_add_u64 v[6:7], v[6:7], 1, s[4:5]
	s_nop 0
	v_cndmask_b32_e32 v7, v7, v9, vcc
	v_cndmask_b32_e32 v6, v6, v8, vcc
	global_load_ushort v3, v[6:7], off
	s_add_i32 s13, s30, s15
	s_cbranch_execz .LBB185_4
	s_branch .LBB185_13
.LBB185_3:
                                        ; implicit-def: $vgpr3
                                        ; implicit-def: $vgpr12
                                        ; implicit-def: $vgpr11
                                        ; implicit-def: $vgpr10
                                        ; implicit-def: $sgpr13
.LBB185_4:
	s_add_i32 s13, s30, s15
	v_cmp_gt_u32_e32 vcc, s13, v0
                                        ; implicit-def: $vgpr10
	s_and_saveexec_b64 s[2:3], vcc
	s_cbranch_execz .LBB185_6
; %bb.5:
	s_waitcnt vmcnt(0)
	v_mov_b32_e32 v3, 0
	v_subrev_u32_e32 v5, s15, v0
	v_lshlrev_b32_e32 v8, 1, v5
	v_mov_b32_e32 v9, v3
	v_lshl_add_u64 v[6:7], s[0:1], 0, v[2:3]
	v_lshl_add_u64 v[8:9], s[4:5], 0, v[8:9]
	v_cmp_gt_u32_e32 vcc, s15, v0
	s_nop 1
	v_cndmask_b32_e32 v7, v9, v7, vcc
	v_cndmask_b32_e32 v6, v8, v6, vcc
	global_load_ushort v10, v[6:7], off
.LBB185_6:
	s_or_b64 exec, exec, s[2:3]
	v_cmp_gt_u32_e32 vcc, s13, v4
                                        ; implicit-def: $vgpr11
	s_and_saveexec_b64 s[2:3], vcc
	s_cbranch_execz .LBB185_8
; %bb.7:
	v_mov_b32_e32 v5, 0
	v_subrev_co_u32_e32 v8, vcc, s15, v4
	v_mov_b32_e32 v9, v5
	v_lshl_add_u64 v[6:7], v[4:5], 1, s[0:1]
	v_lshl_add_u64 v[8:9], v[8:9], 1, s[4:5]
	v_cndmask_b32_e32 v7, v9, v7, vcc
	v_cndmask_b32_e32 v6, v8, v6, vcc
	global_load_ushort v11, v[6:7], off
.LBB185_8:
	s_or_b64 exec, exec, s[2:3]
	v_add_u32_e32 v4, v4, v1
	v_cmp_gt_u32_e32 vcc, s13, v4
                                        ; implicit-def: $vgpr12
	s_and_saveexec_b64 s[2:3], vcc
	s_cbranch_execz .LBB185_10
; %bb.9:
	v_mov_b32_e32 v5, 0
	v_subrev_co_u32_e32 v8, vcc, s15, v4
	v_mov_b32_e32 v9, v5
	v_lshl_add_u64 v[6:7], v[4:5], 1, s[0:1]
	v_lshl_add_u64 v[8:9], v[8:9], 1, s[4:5]
	v_cndmask_b32_e32 v7, v9, v7, vcc
	v_cndmask_b32_e32 v6, v8, v6, vcc
	global_load_ushort v12, v[6:7], off
.LBB185_10:
	s_or_b64 exec, exec, s[2:3]
	v_add_u32_e32 v4, v4, v1
	v_cmp_gt_u32_e32 vcc, s13, v4
                                        ; implicit-def: $vgpr3
	s_and_saveexec_b64 s[2:3], vcc
	s_cbranch_execz .LBB185_12
; %bb.11:
	v_mov_b32_e32 v5, 0
	v_lshl_add_u64 v[6:7], v[4:5], 1, s[0:1]
	v_subrev_co_u32_e32 v4, vcc, s15, v4
	v_lshl_add_u64 v[4:5], v[4:5], 1, s[4:5]
	s_nop 0
	v_cndmask_b32_e32 v5, v5, v7, vcc
	v_cndmask_b32_e32 v4, v4, v6, vcc
	global_load_ushort v3, v[4:5], off
.LBB185_12:
	s_or_b64 exec, exec, s[2:3]
.LBB185_13:
	v_lshlrev_b32_e32 v1, 2, v0
	v_min_u32_e32 v4, s13, v1
	v_sub_u32_e64 v5, v4, s30 clamp
	v_min_u32_e32 v6, s15, v4
	v_cmp_lt_u32_e32 vcc, v5, v6
	s_waitcnt vmcnt(0)
	ds_write_b16 v2, v10
	ds_write_b16 v2, v11 offset:512
	ds_write_b16 v2, v12 offset:1024
	;; [unrolled: 1-line block ×3, first 2 shown]
	s_waitcnt lgkmcnt(0)
	s_barrier
	s_and_saveexec_b64 s[0:1], vcc
	s_cbranch_execz .LBB185_17
; %bb.14:
	v_lshlrev_b32_e32 v7, 1, v4
	v_lshl_add_u32 v7, s15, 1, v7
	s_mov_b64 s[2:3], 0
	s_movk_i32 s4, 0x8000
	v_mov_b32_e32 v8, 0xffff8000
.LBB185_15:                             ; =>This Inner Loop Header: Depth=1
	v_add_u32_e32 v9, v6, v5
	v_lshrrev_b32_e32 v13, 1, v9
	v_and_b32_e32 v9, -2, v9
	ds_read_u16 v9, v9
	v_not_b32_e32 v14, v13
	v_lshl_add_u32 v14, v14, 1, v7
	ds_read_u16 v14, v14
	v_add_u32_e32 v15, 1, v13
	s_waitcnt lgkmcnt(1)
	v_cmp_ne_u16_e32 vcc, s4, v9
	s_nop 1
	v_cndmask_b32_e32 v9, 0, v9, vcc
	v_cmp_lt_i16_e32 vcc, -1, v9
	s_nop 1
	v_cndmask_b32_e32 v16, -1, v8, vcc
	s_waitcnt lgkmcnt(0)
	v_cmp_ne_u16_e32 vcc, s4, v14
	v_xor_b32_e32 v9, v16, v9
	s_nop 0
	v_cndmask_b32_e32 v14, 0, v14, vcc
	v_cmp_lt_i16_e32 vcc, -1, v14
	s_nop 1
	v_cndmask_b32_e32 v16, -1, v8, vcc
	v_xor_b32_e32 v14, v16, v14
	v_cmp_gt_u16_e32 vcc, v14, v9
	s_nop 1
	v_cndmask_b32_e32 v6, v6, v13, vcc
	v_cndmask_b32_e32 v5, v15, v5, vcc
	v_cmp_ge_u32_e32 vcc, v5, v6
	s_or_b64 s[2:3], vcc, s[2:3]
	s_andn2_b64 exec, exec, s[2:3]
	s_cbranch_execnz .LBB185_15
; %bb.16:
	s_or_b64 exec, exec, s[2:3]
.LBB185_17:
	s_or_b64 exec, exec, s[0:1]
	v_sub_u32_e32 v4, v4, v5
	v_add_u32_e32 v8, s15, v4
	v_cmp_ge_u32_e32 vcc, s15, v5
	v_cmp_ge_u32_e64 s[0:1], s13, v8
	s_or_b64 s[0:1], vcc, s[0:1]
	v_mov_b32_e32 v16, 0
	v_mov_b32_e32 v15, 0
	;; [unrolled: 1-line block ×4, first 2 shown]
	s_and_saveexec_b64 s[2:3], s[0:1]
	s_cbranch_execz .LBB185_37
; %bb.18:
	v_cmp_le_u32_e32 vcc, s15, v5
	v_cmp_gt_u32_e64 s[0:1], s15, v5
                                        ; implicit-def: $vgpr3
	s_and_saveexec_b64 s[4:5], s[0:1]
; %bb.19:
	v_lshlrev_b32_e32 v3, 1, v5
	ds_read_u16 v3, v3
; %bb.20:
	s_or_b64 exec, exec, s[4:5]
	v_cmp_le_u32_e64 s[4:5], s13, v8
	v_cmp_gt_u32_e64 s[0:1], s13, v8
                                        ; implicit-def: $vgpr4
	s_and_saveexec_b64 s[22:23], s[0:1]
; %bb.21:
	v_lshlrev_b32_e32 v4, 1, v8
	ds_read_u16 v4, v4
; %bb.22:
	s_or_b64 exec, exec, s[22:23]
	s_nor_b64 s[22:23], vcc, s[4:5]
	s_and_saveexec_b64 s[0:1], s[22:23]
	s_cbranch_execz .LBB185_24
; %bb.23:
	s_movk_i32 s22, 0x8000
	s_waitcnt lgkmcnt(0)
	v_cmp_ne_u16_e32 vcc, s22, v4
	v_mov_b32_e32 v9, 0xffff8000
	s_andn2_b64 s[4:5], s[4:5], exec
	v_cndmask_b32_e32 v6, 0, v4, vcc
	v_cmp_ne_u16_e32 vcc, s22, v3
	s_nop 1
	v_cndmask_b32_e32 v7, 0, v3, vcc
	v_cmp_lt_i16_e32 vcc, -1, v6
	s_nop 1
	v_cndmask_b32_e32 v10, -1, v9, vcc
	v_cmp_lt_i16_e32 vcc, -1, v7
	v_xor_b32_e32 v6, v10, v6
	s_nop 0
	v_cndmask_b32_e32 v9, -1, v9, vcc
	v_xor_b32_e32 v7, v9, v7
	v_cmp_le_u16_e32 vcc, v6, v7
	s_and_b64 s[22:23], vcc, exec
	s_or_b64 s[4:5], s[4:5], s[22:23]
.LBB185_24:
	s_or_b64 exec, exec, s[0:1]
	v_mov_b32_e32 v6, s13
	v_mov_b32_e32 v7, s15
	v_cndmask_b32_e64 v13, v8, v5, s[4:5]
	v_cndmask_b32_e64 v6, v6, v7, s[4:5]
	v_add_u32_e32 v10, 1, v13
	v_add_u32_e32 v6, -1, v6
	v_min_u32_e32 v6, v10, v6
	v_lshlrev_b32_e32 v6, 1, v6
	ds_read_u16 v7, v6
	v_cndmask_b32_e64 v9, v10, v8, s[4:5]
	v_cndmask_b32_e64 v10, v5, v10, s[4:5]
	v_cmp_gt_u32_e32 vcc, s13, v9
	s_mov_b64 s[22:23], -1
	s_waitcnt lgkmcnt(0)
	v_cndmask_b32_e64 v6, v7, v4, s[4:5]
	v_cndmask_b32_e64 v7, v3, v7, s[4:5]
	s_mov_b64 s[0:1], -1
	s_and_saveexec_b64 s[24:25], vcc
	s_cbranch_execz .LBB185_28
; %bb.25:
	v_cmp_gt_u32_e32 vcc, s15, v10
	s_mov_b64 s[26:27], 0
	s_and_saveexec_b64 s[0:1], vcc
	s_cbranch_execz .LBB185_27
; %bb.26:
	s_movk_i32 s26, 0x8000
	v_cmp_ne_u16_e32 vcc, s26, v6
	v_mov_b32_e32 v11, 0xffff8000
	s_nop 0
	v_cndmask_b32_e32 v5, 0, v6, vcc
	v_cmp_ne_u16_e32 vcc, s26, v7
	s_nop 1
	v_cndmask_b32_e32 v8, 0, v7, vcc
	v_cmp_lt_i16_e32 vcc, -1, v5
	s_nop 1
	v_cndmask_b32_e32 v12, -1, v11, vcc
	v_cmp_lt_i16_e32 vcc, -1, v8
	v_xor_b32_e32 v5, v12, v5
	s_nop 0
	v_cndmask_b32_e32 v11, -1, v11, vcc
	v_xor_b32_e32 v8, v11, v8
	v_cmp_le_u16_e32 vcc, v5, v8
	s_and_b64 s[26:27], vcc, exec
.LBB185_27:
	s_or_b64 exec, exec, s[0:1]
	s_orn2_b64 s[0:1], s[26:27], exec
.LBB185_28:
	s_or_b64 exec, exec, s[24:25]
	v_mov_b32_e32 v5, s13
	v_mov_b32_e32 v8, s15
	v_cndmask_b32_e64 v14, v9, v10, s[0:1]
	v_cndmask_b32_e64 v5, v5, v8, s[0:1]
	v_add_u32_e32 v11, 1, v14
	v_add_u32_e32 v5, -1, v5
	v_min_u32_e32 v5, v11, v5
	v_lshlrev_b32_e32 v5, 1, v5
	ds_read_u16 v8, v5
	v_cndmask_b32_e64 v9, v11, v9, s[0:1]
	v_cndmask_b32_e64 v10, v10, v11, s[0:1]
	v_cmp_gt_u32_e32 vcc, s13, v9
	s_waitcnt lgkmcnt(0)
	v_cndmask_b32_e64 v5, v8, v6, s[0:1]
	v_cndmask_b32_e64 v8, v7, v8, s[0:1]
	s_and_saveexec_b64 s[24:25], vcc
	s_cbranch_execz .LBB185_32
; %bb.29:
	v_cmp_gt_u32_e32 vcc, s15, v10
	s_mov_b64 s[26:27], 0
	s_and_saveexec_b64 s[22:23], vcc
	s_cbranch_execz .LBB185_31
; %bb.30:
	s_movk_i32 s26, 0x8000
	v_cmp_ne_u16_e32 vcc, s26, v5
	v_mov_b32_e32 v15, 0xffff8000
	s_nop 0
	v_cndmask_b32_e32 v11, 0, v5, vcc
	v_cmp_ne_u16_e32 vcc, s26, v8
	s_nop 1
	v_cndmask_b32_e32 v12, 0, v8, vcc
	v_cmp_lt_i16_e32 vcc, -1, v11
	s_nop 1
	v_cndmask_b32_e32 v16, -1, v15, vcc
	v_cmp_lt_i16_e32 vcc, -1, v12
	v_xor_b32_e32 v11, v16, v11
	s_nop 0
	v_cndmask_b32_e32 v15, -1, v15, vcc
	v_xor_b32_e32 v12, v15, v12
	v_cmp_le_u16_e32 vcc, v11, v12
	s_and_b64 s[26:27], vcc, exec
.LBB185_31:
	s_or_b64 exec, exec, s[22:23]
	s_orn2_b64 s[22:23], s[26:27], exec
.LBB185_32:
	s_or_b64 exec, exec, s[24:25]
	v_mov_b32_e32 v11, s13
	v_mov_b32_e32 v12, s15
	v_cndmask_b32_e64 v15, v9, v10, s[22:23]
	v_cndmask_b32_e64 v11, v11, v12, s[22:23]
	v_add_u32_e32 v12, 1, v15
	v_add_u32_e32 v11, -1, v11
	v_min_u32_e32 v11, v12, v11
	v_lshlrev_b32_e32 v11, 1, v11
	ds_read_u16 v11, v11
	v_cndmask_b32_e64 v9, v12, v9, s[22:23]
	v_cndmask_b32_e64 v16, v10, v12, s[22:23]
	v_cmp_gt_u32_e32 vcc, s13, v9
	s_mov_b64 s[26:27], -1
	s_waitcnt lgkmcnt(0)
	v_cndmask_b32_e64 v17, v11, v5, s[22:23]
	v_cndmask_b32_e64 v18, v8, v11, s[22:23]
	s_and_saveexec_b64 s[24:25], vcc
	s_cbranch_execz .LBB185_36
; %bb.33:
	v_cmp_gt_u32_e32 vcc, s15, v16
	s_mov_b64 s[28:29], 0
	s_and_saveexec_b64 s[26:27], vcc
	s_cbranch_execz .LBB185_35
; %bb.34:
	s_movk_i32 s28, 0x8000
	v_cmp_ne_u16_e32 vcc, s28, v17
	v_mov_b32_e32 v12, 0xffff8000
	s_nop 0
	v_cndmask_b32_e32 v10, 0, v17, vcc
	v_cmp_ne_u16_e32 vcc, s28, v18
	s_nop 1
	v_cndmask_b32_e32 v11, 0, v18, vcc
	v_cmp_lt_i16_e32 vcc, -1, v10
	s_nop 1
	v_cndmask_b32_e32 v19, -1, v12, vcc
	v_cmp_lt_i16_e32 vcc, -1, v11
	v_xor_b32_e32 v10, v19, v10
	s_nop 0
	v_cndmask_b32_e32 v12, -1, v12, vcc
	v_xor_b32_e32 v11, v12, v11
	v_cmp_le_u16_e32 vcc, v10, v11
	s_and_b64 s[28:29], vcc, exec
.LBB185_35:
	s_or_b64 exec, exec, s[26:27]
	s_orn2_b64 s[26:27], s[28:29], exec
.LBB185_36:
	s_or_b64 exec, exec, s[24:25]
	v_cndmask_b32_e64 v12, v5, v8, s[22:23]
	v_cndmask_b32_e64 v11, v6, v7, s[0:1]
	;; [unrolled: 1-line block ×5, first 2 shown]
.LBB185_37:
	s_or_b64 exec, exec, s[2:3]
	s_lshl_b64 s[0:1], s[18:19], 3
	s_add_u32 s24, s8, s0
	s_addc_u32 s25, s9, s1
	s_lshl_b64 s[0:1], s[20:21], 3
	s_add_u32 s22, s8, s0
	v_cndmask_b32_e64 v4, 0, 1, s[16:17]
	v_mov_b32_e32 v5, 0
	s_addc_u32 s23, s9, s1
	v_cmp_gt_u32_e64 s[4:5], s15, v0
	v_cmp_ne_u32_e64 s[0:1], 1, v4
	s_andn2_b64 vcc, exec, s[16:17]
	v_cmp_le_u32_e64 s[2:3], s15, v0
	s_barrier
	s_cbranch_vccnz .LBB185_39
; %bb.38:
	v_subrev_u32_e32 v8, s15, v0
	v_lshlrev_b32_e32 v4, 3, v0
	v_lshlrev_b32_e32 v8, 3, v8
	v_mov_b32_e32 v9, v5
	v_lshl_add_u64 v[6:7], s[24:25], 0, v[4:5]
	v_lshl_add_u64 v[8:9], s[22:23], 0, v[8:9]
	v_cndmask_b32_e64 v7, v9, v7, s[4:5]
	v_cndmask_b32_e64 v6, v8, v6, s[4:5]
	global_load_dwordx2 v[18:19], v[6:7], off
	v_or_b32_e32 v6, 0x100, v0
	v_subrev_u32_e32 v7, s15, v6
	v_min_u32_e32 v8, v6, v7
	v_mov_b32_e32 v17, s23
	v_mov_b32_e32 v24, s25
	v_cmp_gt_u32_e32 vcc, s15, v6
	v_mov_b32_e32 v25, s22
	v_mov_b32_e32 v26, s24
	v_cndmask_b32_e32 v7, v17, v24, vcc
	v_cndmask_b32_e32 v6, v25, v26, vcc
	v_lshlrev_b32_e32 v8, 3, v8
	v_mov_b32_e32 v9, v5
	v_lshl_add_u64 v[6:7], v[6:7], 0, v[8:9]
	global_load_dwordx2 v[20:21], v[6:7], off
	v_or_b32_e32 v6, 0x200, v0
	v_subrev_u32_e32 v7, s15, v6
	v_min_u32_e32 v8, v6, v7
	v_cmp_gt_u32_e32 vcc, s15, v6
	v_lshlrev_b32_e32 v8, 3, v8
	v_or_b32_e32 v5, 0x300, v0
	v_cndmask_b32_e32 v7, v17, v24, vcc
	v_cndmask_b32_e32 v6, v25, v26, vcc
	v_lshl_add_u64 v[6:7], v[6:7], 0, v[8:9]
	global_load_dwordx2 v[22:23], v[6:7], off
	v_subrev_u32_e32 v6, s15, v5
	v_cmp_gt_u32_e32 vcc, s15, v5
	v_min_u32_e32 v8, v5, v6
	s_nop 0
	v_cndmask_b32_e32 v7, v17, v24, vcc
	v_cndmask_b32_e32 v6, v25, v26, vcc
	s_mov_b64 s[4:5], -1
	s_waitcnt vmcnt(1)
	ds_write2st64_b64 v4, v[18:19], v[20:21] offset1:4
	s_waitcnt vmcnt(0)
	ds_write_b64 v4, v[22:23] offset:4096
	s_cbranch_execz .LBB185_40
	s_branch .LBB185_57
.LBB185_39:
	s_mov_b64 s[4:5], 0
                                        ; implicit-def: $vgpr5
                                        ; implicit-def: $vgpr6_vgpr7
                                        ; implicit-def: $vgpr8
.LBB185_40:
	s_and_saveexec_b64 s[4:5], s[2:3]
	s_xor_b64 s[2:3], exec, s[4:5]
	s_cbranch_execz .LBB185_44
; %bb.41:
	v_subrev_u32_e32 v4, s15, v0
	v_cmp_gt_u32_e32 vcc, s30, v4
	s_and_saveexec_b64 s[4:5], vcc
	s_cbranch_execz .LBB185_43
; %bb.42:
	v_lshlrev_b32_e32 v4, 3, v4
	global_load_dwordx2 v[4:5], v4, s[22:23]
	v_mad_u32_u24 v6, v0, 6, v2
	s_waitcnt vmcnt(0)
	ds_write_b64 v6, v[4:5]
.LBB185_43:
	s_or_b64 exec, exec, s[4:5]
.LBB185_44:
	s_or_saveexec_b64 s[2:3], s[2:3]
	v_mad_u32_u24 v6, v0, 6, v2
	s_xor_b64 exec, exec, s[2:3]
	s_cbranch_execz .LBB185_46
; %bb.45:
	v_lshlrev_b32_e32 v4, 3, v0
	global_load_dwordx2 v[4:5], v4, s[24:25]
	s_waitcnt vmcnt(0)
	ds_write_b64 v6, v[4:5]
.LBB185_46:
	s_or_b64 exec, exec, s[2:3]
	v_or_b32_e32 v7, 0x100, v0
	v_cmp_le_u32_e32 vcc, s15, v7
	s_mov_b64 s[2:3], -1
	v_mov_b64_e32 v[4:5], s[18:19]
	s_and_saveexec_b64 s[4:5], vcc
; %bb.47:
	v_subrev_u32_e32 v7, s15, v7
	v_cmp_gt_u32_e32 vcc, s30, v7
	v_mov_b64_e32 v[4:5], s[20:21]
	s_orn2_b64 s[2:3], vcc, exec
; %bb.48:
	s_or_b64 exec, exec, s[4:5]
	s_and_saveexec_b64 s[4:5], s[2:3]
	s_cbranch_execz .LBB185_50
; %bb.49:
	v_lshl_add_u64 v[4:5], v[4:5], 3, s[8:9]
	v_lshlrev_b32_e32 v8, 3, v7
	v_mov_b32_e32 v9, 0
	v_lshl_add_u64 v[4:5], v[4:5], 0, v[8:9]
	global_load_dwordx2 v[4:5], v[4:5], off
	s_waitcnt vmcnt(0)
	ds_write_b64 v6, v[4:5] offset:2048
.LBB185_50:
	s_or_b64 exec, exec, s[4:5]
	v_or_b32_e32 v7, 0x200, v0
	v_cmp_le_u32_e32 vcc, s15, v7
	s_mov_b64 s[2:3], -1
	v_mov_b64_e32 v[4:5], s[18:19]
	s_and_saveexec_b64 s[4:5], vcc
; %bb.51:
	v_subrev_u32_e32 v7, s15, v7
	v_cmp_gt_u32_e32 vcc, s30, v7
	v_mov_b64_e32 v[4:5], s[20:21]
	s_orn2_b64 s[2:3], vcc, exec
; %bb.52:
	s_or_b64 exec, exec, s[4:5]
	s_and_saveexec_b64 s[4:5], s[2:3]
	s_cbranch_execz .LBB185_54
; %bb.53:
	v_lshl_add_u64 v[4:5], v[4:5], 3, s[8:9]
	v_lshlrev_b32_e32 v8, 3, v7
	v_mov_b32_e32 v9, 0
	v_lshl_add_u64 v[4:5], v[4:5], 0, v[8:9]
	global_load_dwordx2 v[4:5], v[4:5], off
	s_waitcnt vmcnt(0)
	ds_write_b64 v6, v[4:5] offset:4096
.LBB185_54:
	s_or_b64 exec, exec, s[4:5]
	v_or_b32_e32 v5, 0x300, v0
	v_cmp_le_u32_e32 vcc, s15, v5
	s_mov_b64 s[4:5], -1
	v_mov_b64_e32 v[6:7], s[24:25]
	v_mov_b32_e32 v8, v5
	s_and_saveexec_b64 s[2:3], vcc
; %bb.55:
	v_subrev_u32_e32 v8, s15, v5
	v_cmp_gt_u32_e32 vcc, s30, v8
	v_mov_b64_e32 v[6:7], s[22:23]
	s_orn2_b64 s[4:5], vcc, exec
; %bb.56:
	s_or_b64 exec, exec, s[2:3]
.LBB185_57:
	s_and_saveexec_b64 s[2:3], s[4:5]
	s_cbranch_execz .LBB185_59
; %bb.58:
	v_mov_b32_e32 v9, 0
	v_lshl_add_u64 v[6:7], v[8:9], 3, v[6:7]
	global_load_dwordx2 v[6:7], v[6:7], off
	v_lshlrev_b32_e32 v4, 3, v5
	s_waitcnt vmcnt(0)
	ds_write_b64 v4, v[6:7]
.LBB185_59:
	s_or_b64 exec, exec, s[2:3]
	s_and_b64 vcc, exec, s[0:1]
	v_add_u32_e32 v4, s14, v1
	s_waitcnt lgkmcnt(0)
	s_barrier
	s_cbranch_vccnz .LBB185_61
; %bb.60:
	v_lshlrev_b32_e32 v5, 3, v13
	v_lshlrev_b32_e32 v6, 3, v14
	;; [unrolled: 1-line block ×3, first 2 shown]
	ds_read_b64 v[18:19], v5
	ds_read_b64 v[20:21], v6
	;; [unrolled: 1-line block ×3, first 2 shown]
	v_mov_b32_e32 v5, 0
	v_lshl_add_u64 v[8:9], v[4:5], 3, s[10:11]
	s_mov_b64 s[0:1], -1
	s_waitcnt lgkmcnt(1)
	global_store_dwordx4 v[8:9], v[18:21], off
	s_waitcnt lgkmcnt(0)
	global_store_dwordx2 v[8:9], v[6:7], off offset:16
	s_cbranch_execz .LBB185_62
	s_branch .LBB185_71
.LBB185_61:
	s_mov_b64 s[0:1], 0
.LBB185_62:
	v_cmp_gt_u32_e32 vcc, s13, v1
	s_and_saveexec_b64 s[2:3], vcc
	s_cbranch_execz .LBB185_64
; %bb.63:
	v_lshlrev_b32_e32 v5, 3, v13
	ds_read_b64 v[6:7], v5
	v_mov_b32_e32 v5, 0
	v_lshl_add_u64 v[8:9], v[4:5], 3, s[10:11]
	s_waitcnt lgkmcnt(0)
	global_store_dwordx2 v[8:9], v[6:7], off
.LBB185_64:
	s_or_b64 exec, exec, s[2:3]
	v_or_b32_e32 v5, 1, v1
	v_cmp_gt_u32_e32 vcc, s13, v5
	s_and_saveexec_b64 s[2:3], vcc
	s_cbranch_execz .LBB185_66
; %bb.65:
	v_lshlrev_b32_e32 v5, 3, v14
	ds_read_b64 v[6:7], v5
	v_mov_b32_e32 v5, 0
	v_lshl_add_u64 v[8:9], v[4:5], 3, s[10:11]
	s_waitcnt lgkmcnt(0)
	global_store_dwordx2 v[8:9], v[6:7], off offset:8
.LBB185_66:
	s_or_b64 exec, exec, s[2:3]
	v_or_b32_e32 v5, 2, v1
	v_cmp_gt_u32_e32 vcc, s13, v5
	s_and_saveexec_b64 s[2:3], vcc
	s_cbranch_execz .LBB185_68
; %bb.67:
	v_lshlrev_b32_e32 v5, 3, v15
	ds_read_b64 v[6:7], v5
	v_mov_b32_e32 v5, 0
	v_lshl_add_u64 v[8:9], v[4:5], 3, s[10:11]
	s_waitcnt lgkmcnt(0)
	global_store_dwordx2 v[8:9], v[6:7], off offset:16
.LBB185_68:
	s_or_b64 exec, exec, s[2:3]
	v_or_b32_e32 v5, 3, v1
	v_cmp_gt_u32_e32 vcc, s13, v5
	s_and_saveexec_b64 s[2:3], vcc
; %bb.69:
	v_mov_b32_e32 v5, 0
	s_or_b64 s[0:1], s[0:1], exec
; %bb.70:
	s_or_b64 exec, exec, s[2:3]
.LBB185_71:
	s_and_saveexec_b64 s[2:3], s[0:1]
	s_cbranch_execz .LBB185_73
; %bb.72:
	v_lshlrev_b32_e32 v6, 3, v16
	ds_read_b64 v[6:7], v6
	v_lshl_add_u64 v[4:5], v[4:5], 3, s[10:11]
	s_waitcnt lgkmcnt(0)
	global_store_dwordx2 v[4:5], v[6:7], off offset:24
.LBB185_73:
	s_or_b64 exec, exec, s[2:3]
	v_lshrrev_b32_e32 v4, 2, v0
	v_and_b32_e32 v4, 60, v4
	s_mov_b32 s2, 0x5040100
	v_lshl_add_u32 v1, v1, 1, v4
	v_perm_b32 v3, v3, v12, s2
	v_perm_b32 v4, v11, v10, s2
	s_barrier
	s_barrier
	ds_write2_b32 v1, v4, v3 offset1:1
	v_lshrrev_b32_e32 v1, 4, v0
	v_and_b32_e32 v1, 12, v1
	v_or_b32_e32 v5, 0x100, v0
	v_add_u32_e32 v6, v1, v2
	v_lshrrev_b32_e32 v1, 4, v5
	v_and_b32_e32 v1, 28, v1
	v_or_b32_e32 v4, 0x200, v0
	v_add_u32_e32 v7, v1, v2
	v_lshrrev_b32_e32 v1, 4, v4
	v_and_b32_e32 v1, 44, v1
	s_mov_b32 s15, 0
	v_add_u32_e32 v8, v1, v2
	v_or_b32_e32 v1, 0x300, v0
	s_lshl_b64 s[0:1], s[14:15], 1
	v_lshrrev_b32_e32 v3, 4, v1
	s_add_u32 s0, s6, s0
	v_and_b32_e32 v3, 60, v3
	s_addc_u32 s1, s7, s1
	v_add_u32_e32 v9, v3, v2
	v_mov_b32_e32 v3, 0
	v_lshl_add_u64 v[2:3], s[0:1], 0, v[2:3]
	s_and_b64 vcc, exec, s[16:17]
	s_waitcnt lgkmcnt(0)
	s_cbranch_vccz .LBB185_75
; %bb.74:
	s_barrier
	ds_read_u16 v10, v6
	ds_read_u16 v12, v7 offset:512
	ds_read_u16 v13, v8 offset:1024
	;; [unrolled: 1-line block ×3, first 2 shown]
	s_waitcnt lgkmcnt(3)
	global_store_short v[2:3], v10, off
	s_waitcnt lgkmcnt(2)
	global_store_short v[2:3], v12, off offset:512
	s_waitcnt lgkmcnt(1)
	global_store_short v[2:3], v13, off offset:1024
	s_mov_b64 s[0:1], -1
	s_cbranch_execz .LBB185_76
	s_branch .LBB185_81
.LBB185_75:
	s_mov_b64 s[0:1], 0
                                        ; implicit-def: $vgpr11
.LBB185_76:
	s_barrier
	s_waitcnt lgkmcnt(0)
	ds_read_u16 v10, v7 offset:512
	ds_read_u16 v7, v8 offset:1024
	ds_read_u16 v11, v9 offset:1536
	s_sub_i32 s2, s12, s14
	v_cmp_gt_u32_e32 vcc, s2, v0
	s_and_saveexec_b64 s[0:1], vcc
	s_cbranch_execnz .LBB185_84
; %bb.77:
	s_or_b64 exec, exec, s[0:1]
	v_cmp_gt_u32_e32 vcc, s2, v5
	s_and_saveexec_b64 s[0:1], vcc
	s_cbranch_execnz .LBB185_85
.LBB185_78:
	s_or_b64 exec, exec, s[0:1]
	v_cmp_gt_u32_e32 vcc, s2, v4
	s_and_saveexec_b64 s[0:1], vcc
	s_cbranch_execz .LBB185_80
.LBB185_79:
	s_waitcnt lgkmcnt(1)
	global_store_short v[2:3], v7, off offset:1024
.LBB185_80:
	s_or_b64 exec, exec, s[0:1]
	v_cmp_gt_u32_e64 s[0:1], s2, v1
.LBB185_81:
	s_and_saveexec_b64 s[2:3], s[0:1]
	s_cbranch_execz .LBB185_83
; %bb.82:
	s_waitcnt lgkmcnt(0)
	global_store_short v[2:3], v11, off offset:1536
.LBB185_83:
	s_endpgm
.LBB185_84:
	ds_read_u16 v0, v6
	s_waitcnt lgkmcnt(0)
	global_store_short v[2:3], v0, off
	s_or_b64 exec, exec, s[0:1]
	v_cmp_gt_u32_e32 vcc, s2, v5
	s_and_saveexec_b64 s[0:1], vcc
	s_cbranch_execz .LBB185_78
.LBB185_85:
	s_waitcnt lgkmcnt(2)
	global_store_short v[2:3], v10, off offset:512
	s_or_b64 exec, exec, s[0:1]
	v_cmp_gt_u32_e32 vcc, s2, v4
	s_and_saveexec_b64 s[0:1], vcc
	s_cbranch_execnz .LBB185_79
	s_branch .LBB185_80
	.section	.rodata,"a",@progbits
	.p2align	6, 0x0
	.amdhsa_kernel _ZN7rocprim17ROCPRIM_304000_NS6detail35device_block_merge_mergepath_kernelINS1_37wrapped_merge_sort_block_merge_configINS0_14default_configE6__halfN2at4cuda3cub6detail10OpaqueTypeILi8EEEEEPS5_SD_PSB_SE_jNS1_19radix_merge_compareILb1ELb0ES5_NS0_19identity_decomposerEEEEEvT0_T1_T2_T3_T4_SM_jT5_PKSM_NS1_7vsmem_tE
		.amdhsa_group_segment_fixed_size 8208
		.amdhsa_private_segment_fixed_size 0
		.amdhsa_kernarg_size 320
		.amdhsa_user_sgpr_count 2
		.amdhsa_user_sgpr_dispatch_ptr 0
		.amdhsa_user_sgpr_queue_ptr 0
		.amdhsa_user_sgpr_kernarg_segment_ptr 1
		.amdhsa_user_sgpr_dispatch_id 0
		.amdhsa_user_sgpr_kernarg_preload_length 0
		.amdhsa_user_sgpr_kernarg_preload_offset 0
		.amdhsa_user_sgpr_private_segment_size 0
		.amdhsa_uses_dynamic_stack 0
		.amdhsa_enable_private_segment 0
		.amdhsa_system_sgpr_workgroup_id_x 1
		.amdhsa_system_sgpr_workgroup_id_y 1
		.amdhsa_system_sgpr_workgroup_id_z 1
		.amdhsa_system_sgpr_workgroup_info 0
		.amdhsa_system_vgpr_workitem_id 0
		.amdhsa_next_free_vgpr 27
		.amdhsa_next_free_sgpr 31
		.amdhsa_accum_offset 28
		.amdhsa_reserve_vcc 1
		.amdhsa_float_round_mode_32 0
		.amdhsa_float_round_mode_16_64 0
		.amdhsa_float_denorm_mode_32 3
		.amdhsa_float_denorm_mode_16_64 3
		.amdhsa_dx10_clamp 1
		.amdhsa_ieee_mode 1
		.amdhsa_fp16_overflow 0
		.amdhsa_tg_split 0
		.amdhsa_exception_fp_ieee_invalid_op 0
		.amdhsa_exception_fp_denorm_src 0
		.amdhsa_exception_fp_ieee_div_zero 0
		.amdhsa_exception_fp_ieee_overflow 0
		.amdhsa_exception_fp_ieee_underflow 0
		.amdhsa_exception_fp_ieee_inexact 0
		.amdhsa_exception_int_div_zero 0
	.end_amdhsa_kernel
	.section	.text._ZN7rocprim17ROCPRIM_304000_NS6detail35device_block_merge_mergepath_kernelINS1_37wrapped_merge_sort_block_merge_configINS0_14default_configE6__halfN2at4cuda3cub6detail10OpaqueTypeILi8EEEEEPS5_SD_PSB_SE_jNS1_19radix_merge_compareILb1ELb0ES5_NS0_19identity_decomposerEEEEEvT0_T1_T2_T3_T4_SM_jT5_PKSM_NS1_7vsmem_tE,"axG",@progbits,_ZN7rocprim17ROCPRIM_304000_NS6detail35device_block_merge_mergepath_kernelINS1_37wrapped_merge_sort_block_merge_configINS0_14default_configE6__halfN2at4cuda3cub6detail10OpaqueTypeILi8EEEEEPS5_SD_PSB_SE_jNS1_19radix_merge_compareILb1ELb0ES5_NS0_19identity_decomposerEEEEEvT0_T1_T2_T3_T4_SM_jT5_PKSM_NS1_7vsmem_tE,comdat
.Lfunc_end185:
	.size	_ZN7rocprim17ROCPRIM_304000_NS6detail35device_block_merge_mergepath_kernelINS1_37wrapped_merge_sort_block_merge_configINS0_14default_configE6__halfN2at4cuda3cub6detail10OpaqueTypeILi8EEEEEPS5_SD_PSB_SE_jNS1_19radix_merge_compareILb1ELb0ES5_NS0_19identity_decomposerEEEEEvT0_T1_T2_T3_T4_SM_jT5_PKSM_NS1_7vsmem_tE, .Lfunc_end185-_ZN7rocprim17ROCPRIM_304000_NS6detail35device_block_merge_mergepath_kernelINS1_37wrapped_merge_sort_block_merge_configINS0_14default_configE6__halfN2at4cuda3cub6detail10OpaqueTypeILi8EEEEEPS5_SD_PSB_SE_jNS1_19radix_merge_compareILb1ELb0ES5_NS0_19identity_decomposerEEEEEvT0_T1_T2_T3_T4_SM_jT5_PKSM_NS1_7vsmem_tE
                                        ; -- End function
	.set _ZN7rocprim17ROCPRIM_304000_NS6detail35device_block_merge_mergepath_kernelINS1_37wrapped_merge_sort_block_merge_configINS0_14default_configE6__halfN2at4cuda3cub6detail10OpaqueTypeILi8EEEEEPS5_SD_PSB_SE_jNS1_19radix_merge_compareILb1ELb0ES5_NS0_19identity_decomposerEEEEEvT0_T1_T2_T3_T4_SM_jT5_PKSM_NS1_7vsmem_tE.num_vgpr, 27
	.set _ZN7rocprim17ROCPRIM_304000_NS6detail35device_block_merge_mergepath_kernelINS1_37wrapped_merge_sort_block_merge_configINS0_14default_configE6__halfN2at4cuda3cub6detail10OpaqueTypeILi8EEEEEPS5_SD_PSB_SE_jNS1_19radix_merge_compareILb1ELb0ES5_NS0_19identity_decomposerEEEEEvT0_T1_T2_T3_T4_SM_jT5_PKSM_NS1_7vsmem_tE.num_agpr, 0
	.set _ZN7rocprim17ROCPRIM_304000_NS6detail35device_block_merge_mergepath_kernelINS1_37wrapped_merge_sort_block_merge_configINS0_14default_configE6__halfN2at4cuda3cub6detail10OpaqueTypeILi8EEEEEPS5_SD_PSB_SE_jNS1_19radix_merge_compareILb1ELb0ES5_NS0_19identity_decomposerEEEEEvT0_T1_T2_T3_T4_SM_jT5_PKSM_NS1_7vsmem_tE.numbered_sgpr, 31
	.set _ZN7rocprim17ROCPRIM_304000_NS6detail35device_block_merge_mergepath_kernelINS1_37wrapped_merge_sort_block_merge_configINS0_14default_configE6__halfN2at4cuda3cub6detail10OpaqueTypeILi8EEEEEPS5_SD_PSB_SE_jNS1_19radix_merge_compareILb1ELb0ES5_NS0_19identity_decomposerEEEEEvT0_T1_T2_T3_T4_SM_jT5_PKSM_NS1_7vsmem_tE.num_named_barrier, 0
	.set _ZN7rocprim17ROCPRIM_304000_NS6detail35device_block_merge_mergepath_kernelINS1_37wrapped_merge_sort_block_merge_configINS0_14default_configE6__halfN2at4cuda3cub6detail10OpaqueTypeILi8EEEEEPS5_SD_PSB_SE_jNS1_19radix_merge_compareILb1ELb0ES5_NS0_19identity_decomposerEEEEEvT0_T1_T2_T3_T4_SM_jT5_PKSM_NS1_7vsmem_tE.private_seg_size, 0
	.set _ZN7rocprim17ROCPRIM_304000_NS6detail35device_block_merge_mergepath_kernelINS1_37wrapped_merge_sort_block_merge_configINS0_14default_configE6__halfN2at4cuda3cub6detail10OpaqueTypeILi8EEEEEPS5_SD_PSB_SE_jNS1_19radix_merge_compareILb1ELb0ES5_NS0_19identity_decomposerEEEEEvT0_T1_T2_T3_T4_SM_jT5_PKSM_NS1_7vsmem_tE.uses_vcc, 1
	.set _ZN7rocprim17ROCPRIM_304000_NS6detail35device_block_merge_mergepath_kernelINS1_37wrapped_merge_sort_block_merge_configINS0_14default_configE6__halfN2at4cuda3cub6detail10OpaqueTypeILi8EEEEEPS5_SD_PSB_SE_jNS1_19radix_merge_compareILb1ELb0ES5_NS0_19identity_decomposerEEEEEvT0_T1_T2_T3_T4_SM_jT5_PKSM_NS1_7vsmem_tE.uses_flat_scratch, 0
	.set _ZN7rocprim17ROCPRIM_304000_NS6detail35device_block_merge_mergepath_kernelINS1_37wrapped_merge_sort_block_merge_configINS0_14default_configE6__halfN2at4cuda3cub6detail10OpaqueTypeILi8EEEEEPS5_SD_PSB_SE_jNS1_19radix_merge_compareILb1ELb0ES5_NS0_19identity_decomposerEEEEEvT0_T1_T2_T3_T4_SM_jT5_PKSM_NS1_7vsmem_tE.has_dyn_sized_stack, 0
	.set _ZN7rocprim17ROCPRIM_304000_NS6detail35device_block_merge_mergepath_kernelINS1_37wrapped_merge_sort_block_merge_configINS0_14default_configE6__halfN2at4cuda3cub6detail10OpaqueTypeILi8EEEEEPS5_SD_PSB_SE_jNS1_19radix_merge_compareILb1ELb0ES5_NS0_19identity_decomposerEEEEEvT0_T1_T2_T3_T4_SM_jT5_PKSM_NS1_7vsmem_tE.has_recursion, 0
	.set _ZN7rocprim17ROCPRIM_304000_NS6detail35device_block_merge_mergepath_kernelINS1_37wrapped_merge_sort_block_merge_configINS0_14default_configE6__halfN2at4cuda3cub6detail10OpaqueTypeILi8EEEEEPS5_SD_PSB_SE_jNS1_19radix_merge_compareILb1ELb0ES5_NS0_19identity_decomposerEEEEEvT0_T1_T2_T3_T4_SM_jT5_PKSM_NS1_7vsmem_tE.has_indirect_call, 0
	.section	.AMDGPU.csdata,"",@progbits
; Kernel info:
; codeLenInByte = 3436
; TotalNumSgprs: 37
; NumVgprs: 27
; NumAgprs: 0
; TotalNumVgprs: 27
; ScratchSize: 0
; MemoryBound: 0
; FloatMode: 240
; IeeeMode: 1
; LDSByteSize: 8208 bytes/workgroup (compile time only)
; SGPRBlocks: 4
; VGPRBlocks: 3
; NumSGPRsForWavesPerEU: 37
; NumVGPRsForWavesPerEU: 27
; AccumOffset: 28
; Occupancy: 8
; WaveLimiterHint : 1
; COMPUTE_PGM_RSRC2:SCRATCH_EN: 0
; COMPUTE_PGM_RSRC2:USER_SGPR: 2
; COMPUTE_PGM_RSRC2:TRAP_HANDLER: 0
; COMPUTE_PGM_RSRC2:TGID_X_EN: 1
; COMPUTE_PGM_RSRC2:TGID_Y_EN: 1
; COMPUTE_PGM_RSRC2:TGID_Z_EN: 1
; COMPUTE_PGM_RSRC2:TIDIG_COMP_CNT: 0
; COMPUTE_PGM_RSRC3_GFX90A:ACCUM_OFFSET: 6
; COMPUTE_PGM_RSRC3_GFX90A:TG_SPLIT: 0
	.section	.text._ZN7rocprim17ROCPRIM_304000_NS6detail33device_block_merge_oddeven_kernelINS1_37wrapped_merge_sort_block_merge_configINS0_14default_configE6__halfN2at4cuda3cub6detail10OpaqueTypeILi8EEEEEPS5_SD_PSB_SE_jNS1_19radix_merge_compareILb1ELb0ES5_NS0_19identity_decomposerEEEEEvT0_T1_T2_T3_T4_SM_T5_,"axG",@progbits,_ZN7rocprim17ROCPRIM_304000_NS6detail33device_block_merge_oddeven_kernelINS1_37wrapped_merge_sort_block_merge_configINS0_14default_configE6__halfN2at4cuda3cub6detail10OpaqueTypeILi8EEEEEPS5_SD_PSB_SE_jNS1_19radix_merge_compareILb1ELb0ES5_NS0_19identity_decomposerEEEEEvT0_T1_T2_T3_T4_SM_T5_,comdat
	.protected	_ZN7rocprim17ROCPRIM_304000_NS6detail33device_block_merge_oddeven_kernelINS1_37wrapped_merge_sort_block_merge_configINS0_14default_configE6__halfN2at4cuda3cub6detail10OpaqueTypeILi8EEEEEPS5_SD_PSB_SE_jNS1_19radix_merge_compareILb1ELb0ES5_NS0_19identity_decomposerEEEEEvT0_T1_T2_T3_T4_SM_T5_ ; -- Begin function _ZN7rocprim17ROCPRIM_304000_NS6detail33device_block_merge_oddeven_kernelINS1_37wrapped_merge_sort_block_merge_configINS0_14default_configE6__halfN2at4cuda3cub6detail10OpaqueTypeILi8EEEEEPS5_SD_PSB_SE_jNS1_19radix_merge_compareILb1ELb0ES5_NS0_19identity_decomposerEEEEEvT0_T1_T2_T3_T4_SM_T5_
	.globl	_ZN7rocprim17ROCPRIM_304000_NS6detail33device_block_merge_oddeven_kernelINS1_37wrapped_merge_sort_block_merge_configINS0_14default_configE6__halfN2at4cuda3cub6detail10OpaqueTypeILi8EEEEEPS5_SD_PSB_SE_jNS1_19radix_merge_compareILb1ELb0ES5_NS0_19identity_decomposerEEEEEvT0_T1_T2_T3_T4_SM_T5_
	.p2align	8
	.type	_ZN7rocprim17ROCPRIM_304000_NS6detail33device_block_merge_oddeven_kernelINS1_37wrapped_merge_sort_block_merge_configINS0_14default_configE6__halfN2at4cuda3cub6detail10OpaqueTypeILi8EEEEEPS5_SD_PSB_SE_jNS1_19radix_merge_compareILb1ELb0ES5_NS0_19identity_decomposerEEEEEvT0_T1_T2_T3_T4_SM_T5_,@function
_ZN7rocprim17ROCPRIM_304000_NS6detail33device_block_merge_oddeven_kernelINS1_37wrapped_merge_sort_block_merge_configINS0_14default_configE6__halfN2at4cuda3cub6detail10OpaqueTypeILi8EEEEEPS5_SD_PSB_SE_jNS1_19radix_merge_compareILb1ELb0ES5_NS0_19identity_decomposerEEEEEvT0_T1_T2_T3_T4_SM_T5_: ; @_ZN7rocprim17ROCPRIM_304000_NS6detail33device_block_merge_oddeven_kernelINS1_37wrapped_merge_sort_block_merge_configINS0_14default_configE6__halfN2at4cuda3cub6detail10OpaqueTypeILi8EEEEEPS5_SD_PSB_SE_jNS1_19radix_merge_compareILb1ELb0ES5_NS0_19identity_decomposerEEEEEvT0_T1_T2_T3_T4_SM_T5_
; %bb.0:
	s_load_dwordx2 s[16:17], s[0:1], 0x20
	s_waitcnt lgkmcnt(0)
	s_lshr_b32 s3, s16, 8
	s_cmp_eq_u32 s2, s3
	s_cselect_b64 s[6:7], -1, 0
	s_cmp_lg_u32 s2, s3
	s_cselect_b64 s[8:9], -1, 0
	s_lshl_b32 s18, s2, 8
	s_sub_i32 s3, s16, s18
	v_cmp_gt_u32_e64 s[4:5], s3, v0
	s_or_b64 s[8:9], s[8:9], s[4:5]
	s_and_saveexec_b64 s[10:11], s[8:9]
	s_cbranch_execz .LBB186_24
; %bb.1:
	s_load_dwordx8 s[8:15], s[0:1], 0x0
	s_mov_b32 s19, 0
	s_lshl_b64 s[0:1], s[18:19], 1
	v_lshlrev_b32_e32 v5, 3, v0
	v_lshlrev_b32_e32 v1, 1, v0
	s_waitcnt lgkmcnt(0)
	s_add_u32 s0, s8, s0
	s_addc_u32 s1, s9, s1
	s_lshl_b64 s[20:21], s[18:19], 3
	s_add_u32 s12, s12, s20
	s_addc_u32 s13, s13, s21
	global_load_dwordx2 v[2:3], v5, s[12:13]
	global_load_ushort v4, v1, s[0:1]
	s_lshr_b32 s0, s17, 8
	s_sub_i32 s1, 0, s0
	s_and_b32 s1, s2, s1
	s_and_b32 s0, s1, s0
	s_lshl_b32 s19, s1, 8
	s_sub_i32 s12, 0, s17
	s_cmp_eq_u32 s0, 0
	s_cselect_b64 s[0:1], -1, 0
	s_and_b64 s[2:3], s[0:1], exec
	s_cselect_b32 s12, s17, s12
	s_add_i32 s12, s12, s19
	s_mov_b64 s[2:3], -1
	s_cmp_gt_u32 s16, s12
	v_add_u32_e32 v0, s18, v0
	s_cbranch_scc1 .LBB186_9
; %bb.2:
	s_and_b64 vcc, exec, s[6:7]
	s_cbranch_vccz .LBB186_6
; %bb.3:
	v_cmp_gt_u32_e32 vcc, s16, v0
	s_and_saveexec_b64 s[2:3], vcc
	s_cbranch_execz .LBB186_5
; %bb.4:
	v_mov_b32_e32 v1, 0
	v_lshl_add_u64 v[8:9], v[0:1], 1, s[10:11]
	v_lshl_add_u64 v[6:7], v[0:1], 3, s[14:15]
	s_waitcnt vmcnt(0)
	global_store_short v[8:9], v4, off
	global_store_dwordx2 v[6:7], v[2:3], off
.LBB186_5:
	s_or_b64 exec, exec, s[2:3]
	s_mov_b64 s[2:3], 0
.LBB186_6:
	s_andn2_b64 vcc, exec, s[2:3]
	s_cbranch_vccnz .LBB186_8
; %bb.7:
	v_mov_b32_e32 v1, 0
	v_lshl_add_u64 v[6:7], v[0:1], 1, s[10:11]
	v_lshl_add_u64 v[8:9], v[0:1], 3, s[14:15]
	s_waitcnt vmcnt(0)
	global_store_short v[6:7], v4, off
	global_store_dwordx2 v[8:9], v[2:3], off
.LBB186_8:
	s_mov_b64 s[2:3], 0
.LBB186_9:
	s_andn2_b64 vcc, exec, s[2:3]
	s_cbranch_vccnz .LBB186_24
; %bb.10:
	s_min_u32 s13, s12, s16
	s_add_i32 s2, s13, s17
	s_min_u32 s16, s2, s16
	s_min_u32 s2, s19, s13
	s_add_i32 s19, s19, s13
	v_subrev_u32_e32 v0, s19, v0
	v_add_u32_e32 v0, s2, v0
	s_movk_i32 s2, 0x8000
	s_waitcnt vmcnt(0)
	v_cmp_ne_u16_e32 vcc, s2, v4
	v_mov_b32_e32 v5, 0xffff8000
	s_mov_b64 s[2:3], -1
	v_cndmask_b32_e32 v1, 0, v4, vcc
	v_cmp_lt_i16_e32 vcc, -1, v1
	s_nop 1
	v_cndmask_b32_e32 v5, -1, v5, vcc
	v_xor_b32_e32 v1, v5, v1
	s_and_b64 vcc, exec, s[6:7]
	s_cbranch_vccz .LBB186_18
; %bb.11:
	s_and_saveexec_b64 s[2:3], s[4:5]
	s_cbranch_execz .LBB186_17
; %bb.12:
	s_cmp_ge_u32 s12, s16
	v_mov_b32_e32 v5, s13
	s_cbranch_scc1 .LBB186_16
; %bb.13:
	s_mov_b64 s[4:5], 0
	v_mov_b32_e32 v6, s16
	v_mov_b32_e32 v5, s13
	s_movk_i32 s6, 0x8000
	v_mov_b32_e32 v7, 0xffff8000
.LBB186_14:                             ; =>This Inner Loop Header: Depth=1
	v_add_u32_e32 v8, v5, v6
	v_and_b32_e32 v9, -2, v8
	global_load_ushort v9, v9, s[8:9]
	v_lshrrev_b32_e32 v8, 1, v8
	v_add_u32_e32 v10, 1, v8
	s_waitcnt vmcnt(0)
	v_cmp_ne_u16_e32 vcc, s6, v9
	s_nop 1
	v_cndmask_b32_e32 v9, 0, v9, vcc
	v_cmp_lt_i16_e32 vcc, -1, v9
	s_nop 1
	v_cndmask_b32_e32 v11, -1, v7, vcc
	v_xor_b32_e32 v9, v11, v9
	v_cmp_gt_u16_e32 vcc, v9, v1
	s_nop 1
	v_cndmask_b32_e64 v11, 0, 1, vcc
	v_cmp_le_u16_e32 vcc, v1, v9
	s_nop 1
	v_cndmask_b32_e64 v9, 0, 1, vcc
	v_cndmask_b32_e64 v9, v9, v11, s[0:1]
	v_and_b32_e32 v9, 1, v9
	v_cmp_eq_u32_e32 vcc, 1, v9
	s_nop 1
	v_cndmask_b32_e32 v6, v8, v6, vcc
	v_cndmask_b32_e32 v5, v5, v10, vcc
	v_cmp_ge_u32_e32 vcc, v5, v6
	s_or_b64 s[4:5], vcc, s[4:5]
	s_andn2_b64 exec, exec, s[4:5]
	s_cbranch_execnz .LBB186_14
; %bb.15:
	s_or_b64 exec, exec, s[4:5]
.LBB186_16:
	v_add_u32_e32 v6, v5, v0
	v_mov_b32_e32 v7, 0
	v_lshl_add_u64 v[8:9], v[6:7], 1, s[10:11]
	v_lshl_add_u64 v[6:7], v[6:7], 3, s[14:15]
	global_store_short v[8:9], v4, off
	global_store_dwordx2 v[6:7], v[2:3], off
.LBB186_17:
	s_or_b64 exec, exec, s[2:3]
	s_mov_b64 s[2:3], 0
.LBB186_18:
	s_andn2_b64 vcc, exec, s[2:3]
	s_cbranch_vccnz .LBB186_24
; %bb.19:
	s_cmp_ge_u32 s12, s16
	v_mov_b32_e32 v5, s13
	s_cbranch_scc1 .LBB186_23
; %bb.20:
	s_mov_b64 s[2:3], 0
	v_mov_b32_e32 v6, s16
	v_mov_b32_e32 v5, s13
	s_movk_i32 s4, 0x8000
	v_mov_b32_e32 v7, 0xffff8000
.LBB186_21:                             ; =>This Inner Loop Header: Depth=1
	v_add_u32_e32 v8, v5, v6
	v_and_b32_e32 v9, -2, v8
	global_load_ushort v9, v9, s[8:9]
	v_lshrrev_b32_e32 v8, 1, v8
	v_add_u32_e32 v10, 1, v8
	s_waitcnt vmcnt(0)
	v_cmp_ne_u16_e32 vcc, s4, v9
	s_nop 1
	v_cndmask_b32_e32 v9, 0, v9, vcc
	v_cmp_lt_i16_e32 vcc, -1, v9
	s_nop 1
	v_cndmask_b32_e32 v11, -1, v7, vcc
	v_xor_b32_e32 v9, v11, v9
	v_cmp_gt_u16_e32 vcc, v9, v1
	s_nop 1
	v_cndmask_b32_e64 v11, 0, 1, vcc
	v_cmp_le_u16_e32 vcc, v1, v9
	s_nop 1
	v_cndmask_b32_e64 v9, 0, 1, vcc
	v_cndmask_b32_e64 v9, v9, v11, s[0:1]
	v_and_b32_e32 v9, 1, v9
	v_cmp_eq_u32_e32 vcc, 1, v9
	s_nop 1
	v_cndmask_b32_e32 v6, v8, v6, vcc
	v_cndmask_b32_e32 v5, v5, v10, vcc
	v_cmp_ge_u32_e32 vcc, v5, v6
	s_or_b64 s[2:3], vcc, s[2:3]
	s_andn2_b64 exec, exec, s[2:3]
	s_cbranch_execnz .LBB186_21
; %bb.22:
	s_or_b64 exec, exec, s[2:3]
.LBB186_23:
	v_add_u32_e32 v0, v5, v0
	v_mov_b32_e32 v1, 0
	v_lshl_add_u64 v[6:7], v[0:1], 1, s[10:11]
	v_lshl_add_u64 v[0:1], v[0:1], 3, s[14:15]
	global_store_short v[6:7], v4, off
	global_store_dwordx2 v[0:1], v[2:3], off
.LBB186_24:
	s_endpgm
	.section	.rodata,"a",@progbits
	.p2align	6, 0x0
	.amdhsa_kernel _ZN7rocprim17ROCPRIM_304000_NS6detail33device_block_merge_oddeven_kernelINS1_37wrapped_merge_sort_block_merge_configINS0_14default_configE6__halfN2at4cuda3cub6detail10OpaqueTypeILi8EEEEEPS5_SD_PSB_SE_jNS1_19radix_merge_compareILb1ELb0ES5_NS0_19identity_decomposerEEEEEvT0_T1_T2_T3_T4_SM_T5_
		.amdhsa_group_segment_fixed_size 0
		.amdhsa_private_segment_fixed_size 0
		.amdhsa_kernarg_size 44
		.amdhsa_user_sgpr_count 2
		.amdhsa_user_sgpr_dispatch_ptr 0
		.amdhsa_user_sgpr_queue_ptr 0
		.amdhsa_user_sgpr_kernarg_segment_ptr 1
		.amdhsa_user_sgpr_dispatch_id 0
		.amdhsa_user_sgpr_kernarg_preload_length 0
		.amdhsa_user_sgpr_kernarg_preload_offset 0
		.amdhsa_user_sgpr_private_segment_size 0
		.amdhsa_uses_dynamic_stack 0
		.amdhsa_enable_private_segment 0
		.amdhsa_system_sgpr_workgroup_id_x 1
		.amdhsa_system_sgpr_workgroup_id_y 0
		.amdhsa_system_sgpr_workgroup_id_z 0
		.amdhsa_system_sgpr_workgroup_info 0
		.amdhsa_system_vgpr_workitem_id 0
		.amdhsa_next_free_vgpr 12
		.amdhsa_next_free_sgpr 22
		.amdhsa_accum_offset 12
		.amdhsa_reserve_vcc 1
		.amdhsa_float_round_mode_32 0
		.amdhsa_float_round_mode_16_64 0
		.amdhsa_float_denorm_mode_32 3
		.amdhsa_float_denorm_mode_16_64 3
		.amdhsa_dx10_clamp 1
		.amdhsa_ieee_mode 1
		.amdhsa_fp16_overflow 0
		.amdhsa_tg_split 0
		.amdhsa_exception_fp_ieee_invalid_op 0
		.amdhsa_exception_fp_denorm_src 0
		.amdhsa_exception_fp_ieee_div_zero 0
		.amdhsa_exception_fp_ieee_overflow 0
		.amdhsa_exception_fp_ieee_underflow 0
		.amdhsa_exception_fp_ieee_inexact 0
		.amdhsa_exception_int_div_zero 0
	.end_amdhsa_kernel
	.section	.text._ZN7rocprim17ROCPRIM_304000_NS6detail33device_block_merge_oddeven_kernelINS1_37wrapped_merge_sort_block_merge_configINS0_14default_configE6__halfN2at4cuda3cub6detail10OpaqueTypeILi8EEEEEPS5_SD_PSB_SE_jNS1_19radix_merge_compareILb1ELb0ES5_NS0_19identity_decomposerEEEEEvT0_T1_T2_T3_T4_SM_T5_,"axG",@progbits,_ZN7rocprim17ROCPRIM_304000_NS6detail33device_block_merge_oddeven_kernelINS1_37wrapped_merge_sort_block_merge_configINS0_14default_configE6__halfN2at4cuda3cub6detail10OpaqueTypeILi8EEEEEPS5_SD_PSB_SE_jNS1_19radix_merge_compareILb1ELb0ES5_NS0_19identity_decomposerEEEEEvT0_T1_T2_T3_T4_SM_T5_,comdat
.Lfunc_end186:
	.size	_ZN7rocprim17ROCPRIM_304000_NS6detail33device_block_merge_oddeven_kernelINS1_37wrapped_merge_sort_block_merge_configINS0_14default_configE6__halfN2at4cuda3cub6detail10OpaqueTypeILi8EEEEEPS5_SD_PSB_SE_jNS1_19radix_merge_compareILb1ELb0ES5_NS0_19identity_decomposerEEEEEvT0_T1_T2_T3_T4_SM_T5_, .Lfunc_end186-_ZN7rocprim17ROCPRIM_304000_NS6detail33device_block_merge_oddeven_kernelINS1_37wrapped_merge_sort_block_merge_configINS0_14default_configE6__halfN2at4cuda3cub6detail10OpaqueTypeILi8EEEEEPS5_SD_PSB_SE_jNS1_19radix_merge_compareILb1ELb0ES5_NS0_19identity_decomposerEEEEEvT0_T1_T2_T3_T4_SM_T5_
                                        ; -- End function
	.set _ZN7rocprim17ROCPRIM_304000_NS6detail33device_block_merge_oddeven_kernelINS1_37wrapped_merge_sort_block_merge_configINS0_14default_configE6__halfN2at4cuda3cub6detail10OpaqueTypeILi8EEEEEPS5_SD_PSB_SE_jNS1_19radix_merge_compareILb1ELb0ES5_NS0_19identity_decomposerEEEEEvT0_T1_T2_T3_T4_SM_T5_.num_vgpr, 12
	.set _ZN7rocprim17ROCPRIM_304000_NS6detail33device_block_merge_oddeven_kernelINS1_37wrapped_merge_sort_block_merge_configINS0_14default_configE6__halfN2at4cuda3cub6detail10OpaqueTypeILi8EEEEEPS5_SD_PSB_SE_jNS1_19radix_merge_compareILb1ELb0ES5_NS0_19identity_decomposerEEEEEvT0_T1_T2_T3_T4_SM_T5_.num_agpr, 0
	.set _ZN7rocprim17ROCPRIM_304000_NS6detail33device_block_merge_oddeven_kernelINS1_37wrapped_merge_sort_block_merge_configINS0_14default_configE6__halfN2at4cuda3cub6detail10OpaqueTypeILi8EEEEEPS5_SD_PSB_SE_jNS1_19radix_merge_compareILb1ELb0ES5_NS0_19identity_decomposerEEEEEvT0_T1_T2_T3_T4_SM_T5_.numbered_sgpr, 22
	.set _ZN7rocprim17ROCPRIM_304000_NS6detail33device_block_merge_oddeven_kernelINS1_37wrapped_merge_sort_block_merge_configINS0_14default_configE6__halfN2at4cuda3cub6detail10OpaqueTypeILi8EEEEEPS5_SD_PSB_SE_jNS1_19radix_merge_compareILb1ELb0ES5_NS0_19identity_decomposerEEEEEvT0_T1_T2_T3_T4_SM_T5_.num_named_barrier, 0
	.set _ZN7rocprim17ROCPRIM_304000_NS6detail33device_block_merge_oddeven_kernelINS1_37wrapped_merge_sort_block_merge_configINS0_14default_configE6__halfN2at4cuda3cub6detail10OpaqueTypeILi8EEEEEPS5_SD_PSB_SE_jNS1_19radix_merge_compareILb1ELb0ES5_NS0_19identity_decomposerEEEEEvT0_T1_T2_T3_T4_SM_T5_.private_seg_size, 0
	.set _ZN7rocprim17ROCPRIM_304000_NS6detail33device_block_merge_oddeven_kernelINS1_37wrapped_merge_sort_block_merge_configINS0_14default_configE6__halfN2at4cuda3cub6detail10OpaqueTypeILi8EEEEEPS5_SD_PSB_SE_jNS1_19radix_merge_compareILb1ELb0ES5_NS0_19identity_decomposerEEEEEvT0_T1_T2_T3_T4_SM_T5_.uses_vcc, 1
	.set _ZN7rocprim17ROCPRIM_304000_NS6detail33device_block_merge_oddeven_kernelINS1_37wrapped_merge_sort_block_merge_configINS0_14default_configE6__halfN2at4cuda3cub6detail10OpaqueTypeILi8EEEEEPS5_SD_PSB_SE_jNS1_19radix_merge_compareILb1ELb0ES5_NS0_19identity_decomposerEEEEEvT0_T1_T2_T3_T4_SM_T5_.uses_flat_scratch, 0
	.set _ZN7rocprim17ROCPRIM_304000_NS6detail33device_block_merge_oddeven_kernelINS1_37wrapped_merge_sort_block_merge_configINS0_14default_configE6__halfN2at4cuda3cub6detail10OpaqueTypeILi8EEEEEPS5_SD_PSB_SE_jNS1_19radix_merge_compareILb1ELb0ES5_NS0_19identity_decomposerEEEEEvT0_T1_T2_T3_T4_SM_T5_.has_dyn_sized_stack, 0
	.set _ZN7rocprim17ROCPRIM_304000_NS6detail33device_block_merge_oddeven_kernelINS1_37wrapped_merge_sort_block_merge_configINS0_14default_configE6__halfN2at4cuda3cub6detail10OpaqueTypeILi8EEEEEPS5_SD_PSB_SE_jNS1_19radix_merge_compareILb1ELb0ES5_NS0_19identity_decomposerEEEEEvT0_T1_T2_T3_T4_SM_T5_.has_recursion, 0
	.set _ZN7rocprim17ROCPRIM_304000_NS6detail33device_block_merge_oddeven_kernelINS1_37wrapped_merge_sort_block_merge_configINS0_14default_configE6__halfN2at4cuda3cub6detail10OpaqueTypeILi8EEEEEPS5_SD_PSB_SE_jNS1_19radix_merge_compareILb1ELb0ES5_NS0_19identity_decomposerEEEEEvT0_T1_T2_T3_T4_SM_T5_.has_indirect_call, 0
	.section	.AMDGPU.csdata,"",@progbits
; Kernel info:
; codeLenInByte = 844
; TotalNumSgprs: 28
; NumVgprs: 12
; NumAgprs: 0
; TotalNumVgprs: 12
; ScratchSize: 0
; MemoryBound: 0
; FloatMode: 240
; IeeeMode: 1
; LDSByteSize: 0 bytes/workgroup (compile time only)
; SGPRBlocks: 3
; VGPRBlocks: 1
; NumSGPRsForWavesPerEU: 28
; NumVGPRsForWavesPerEU: 12
; AccumOffset: 12
; Occupancy: 8
; WaveLimiterHint : 0
; COMPUTE_PGM_RSRC2:SCRATCH_EN: 0
; COMPUTE_PGM_RSRC2:USER_SGPR: 2
; COMPUTE_PGM_RSRC2:TRAP_HANDLER: 0
; COMPUTE_PGM_RSRC2:TGID_X_EN: 1
; COMPUTE_PGM_RSRC2:TGID_Y_EN: 0
; COMPUTE_PGM_RSRC2:TGID_Z_EN: 0
; COMPUTE_PGM_RSRC2:TIDIG_COMP_CNT: 0
; COMPUTE_PGM_RSRC3_GFX90A:ACCUM_OFFSET: 2
; COMPUTE_PGM_RSRC3_GFX90A:TG_SPLIT: 0
	.section	.text._ZN7rocprim17ROCPRIM_304000_NS6detail16transform_kernelINS1_24wrapped_transform_configINS0_14default_configE6__halfEES5_PS5_S7_NS0_8identityIS5_EEEEvT1_mT2_T3_,"axG",@progbits,_ZN7rocprim17ROCPRIM_304000_NS6detail16transform_kernelINS1_24wrapped_transform_configINS0_14default_configE6__halfEES5_PS5_S7_NS0_8identityIS5_EEEEvT1_mT2_T3_,comdat
	.protected	_ZN7rocprim17ROCPRIM_304000_NS6detail16transform_kernelINS1_24wrapped_transform_configINS0_14default_configE6__halfEES5_PS5_S7_NS0_8identityIS5_EEEEvT1_mT2_T3_ ; -- Begin function _ZN7rocprim17ROCPRIM_304000_NS6detail16transform_kernelINS1_24wrapped_transform_configINS0_14default_configE6__halfEES5_PS5_S7_NS0_8identityIS5_EEEEvT1_mT2_T3_
	.globl	_ZN7rocprim17ROCPRIM_304000_NS6detail16transform_kernelINS1_24wrapped_transform_configINS0_14default_configE6__halfEES5_PS5_S7_NS0_8identityIS5_EEEEvT1_mT2_T3_
	.p2align	8
	.type	_ZN7rocprim17ROCPRIM_304000_NS6detail16transform_kernelINS1_24wrapped_transform_configINS0_14default_configE6__halfEES5_PS5_S7_NS0_8identityIS5_EEEEvT1_mT2_T3_,@function
_ZN7rocprim17ROCPRIM_304000_NS6detail16transform_kernelINS1_24wrapped_transform_configINS0_14default_configE6__halfEES5_PS5_S7_NS0_8identityIS5_EEEEvT1_mT2_T3_: ; @_ZN7rocprim17ROCPRIM_304000_NS6detail16transform_kernelINS1_24wrapped_transform_configINS0_14default_configE6__halfEES5_PS5_S7_NS0_8identityIS5_EEEEvT1_mT2_T3_
; %bb.0:
	s_load_dword s3, s[0:1], 0x20
	s_load_dwordx4 s[4:7], s[0:1], 0x0
	s_load_dwordx2 s[8:9], s[0:1], 0x10
	s_lshl_b32 s0, s2, 9
	s_mov_b32 s1, 0
	s_waitcnt lgkmcnt(0)
	s_add_i32 s3, s3, -1
	s_lshl_b64 s[10:11], s[0:1], 1
	s_add_u32 s4, s4, s10
	s_addc_u32 s5, s5, s11
	v_mov_b32_e32 v3, 0
	v_lshlrev_b32_e32 v2, 1, v0
	s_cmp_lg_u32 s2, s3
	v_lshl_add_u64 v[4:5], s[4:5], 0, v[2:3]
	s_cbranch_scc0 .LBB187_2
; %bb.1:
	global_load_ushort v1, v[4:5], off
	global_load_ushort v3, v[4:5], off offset:256
	global_load_ushort v7, v[4:5], off offset:512
	global_load_ushort v6, v[4:5], off offset:768
	s_add_u32 s4, s8, s10
	s_addc_u32 s5, s9, s11
	s_waitcnt vmcnt(3)
	global_store_short v2, v1, s[4:5]
	s_waitcnt vmcnt(3)
	global_store_short v2, v3, s[4:5] offset:256
	s_waitcnt vmcnt(3)
	global_store_short v2, v7, s[4:5] offset:512
	s_mov_b64 s[4:5], -1
	s_cbranch_execz .LBB187_3
	s_branch .LBB187_16
.LBB187_2:
	s_mov_b64 s[4:5], 0
                                        ; implicit-def: $vgpr6
.LBB187_3:
	s_sub_i32 s6, s6, s0
	v_cmp_gt_u32_e32 vcc, s6, v0
                                        ; implicit-def: $vgpr7
	s_and_saveexec_b64 s[0:1], vcc
	s_cbranch_execz .LBB187_5
; %bb.4:
	global_load_ushort v7, v[4:5], off
.LBB187_5:
	s_or_b64 exec, exec, s[0:1]
	v_or_b32_e32 v1, 0x80, v0
	v_cmp_gt_u32_e64 s[0:1], s6, v1
                                        ; implicit-def: $vgpr8
	s_and_saveexec_b64 s[2:3], s[0:1]
	s_cbranch_execz .LBB187_7
; %bb.6:
	global_load_ushort v8, v[4:5], off offset:256
.LBB187_7:
	s_or_b64 exec, exec, s[2:3]
	v_or_b32_e32 v1, 0x100, v0
	v_cmp_gt_u32_e64 s[2:3], s6, v1
                                        ; implicit-def: $vgpr9
	s_and_saveexec_b64 s[4:5], s[2:3]
	s_cbranch_execz .LBB187_9
; %bb.8:
	global_load_ushort v9, v[4:5], off offset:512
.LBB187_9:
	s_or_b64 exec, exec, s[4:5]
	v_or_b32_e32 v0, 0x180, v0
	v_cmp_gt_u32_e64 s[4:5], s6, v0
                                        ; implicit-def: $vgpr6
	s_and_saveexec_b64 s[6:7], s[4:5]
	s_cbranch_execz .LBB187_11
; %bb.10:
	global_load_ushort v6, v[4:5], off offset:768
.LBB187_11:
	s_or_b64 exec, exec, s[6:7]
	s_add_u32 s6, s8, s10
	s_addc_u32 s7, s9, s11
	v_mov_b32_e32 v3, 0
	v_lshl_add_u64 v[0:1], s[6:7], 0, v[2:3]
	s_and_saveexec_b64 s[6:7], vcc
	s_cbranch_execnz .LBB187_19
; %bb.12:
	s_or_b64 exec, exec, s[6:7]
	s_and_saveexec_b64 s[6:7], s[0:1]
	s_cbranch_execnz .LBB187_20
.LBB187_13:
	s_or_b64 exec, exec, s[6:7]
	s_and_saveexec_b64 s[0:1], s[2:3]
	s_cbranch_execz .LBB187_15
.LBB187_14:
	s_waitcnt vmcnt(0)
	global_store_short v[0:1], v9, off offset:512
.LBB187_15:
	s_or_b64 exec, exec, s[0:1]
.LBB187_16:
	s_and_saveexec_b64 s[0:1], s[4:5]
	s_cbranch_execnz .LBB187_18
; %bb.17:
	s_endpgm
.LBB187_18:
	s_add_u32 s0, s8, s10
	s_addc_u32 s1, s9, s11
	s_waitcnt vmcnt(0)
	global_store_short v2, v6, s[0:1] offset:768
	s_endpgm
.LBB187_19:
	s_waitcnt vmcnt(0)
	global_store_short v[0:1], v7, off
	s_or_b64 exec, exec, s[6:7]
	s_and_saveexec_b64 s[6:7], s[0:1]
	s_cbranch_execz .LBB187_13
.LBB187_20:
	s_waitcnt vmcnt(0)
	global_store_short v[0:1], v8, off offset:256
	s_or_b64 exec, exec, s[6:7]
	s_and_saveexec_b64 s[0:1], s[2:3]
	s_cbranch_execnz .LBB187_14
	s_branch .LBB187_15
	.section	.rodata,"a",@progbits
	.p2align	6, 0x0
	.amdhsa_kernel _ZN7rocprim17ROCPRIM_304000_NS6detail16transform_kernelINS1_24wrapped_transform_configINS0_14default_configE6__halfEES5_PS5_S7_NS0_8identityIS5_EEEEvT1_mT2_T3_
		.amdhsa_group_segment_fixed_size 0
		.amdhsa_private_segment_fixed_size 0
		.amdhsa_kernarg_size 288
		.amdhsa_user_sgpr_count 2
		.amdhsa_user_sgpr_dispatch_ptr 0
		.amdhsa_user_sgpr_queue_ptr 0
		.amdhsa_user_sgpr_kernarg_segment_ptr 1
		.amdhsa_user_sgpr_dispatch_id 0
		.amdhsa_user_sgpr_kernarg_preload_length 0
		.amdhsa_user_sgpr_kernarg_preload_offset 0
		.amdhsa_user_sgpr_private_segment_size 0
		.amdhsa_uses_dynamic_stack 0
		.amdhsa_enable_private_segment 0
		.amdhsa_system_sgpr_workgroup_id_x 1
		.amdhsa_system_sgpr_workgroup_id_y 0
		.amdhsa_system_sgpr_workgroup_id_z 0
		.amdhsa_system_sgpr_workgroup_info 0
		.amdhsa_system_vgpr_workitem_id 0
		.amdhsa_next_free_vgpr 10
		.amdhsa_next_free_sgpr 12
		.amdhsa_accum_offset 12
		.amdhsa_reserve_vcc 1
		.amdhsa_float_round_mode_32 0
		.amdhsa_float_round_mode_16_64 0
		.amdhsa_float_denorm_mode_32 3
		.amdhsa_float_denorm_mode_16_64 3
		.amdhsa_dx10_clamp 1
		.amdhsa_ieee_mode 1
		.amdhsa_fp16_overflow 0
		.amdhsa_tg_split 0
		.amdhsa_exception_fp_ieee_invalid_op 0
		.amdhsa_exception_fp_denorm_src 0
		.amdhsa_exception_fp_ieee_div_zero 0
		.amdhsa_exception_fp_ieee_overflow 0
		.amdhsa_exception_fp_ieee_underflow 0
		.amdhsa_exception_fp_ieee_inexact 0
		.amdhsa_exception_int_div_zero 0
	.end_amdhsa_kernel
	.section	.text._ZN7rocprim17ROCPRIM_304000_NS6detail16transform_kernelINS1_24wrapped_transform_configINS0_14default_configE6__halfEES5_PS5_S7_NS0_8identityIS5_EEEEvT1_mT2_T3_,"axG",@progbits,_ZN7rocprim17ROCPRIM_304000_NS6detail16transform_kernelINS1_24wrapped_transform_configINS0_14default_configE6__halfEES5_PS5_S7_NS0_8identityIS5_EEEEvT1_mT2_T3_,comdat
.Lfunc_end187:
	.size	_ZN7rocprim17ROCPRIM_304000_NS6detail16transform_kernelINS1_24wrapped_transform_configINS0_14default_configE6__halfEES5_PS5_S7_NS0_8identityIS5_EEEEvT1_mT2_T3_, .Lfunc_end187-_ZN7rocprim17ROCPRIM_304000_NS6detail16transform_kernelINS1_24wrapped_transform_configINS0_14default_configE6__halfEES5_PS5_S7_NS0_8identityIS5_EEEEvT1_mT2_T3_
                                        ; -- End function
	.set _ZN7rocprim17ROCPRIM_304000_NS6detail16transform_kernelINS1_24wrapped_transform_configINS0_14default_configE6__halfEES5_PS5_S7_NS0_8identityIS5_EEEEvT1_mT2_T3_.num_vgpr, 10
	.set _ZN7rocprim17ROCPRIM_304000_NS6detail16transform_kernelINS1_24wrapped_transform_configINS0_14default_configE6__halfEES5_PS5_S7_NS0_8identityIS5_EEEEvT1_mT2_T3_.num_agpr, 0
	.set _ZN7rocprim17ROCPRIM_304000_NS6detail16transform_kernelINS1_24wrapped_transform_configINS0_14default_configE6__halfEES5_PS5_S7_NS0_8identityIS5_EEEEvT1_mT2_T3_.numbered_sgpr, 12
	.set _ZN7rocprim17ROCPRIM_304000_NS6detail16transform_kernelINS1_24wrapped_transform_configINS0_14default_configE6__halfEES5_PS5_S7_NS0_8identityIS5_EEEEvT1_mT2_T3_.num_named_barrier, 0
	.set _ZN7rocprim17ROCPRIM_304000_NS6detail16transform_kernelINS1_24wrapped_transform_configINS0_14default_configE6__halfEES5_PS5_S7_NS0_8identityIS5_EEEEvT1_mT2_T3_.private_seg_size, 0
	.set _ZN7rocprim17ROCPRIM_304000_NS6detail16transform_kernelINS1_24wrapped_transform_configINS0_14default_configE6__halfEES5_PS5_S7_NS0_8identityIS5_EEEEvT1_mT2_T3_.uses_vcc, 1
	.set _ZN7rocprim17ROCPRIM_304000_NS6detail16transform_kernelINS1_24wrapped_transform_configINS0_14default_configE6__halfEES5_PS5_S7_NS0_8identityIS5_EEEEvT1_mT2_T3_.uses_flat_scratch, 0
	.set _ZN7rocprim17ROCPRIM_304000_NS6detail16transform_kernelINS1_24wrapped_transform_configINS0_14default_configE6__halfEES5_PS5_S7_NS0_8identityIS5_EEEEvT1_mT2_T3_.has_dyn_sized_stack, 0
	.set _ZN7rocprim17ROCPRIM_304000_NS6detail16transform_kernelINS1_24wrapped_transform_configINS0_14default_configE6__halfEES5_PS5_S7_NS0_8identityIS5_EEEEvT1_mT2_T3_.has_recursion, 0
	.set _ZN7rocprim17ROCPRIM_304000_NS6detail16transform_kernelINS1_24wrapped_transform_configINS0_14default_configE6__halfEES5_PS5_S7_NS0_8identityIS5_EEEEvT1_mT2_T3_.has_indirect_call, 0
	.section	.AMDGPU.csdata,"",@progbits
; Kernel info:
; codeLenInByte = 460
; TotalNumSgprs: 18
; NumVgprs: 10
; NumAgprs: 0
; TotalNumVgprs: 10
; ScratchSize: 0
; MemoryBound: 0
; FloatMode: 240
; IeeeMode: 1
; LDSByteSize: 0 bytes/workgroup (compile time only)
; SGPRBlocks: 2
; VGPRBlocks: 1
; NumSGPRsForWavesPerEU: 18
; NumVGPRsForWavesPerEU: 10
; AccumOffset: 12
; Occupancy: 8
; WaveLimiterHint : 1
; COMPUTE_PGM_RSRC2:SCRATCH_EN: 0
; COMPUTE_PGM_RSRC2:USER_SGPR: 2
; COMPUTE_PGM_RSRC2:TRAP_HANDLER: 0
; COMPUTE_PGM_RSRC2:TGID_X_EN: 1
; COMPUTE_PGM_RSRC2:TGID_Y_EN: 0
; COMPUTE_PGM_RSRC2:TGID_Z_EN: 0
; COMPUTE_PGM_RSRC2:TIDIG_COMP_CNT: 0
; COMPUTE_PGM_RSRC3_GFX90A:ACCUM_OFFSET: 2
; COMPUTE_PGM_RSRC3_GFX90A:TG_SPLIT: 0
	.section	.text._ZN7rocprim17ROCPRIM_304000_NS6detail26onesweep_histograms_kernelINS1_34wrapped_radix_sort_onesweep_configINS0_14default_configE6__halfN2at4cuda3cub6detail10OpaqueTypeILi8EEEEELb1EPKS5_mNS0_19identity_decomposerEEEvT1_PT2_SH_SH_T3_jj,"axG",@progbits,_ZN7rocprim17ROCPRIM_304000_NS6detail26onesweep_histograms_kernelINS1_34wrapped_radix_sort_onesweep_configINS0_14default_configE6__halfN2at4cuda3cub6detail10OpaqueTypeILi8EEEEELb1EPKS5_mNS0_19identity_decomposerEEEvT1_PT2_SH_SH_T3_jj,comdat
	.protected	_ZN7rocprim17ROCPRIM_304000_NS6detail26onesweep_histograms_kernelINS1_34wrapped_radix_sort_onesweep_configINS0_14default_configE6__halfN2at4cuda3cub6detail10OpaqueTypeILi8EEEEELb1EPKS5_mNS0_19identity_decomposerEEEvT1_PT2_SH_SH_T3_jj ; -- Begin function _ZN7rocprim17ROCPRIM_304000_NS6detail26onesweep_histograms_kernelINS1_34wrapped_radix_sort_onesweep_configINS0_14default_configE6__halfN2at4cuda3cub6detail10OpaqueTypeILi8EEEEELb1EPKS5_mNS0_19identity_decomposerEEEvT1_PT2_SH_SH_T3_jj
	.globl	_ZN7rocprim17ROCPRIM_304000_NS6detail26onesweep_histograms_kernelINS1_34wrapped_radix_sort_onesweep_configINS0_14default_configE6__halfN2at4cuda3cub6detail10OpaqueTypeILi8EEEEELb1EPKS5_mNS0_19identity_decomposerEEEvT1_PT2_SH_SH_T3_jj
	.p2align	8
	.type	_ZN7rocprim17ROCPRIM_304000_NS6detail26onesweep_histograms_kernelINS1_34wrapped_radix_sort_onesweep_configINS0_14default_configE6__halfN2at4cuda3cub6detail10OpaqueTypeILi8EEEEELb1EPKS5_mNS0_19identity_decomposerEEEvT1_PT2_SH_SH_T3_jj,@function
_ZN7rocprim17ROCPRIM_304000_NS6detail26onesweep_histograms_kernelINS1_34wrapped_radix_sort_onesweep_configINS0_14default_configE6__halfN2at4cuda3cub6detail10OpaqueTypeILi8EEEEELb1EPKS5_mNS0_19identity_decomposerEEEvT1_PT2_SH_SH_T3_jj: ; @_ZN7rocprim17ROCPRIM_304000_NS6detail26onesweep_histograms_kernelINS1_34wrapped_radix_sort_onesweep_configINS0_14default_configE6__halfN2at4cuda3cub6detail10OpaqueTypeILi8EEEEELb1EPKS5_mNS0_19identity_decomposerEEEvT1_PT2_SH_SH_T3_jj
; %bb.0:
	s_load_dwordx8 s[24:31], s[0:1], 0x0
	s_load_dwordx2 s[34:35], s[0:1], 0x24
	v_mov_b32_e32 v2, s2
	v_mov_b32_e32 v3, 0
	s_mul_hi_u32 s0, s2, 0x1800
	s_mulk_i32 s2, 0x1800
	s_waitcnt lgkmcnt(0)
	v_cmp_le_u64_e32 vcc, s[30:31], v[2:3]
	s_add_u32 s24, s24, s2
	s_addc_u32 s25, s25, s0
	s_mov_b64 s[0:1], -1
	v_lshlrev_b32_e32 v2, 1, v0
	s_cbranch_vccz .LBB188_86
; %bb.1:
	s_mul_i32 s0, s30, 0xfffff400
	s_add_i32 s28, s0, s28
	v_lshl_add_u64 v[4:5], s[24:25], 0, v[2:3]
	v_cmp_gt_u32_e64 s[22:23], s28, v0
                                        ; implicit-def: $vgpr15
	s_and_saveexec_b64 s[0:1], s[22:23]
	s_cbranch_execz .LBB188_3
; %bb.2:
	global_load_ushort v15, v[4:5], off
.LBB188_3:
	s_or_b64 exec, exec, s[0:1]
	v_or_b32_e32 v1, 0x100, v0
	v_cmp_gt_u32_e64 s[20:21], s28, v1
                                        ; implicit-def: $vgpr14
	s_and_saveexec_b64 s[0:1], s[20:21]
	s_cbranch_execz .LBB188_5
; %bb.4:
	global_load_ushort v14, v[4:5], off offset:512
.LBB188_5:
	s_or_b64 exec, exec, s[0:1]
	v_or_b32_e32 v1, 0x200, v0
	v_cmp_gt_u32_e64 s[18:19], s28, v1
                                        ; implicit-def: $vgpr13
	s_and_saveexec_b64 s[0:1], s[18:19]
	s_cbranch_execz .LBB188_7
; %bb.6:
	global_load_ushort v13, v[4:5], off offset:1024
.LBB188_7:
	s_or_b64 exec, exec, s[0:1]
	v_or_b32_e32 v1, 0x300, v0
	v_cmp_gt_u32_e64 s[16:17], s28, v1
                                        ; implicit-def: $vgpr12
	s_and_saveexec_b64 s[0:1], s[16:17]
	s_cbranch_execz .LBB188_9
; %bb.8:
	global_load_ushort v12, v[4:5], off offset:1536
.LBB188_9:
	s_or_b64 exec, exec, s[0:1]
	v_or_b32_e32 v1, 0x400, v0
	v_cmp_gt_u32_e64 s[14:15], s28, v1
                                        ; implicit-def: $vgpr11
	s_and_saveexec_b64 s[0:1], s[14:15]
	s_cbranch_execz .LBB188_11
; %bb.10:
	global_load_ushort v11, v[4:5], off offset:2048
.LBB188_11:
	s_or_b64 exec, exec, s[0:1]
	v_or_b32_e32 v1, 0x500, v0
	v_cmp_gt_u32_e64 s[12:13], s28, v1
                                        ; implicit-def: $vgpr10
	s_and_saveexec_b64 s[0:1], s[12:13]
	s_cbranch_execz .LBB188_13
; %bb.12:
	global_load_ushort v10, v[4:5], off offset:2560
.LBB188_13:
	s_or_b64 exec, exec, s[0:1]
	v_or_b32_e32 v1, 0x600, v0
	v_cmp_gt_u32_e64 s[10:11], s28, v1
                                        ; implicit-def: $vgpr9
	s_and_saveexec_b64 s[0:1], s[10:11]
	s_cbranch_execz .LBB188_15
; %bb.14:
	global_load_ushort v9, v[4:5], off offset:3072
.LBB188_15:
	s_or_b64 exec, exec, s[0:1]
	v_or_b32_e32 v1, 0x700, v0
	v_cmp_gt_u32_e64 s[8:9], s28, v1
                                        ; implicit-def: $vgpr8
	s_and_saveexec_b64 s[0:1], s[8:9]
	s_cbranch_execz .LBB188_17
; %bb.16:
	global_load_ushort v8, v[4:5], off offset:3584
.LBB188_17:
	s_or_b64 exec, exec, s[0:1]
	v_or_b32_e32 v1, 0x800, v0
	v_cmp_gt_u32_e64 s[6:7], s28, v1
                                        ; implicit-def: $vgpr7
	s_and_saveexec_b64 s[0:1], s[6:7]
	s_cbranch_execz .LBB188_19
; %bb.18:
	v_add_co_u32_e32 v6, vcc, 0x1000, v4
	s_nop 1
	v_addc_co_u32_e32 v7, vcc, 0, v5, vcc
	global_load_ushort v7, v[6:7], off
.LBB188_19:
	s_or_b64 exec, exec, s[0:1]
	v_or_b32_e32 v1, 0x900, v0
	v_cmp_gt_u32_e64 s[4:5], s28, v1
                                        ; implicit-def: $vgpr6
	s_and_saveexec_b64 s[0:1], s[4:5]
	s_cbranch_execz .LBB188_21
; %bb.20:
	v_add_co_u32_e32 v16, vcc, 0x1000, v4
	s_nop 1
	v_addc_co_u32_e32 v17, vcc, 0, v5, vcc
	global_load_ushort v6, v[16:17], off offset:512
.LBB188_21:
	s_or_b64 exec, exec, s[0:1]
	v_or_b32_e32 v1, 0xa00, v0
	v_cmp_gt_u32_e64 s[2:3], s28, v1
                                        ; implicit-def: $vgpr3
	s_and_saveexec_b64 s[0:1], s[2:3]
	s_cbranch_execz .LBB188_23
; %bb.22:
	v_add_co_u32_e32 v16, vcc, 0x1000, v4
	s_nop 1
	v_addc_co_u32_e32 v17, vcc, 0, v5, vcc
	global_load_ushort v3, v[16:17], off offset:1024
.LBB188_23:
	s_or_b64 exec, exec, s[0:1]
	v_or_b32_e32 v1, 0xb00, v0
	v_cmp_gt_u32_e64 s[0:1], s28, v1
                                        ; implicit-def: $vgpr1
	s_and_saveexec_b64 s[28:29], s[0:1]
	s_cbranch_execz .LBB188_25
; %bb.24:
	v_add_co_u32_e32 v4, vcc, 0x1000, v4
	s_nop 1
	v_addc_co_u32_e32 v5, vcc, 0, v5, vcc
	global_load_ushort v1, v[4:5], off offset:1536
.LBB188_25:
	s_or_b64 exec, exec, s[28:29]
	s_mov_b32 s28, 0
	v_lshlrev_b32_e32 v4, 2, v0
	s_mov_b32 s29, 1
	s_mov_b64 s[30:31], 0
	v_mov_b32_e32 v5, 0
	s_mov_b32 s36, s28
	s_branch .LBB188_27
.LBB188_26:                             ;   in Loop: Header=BB188_27 Depth=1
	s_or_b64 exec, exec, s[40:41]
	s_add_i32 s36, s36, 2
	v_cmp_eq_u32_e64 s[38:39], 8, s36
	s_or_b64 s[30:31], s[38:39], s[30:31]
	v_add_u32_e32 v4, 0x800, v4
	s_andn2_b64 exec, exec, s[30:31]
	s_cbranch_execz .LBB188_31
.LBB188_27:                             ; =>This Inner Loop Header: Depth=1
	s_mov_b32 s37, s36
	s_or_b64 s[40:41], s[36:37], s[28:29]
	v_cmp_le_u32_e64 s[38:39], s41, 7
	v_cmp_le_u32_e64 s[42:43], s40, 7
	s_and_saveexec_b64 s[40:41], s[42:43]
; %bb.28:                               ;   in Loop: Header=BB188_27 Depth=1
	ds_write_b32 v4, v5
; %bb.29:                               ;   in Loop: Header=BB188_27 Depth=1
	s_or_b64 exec, exec, s[40:41]
	s_and_saveexec_b64 s[40:41], s[38:39]
	s_cbranch_execz .LBB188_26
; %bb.30:                               ;   in Loop: Header=BB188_27 Depth=1
	ds_write_b32 v4, v5 offset:1024
	s_branch .LBB188_26
.LBB188_31:
	s_or_b64 exec, exec, s[30:31]
	s_cmp_gt_u32 s35, s34
	s_cselect_b64 s[28:29], -1, 0
	s_cmp_le_u32 s35, s34
	s_waitcnt lgkmcnt(0)
	s_barrier
	s_cbranch_scc1 .LBB188_80
; %bb.32:
	v_mov_b32_e32 v5, 0x7fff
	s_waitcnt vmcnt(0)
	v_cmp_gt_i16_e32 vcc, 0, v15
	v_and_b32_e32 v4, 3, v0
	s_movk_i32 s30, 0x8000
	v_cndmask_b32_e64 v16, v5, 0, vcc
	v_xor_b32_e32 v15, v16, v15
	v_cmp_ne_u16_e32 vcc, s30, v15
	v_lshlrev_b32_e32 v4, 2, v4
	s_sub_i32 s33, s35, s34
	v_cndmask_b32_e32 v5, v5, v15, vcc
	v_mov_b32_e32 v15, 1
	s_mov_b32 s36, s33
	v_mov_b32_e32 v16, v4
	s_mov_b32 s37, s34
	s_branch .LBB188_34
.LBB188_33:                             ;   in Loop: Header=BB188_34 Depth=1
	s_or_b64 exec, exec, s[30:31]
	s_add_i32 s37, s37, 8
	s_add_i32 s36, s36, -8
	s_cmp_ge_u32 s37, s35
	v_add_u32_e32 v16, 0x1000, v16
	s_cbranch_scc1 .LBB188_36
.LBB188_34:                             ; =>This Inner Loop Header: Depth=1
	s_and_saveexec_b64 s[30:31], s[22:23]
	s_cbranch_execz .LBB188_33
; %bb.35:                               ;   in Loop: Header=BB188_34 Depth=1
	s_min_u32 s38, s36, 8
	v_lshrrev_b32_sdwa v17, s37, v5 dst_sel:DWORD dst_unused:UNUSED_PAD src0_sel:DWORD src1_sel:WORD_0
	v_bfe_u32 v17, v17, 0, s38
	v_lshl_add_u32 v17, v17, 4, v16
	ds_add_u32 v17, v15
	s_branch .LBB188_33
.LBB188_36:
	v_mov_b32_e32 v5, 0x7fff
	v_cmp_gt_i16_e32 vcc, 0, v14
	s_movk_i32 s22, 0x8000
	s_mov_b32 s30, s33
	v_cndmask_b32_e64 v15, v5, 0, vcc
	v_xor_b32_e32 v14, v15, v14
	v_cmp_ne_u16_e32 vcc, s22, v14
	v_mov_b32_e32 v15, v4
	s_mov_b32 s31, s34
	v_cndmask_b32_e32 v5, v5, v14, vcc
	v_mov_b32_e32 v14, 1
	s_branch .LBB188_38
.LBB188_37:                             ;   in Loop: Header=BB188_38 Depth=1
	s_or_b64 exec, exec, s[22:23]
	s_add_i32 s31, s31, 8
	s_add_i32 s30, s30, -8
	s_cmp_lt_u32 s31, s35
	v_add_u32_e32 v15, 0x1000, v15
	s_cbranch_scc0 .LBB188_40
.LBB188_38:                             ; =>This Inner Loop Header: Depth=1
	s_and_saveexec_b64 s[22:23], s[20:21]
	s_cbranch_execz .LBB188_37
; %bb.39:                               ;   in Loop: Header=BB188_38 Depth=1
	s_min_u32 s36, s30, 8
	v_lshrrev_b32_sdwa v16, s31, v5 dst_sel:DWORD dst_unused:UNUSED_PAD src0_sel:DWORD src1_sel:WORD_0
	v_bfe_u32 v16, v16, 0, s36
	v_lshl_add_u32 v16, v16, 4, v15
	ds_add_u32 v16, v14
	s_branch .LBB188_37
.LBB188_40:
	v_mov_b32_e32 v5, 0x7fff
	v_cmp_gt_i16_e32 vcc, 0, v13
	s_movk_i32 s20, 0x8000
	s_mov_b32 s22, s33
	v_cndmask_b32_e64 v14, v5, 0, vcc
	v_xor_b32_e32 v13, v14, v13
	v_cmp_ne_u16_e32 vcc, s20, v13
	v_mov_b32_e32 v14, v4
	s_mov_b32 s23, s34
	v_cndmask_b32_e32 v5, v5, v13, vcc
	v_mov_b32_e32 v13, 1
	s_branch .LBB188_42
.LBB188_41:                             ;   in Loop: Header=BB188_42 Depth=1
	s_or_b64 exec, exec, s[20:21]
	s_add_i32 s23, s23, 8
	s_add_i32 s22, s22, -8
	s_cmp_lt_u32 s23, s35
	v_add_u32_e32 v14, 0x1000, v14
	s_cbranch_scc0 .LBB188_44
.LBB188_42:                             ; =>This Inner Loop Header: Depth=1
	s_and_saveexec_b64 s[20:21], s[18:19]
	s_cbranch_execz .LBB188_41
; %bb.43:                               ;   in Loop: Header=BB188_42 Depth=1
	s_min_u32 s30, s22, 8
	v_lshrrev_b32_sdwa v15, s23, v5 dst_sel:DWORD dst_unused:UNUSED_PAD src0_sel:DWORD src1_sel:WORD_0
	v_bfe_u32 v15, v15, 0, s30
	v_lshl_add_u32 v15, v15, 4, v14
	ds_add_u32 v15, v13
	s_branch .LBB188_41
.LBB188_44:
	;; [unrolled: 30-line block ×10, first 2 shown]
	v_mov_b32_e32 v3, 0x7fff
	v_cmp_gt_i16_e32 vcc, 0, v1
	s_movk_i32 s2, 0x8000
	s_mov_b32 s4, s34
	v_cndmask_b32_e64 v5, v3, 0, vcc
	v_xor_b32_e32 v1, v5, v1
	v_cmp_ne_u16_e32 vcc, s2, v1
	s_nop 1
	v_cndmask_b32_e32 v1, v3, v1, vcc
	v_mov_b32_e32 v3, 1
	s_branch .LBB188_78
.LBB188_77:                             ;   in Loop: Header=BB188_78 Depth=1
	s_or_b64 exec, exec, s[2:3]
	s_add_i32 s4, s4, 8
	s_add_i32 s33, s33, -8
	s_cmp_lt_u32 s4, s35
	v_add_u32_e32 v4, 0x1000, v4
	s_cbranch_scc0 .LBB188_80
.LBB188_78:                             ; =>This Inner Loop Header: Depth=1
	s_and_saveexec_b64 s[2:3], s[0:1]
	s_cbranch_execz .LBB188_77
; %bb.79:                               ;   in Loop: Header=BB188_78 Depth=1
	s_min_u32 s5, s33, 8
	v_lshrrev_b32_sdwa v5, s4, v1 dst_sel:DWORD dst_unused:UNUSED_PAD src0_sel:DWORD src1_sel:WORD_0
	v_bfe_u32 v5, v5, 0, s5
	v_lshl_add_u32 v5, v5, 4, v4
	ds_add_u32 v5, v3
	s_branch .LBB188_77
.LBB188_80:
	s_and_b64 vcc, exec, s[28:29]
	s_waitcnt lgkmcnt(0)
	s_barrier
	s_cbranch_vccz .LBB188_85
; %bb.81:
	s_movk_i32 s0, 0x100
	v_cmp_gt_u32_e32 vcc, s0, v0
	s_waitcnt vmcnt(0)
	v_lshlrev_b32_e32 v1, 4, v0
	v_mov_b32_e32 v5, 0
	v_mov_b32_e32 v4, v0
	s_mov_b32 s2, s34
	s_branch .LBB188_83
.LBB188_82:                             ;   in Loop: Header=BB188_83 Depth=1
	s_or_b64 exec, exec, s[0:1]
	s_add_i32 s2, s2, 8
	v_add_u32_e32 v4, 0x100, v4
	s_cmp_lt_u32 s2, s35
	v_add_u32_e32 v1, 0x1000, v1
	s_cbranch_scc0 .LBB188_85
.LBB188_83:                             ; =>This Inner Loop Header: Depth=1
	s_and_saveexec_b64 s[0:1], vcc
	s_cbranch_execz .LBB188_82
; %bb.84:                               ;   in Loop: Header=BB188_83 Depth=1
	ds_read2_b32 v[6:7], v1 offset1:1
	ds_read2_b32 v[8:9], v1 offset0:2 offset1:3
	v_lshl_add_u64 v[10:11], v[4:5], 3, s[26:27]
	s_waitcnt lgkmcnt(1)
	v_add_u32_e32 v3, v7, v6
	s_waitcnt lgkmcnt(0)
	v_add3_u32 v6, v3, v8, v9
	v_mov_b32_e32 v7, v5
	global_atomic_add_x2 v[10:11], v[6:7], off
	s_branch .LBB188_82
.LBB188_85:
	s_mov_b64 s[0:1], 0
.LBB188_86:
	s_and_b64 vcc, exec, s[0:1]
	s_cbranch_vccz .LBB188_134
; %bb.87:
	s_waitcnt vmcnt(0)
	v_mov_b32_e32 v3, 0
	global_load_ushort v14, v2, s[24:25]
	global_load_ushort v13, v2, s[24:25] offset:512
	global_load_ushort v12, v2, s[24:25] offset:1024
	;; [unrolled: 1-line block ×7, first 2 shown]
	v_lshl_add_u64 v[16:17], s[24:25], 0, v[2:3]
	v_add_co_u32_e32 v16, vcc, 0x1000, v16
	s_cmp_eq_u32 s34, 0
	s_nop 0
	v_addc_co_u32_e32 v17, vcc, 0, v17, vcc
	global_load_ushort v9, v[16:17], off
	global_load_ushort v7, v[16:17], off offset:512
	global_load_ushort v5, v[16:17], off offset:1024
	;; [unrolled: 1-line block ×3, first 2 shown]
	s_cselect_b64 s[2:3], -1, 0
	s_cmp_eq_u32 s35, 16
	s_cselect_b64 s[4:5], -1, 0
	s_mov_b32 s0, 0
	s_and_b64 s[4:5], s[2:3], s[4:5]
	s_mov_b32 s1, 1
	s_mov_b64 s[2:3], -1
	s_and_b64 vcc, exec, s[4:5]
	v_lshlrev_b32_e32 v15, 2, v0
	s_cbranch_vccnz .LBB188_125
; %bb.88:
	v_lshlrev_b32_e32 v2, 2, v0
	s_mov_b64 s[2:3], 0
	s_mov_b32 s4, s0
	s_branch .LBB188_90
.LBB188_89:                             ;   in Loop: Header=BB188_90 Depth=1
	s_or_b64 exec, exec, s[8:9]
	s_add_i32 s4, s4, 2
	v_cmp_eq_u32_e64 s[6:7], 8, s4
	s_or_b64 s[2:3], s[6:7], s[2:3]
	v_add_u32_e32 v2, 0x800, v2
	s_andn2_b64 exec, exec, s[2:3]
	s_cbranch_execz .LBB188_94
.LBB188_90:                             ; =>This Inner Loop Header: Depth=1
	s_mov_b32 s5, s4
	s_or_b64 s[8:9], s[4:5], s[0:1]
	v_cmp_le_u32_e64 s[6:7], s9, 7
	v_cmp_le_u32_e64 s[10:11], s8, 7
	s_and_saveexec_b64 s[8:9], s[10:11]
; %bb.91:                               ;   in Loop: Header=BB188_90 Depth=1
	ds_write_b32 v2, v3
; %bb.92:                               ;   in Loop: Header=BB188_90 Depth=1
	s_or_b64 exec, exec, s[8:9]
	s_and_saveexec_b64 s[8:9], s[6:7]
	s_cbranch_execz .LBB188_89
; %bb.93:                               ;   in Loop: Header=BB188_90 Depth=1
	ds_write_b32 v2, v3 offset:1024
	s_branch .LBB188_89
.LBB188_94:
	s_or_b64 exec, exec, s[2:3]
	s_cmp_gt_u32 s35, s34
	s_cselect_b64 s[0:1], -1, 0
	s_cmp_le_u32 s35, s34
	s_waitcnt lgkmcnt(0)
	s_barrier
	s_cbranch_scc1 .LBB188_119
; %bb.95:
	v_mov_b32_e32 v3, 0x7fff
	s_waitcnt vmcnt(11)
	v_cmp_gt_i16_e32 vcc, 0, v14
	v_and_b32_e32 v2, 3, v0
	s_movk_i32 s2, 0x8000
	v_cndmask_b32_e64 v16, v3, 0, vcc
	v_xor_b32_e32 v16, v16, v14
	v_cmp_ne_u16_e32 vcc, s2, v16
	v_lshlrev_b32_e32 v2, 2, v2
	s_sub_i32 s2, s35, s34
	v_cndmask_b32_e32 v3, v3, v16, vcc
	v_mov_b32_e32 v16, 1
	s_mov_b32 s3, s2
	v_mov_b32_e32 v17, v2
	s_mov_b32 s4, s34
.LBB188_96:                             ; =>This Inner Loop Header: Depth=1
	s_min_u32 s5, s3, 8
	v_lshrrev_b32_sdwa v18, s4, v3 dst_sel:DWORD dst_unused:UNUSED_PAD src0_sel:DWORD src1_sel:WORD_0
	v_bfe_u32 v18, v18, 0, s5
	v_lshl_add_u32 v18, v18, 4, v17
	ds_add_u32 v18, v16
	s_add_i32 s4, s4, 8
	s_add_i32 s3, s3, -8
	s_cmp_ge_u32 s4, s35
	v_add_u32_e32 v17, 0x1000, v17
	s_cbranch_scc0 .LBB188_96
; %bb.97:
	v_mov_b32_e32 v3, 0x7fff
	s_waitcnt vmcnt(10)
	v_cmp_gt_i16_e32 vcc, 0, v13
	s_movk_i32 s3, 0x8000
	v_mov_b32_e32 v17, v2
	v_cndmask_b32_e64 v16, v3, 0, vcc
	v_xor_b32_e32 v16, v16, v13
	v_cmp_ne_u16_e32 vcc, s3, v16
	s_mov_b32 s3, s2
	s_mov_b32 s4, s34
	v_cndmask_b32_e32 v3, v3, v16, vcc
	v_mov_b32_e32 v16, 1
.LBB188_98:                             ; =>This Inner Loop Header: Depth=1
	s_min_u32 s5, s3, 8
	v_lshrrev_b32_sdwa v18, s4, v3 dst_sel:DWORD dst_unused:UNUSED_PAD src0_sel:DWORD src1_sel:WORD_0
	v_bfe_u32 v18, v18, 0, s5
	v_lshl_add_u32 v18, v18, 4, v17
	ds_add_u32 v18, v16
	s_add_i32 s4, s4, 8
	s_add_i32 s3, s3, -8
	s_cmp_lt_u32 s4, s35
	v_add_u32_e32 v17, 0x1000, v17
	s_cbranch_scc1 .LBB188_98
; %bb.99:
	v_mov_b32_e32 v3, 0x7fff
	s_waitcnt vmcnt(9)
	v_cmp_gt_i16_e32 vcc, 0, v12
	s_movk_i32 s3, 0x8000
	v_mov_b32_e32 v17, v2
	v_cndmask_b32_e64 v16, v3, 0, vcc
	v_xor_b32_e32 v16, v16, v12
	v_cmp_ne_u16_e32 vcc, s3, v16
	s_mov_b32 s3, s2
	s_mov_b32 s4, s34
	v_cndmask_b32_e32 v3, v3, v16, vcc
	v_mov_b32_e32 v16, 1
.LBB188_100:                            ; =>This Inner Loop Header: Depth=1
	s_min_u32 s5, s3, 8
	v_lshrrev_b32_sdwa v18, s4, v3 dst_sel:DWORD dst_unused:UNUSED_PAD src0_sel:DWORD src1_sel:WORD_0
	v_bfe_u32 v18, v18, 0, s5
	v_lshl_add_u32 v18, v18, 4, v17
	ds_add_u32 v18, v16
	s_add_i32 s4, s4, 8
	s_add_i32 s3, s3, -8
	s_cmp_lt_u32 s4, s35
	v_add_u32_e32 v17, 0x1000, v17
	s_cbranch_scc1 .LBB188_100
; %bb.101:
	v_mov_b32_e32 v3, 0x7fff
	s_waitcnt vmcnt(8)
	v_cmp_gt_i16_e32 vcc, 0, v11
	s_movk_i32 s3, 0x8000
	v_mov_b32_e32 v17, v2
	v_cndmask_b32_e64 v16, v3, 0, vcc
	v_xor_b32_e32 v16, v16, v11
	v_cmp_ne_u16_e32 vcc, s3, v16
	s_mov_b32 s3, s2
	s_mov_b32 s4, s34
	v_cndmask_b32_e32 v3, v3, v16, vcc
	v_mov_b32_e32 v16, 1
.LBB188_102:                            ; =>This Inner Loop Header: Depth=1
	s_min_u32 s5, s3, 8
	v_lshrrev_b32_sdwa v18, s4, v3 dst_sel:DWORD dst_unused:UNUSED_PAD src0_sel:DWORD src1_sel:WORD_0
	v_bfe_u32 v18, v18, 0, s5
	v_lshl_add_u32 v18, v18, 4, v17
	ds_add_u32 v18, v16
	s_add_i32 s4, s4, 8
	s_add_i32 s3, s3, -8
	s_cmp_lt_u32 s4, s35
	v_add_u32_e32 v17, 0x1000, v17
	s_cbranch_scc1 .LBB188_102
; %bb.103:
	v_mov_b32_e32 v3, 0x7fff
	s_waitcnt vmcnt(7)
	v_cmp_gt_i16_e32 vcc, 0, v10
	s_movk_i32 s3, 0x8000
	v_mov_b32_e32 v17, v2
	v_cndmask_b32_e64 v16, v3, 0, vcc
	v_xor_b32_e32 v16, v16, v10
	v_cmp_ne_u16_e32 vcc, s3, v16
	s_mov_b32 s3, s2
	s_mov_b32 s4, s34
	v_cndmask_b32_e32 v3, v3, v16, vcc
	v_mov_b32_e32 v16, 1
.LBB188_104:                            ; =>This Inner Loop Header: Depth=1
	s_min_u32 s5, s3, 8
	v_lshrrev_b32_sdwa v18, s4, v3 dst_sel:DWORD dst_unused:UNUSED_PAD src0_sel:DWORD src1_sel:WORD_0
	v_bfe_u32 v18, v18, 0, s5
	v_lshl_add_u32 v18, v18, 4, v17
	ds_add_u32 v18, v16
	s_add_i32 s4, s4, 8
	s_add_i32 s3, s3, -8
	s_cmp_lt_u32 s4, s35
	v_add_u32_e32 v17, 0x1000, v17
	s_cbranch_scc1 .LBB188_104
; %bb.105:
	v_mov_b32_e32 v3, 0x7fff
	s_waitcnt vmcnt(6)
	v_cmp_gt_i16_e32 vcc, 0, v8
	s_movk_i32 s3, 0x8000
	v_mov_b32_e32 v17, v2
	v_cndmask_b32_e64 v16, v3, 0, vcc
	v_xor_b32_e32 v16, v16, v8
	v_cmp_ne_u16_e32 vcc, s3, v16
	s_mov_b32 s3, s2
	s_mov_b32 s4, s34
	v_cndmask_b32_e32 v3, v3, v16, vcc
	v_mov_b32_e32 v16, 1
.LBB188_106:                            ; =>This Inner Loop Header: Depth=1
	s_min_u32 s5, s3, 8
	v_lshrrev_b32_sdwa v18, s4, v3 dst_sel:DWORD dst_unused:UNUSED_PAD src0_sel:DWORD src1_sel:WORD_0
	v_bfe_u32 v18, v18, 0, s5
	v_lshl_add_u32 v18, v18, 4, v17
	ds_add_u32 v18, v16
	s_add_i32 s4, s4, 8
	s_add_i32 s3, s3, -8
	s_cmp_lt_u32 s4, s35
	v_add_u32_e32 v17, 0x1000, v17
	s_cbranch_scc1 .LBB188_106
; %bb.107:
	v_mov_b32_e32 v3, 0x7fff
	s_waitcnt vmcnt(5)
	v_cmp_gt_i16_e32 vcc, 0, v6
	s_movk_i32 s3, 0x8000
	v_mov_b32_e32 v17, v2
	v_cndmask_b32_e64 v16, v3, 0, vcc
	v_xor_b32_e32 v16, v16, v6
	v_cmp_ne_u16_e32 vcc, s3, v16
	s_mov_b32 s3, s2
	s_mov_b32 s4, s34
	v_cndmask_b32_e32 v3, v3, v16, vcc
	v_mov_b32_e32 v16, 1
.LBB188_108:                            ; =>This Inner Loop Header: Depth=1
	s_min_u32 s5, s3, 8
	v_lshrrev_b32_sdwa v18, s4, v3 dst_sel:DWORD dst_unused:UNUSED_PAD src0_sel:DWORD src1_sel:WORD_0
	v_bfe_u32 v18, v18, 0, s5
	v_lshl_add_u32 v18, v18, 4, v17
	ds_add_u32 v18, v16
	s_add_i32 s4, s4, 8
	s_add_i32 s3, s3, -8
	s_cmp_lt_u32 s4, s35
	v_add_u32_e32 v17, 0x1000, v17
	s_cbranch_scc1 .LBB188_108
; %bb.109:
	v_mov_b32_e32 v3, 0x7fff
	s_waitcnt vmcnt(4)
	v_cmp_gt_i16_e32 vcc, 0, v4
	s_movk_i32 s3, 0x8000
	v_mov_b32_e32 v17, v2
	v_cndmask_b32_e64 v16, v3, 0, vcc
	v_xor_b32_e32 v16, v16, v4
	v_cmp_ne_u16_e32 vcc, s3, v16
	s_mov_b32 s3, s2
	s_mov_b32 s4, s34
	v_cndmask_b32_e32 v3, v3, v16, vcc
	v_mov_b32_e32 v16, 1
.LBB188_110:                            ; =>This Inner Loop Header: Depth=1
	s_min_u32 s5, s3, 8
	v_lshrrev_b32_sdwa v18, s4, v3 dst_sel:DWORD dst_unused:UNUSED_PAD src0_sel:DWORD src1_sel:WORD_0
	v_bfe_u32 v18, v18, 0, s5
	v_lshl_add_u32 v18, v18, 4, v17
	ds_add_u32 v18, v16
	s_add_i32 s4, s4, 8
	s_add_i32 s3, s3, -8
	s_cmp_lt_u32 s4, s35
	v_add_u32_e32 v17, 0x1000, v17
	s_cbranch_scc1 .LBB188_110
; %bb.111:
	v_mov_b32_e32 v3, 0x7fff
	s_waitcnt vmcnt(3)
	v_cmp_gt_i16_e32 vcc, 0, v9
	s_movk_i32 s3, 0x8000
	v_mov_b32_e32 v17, v2
	v_cndmask_b32_e64 v16, v3, 0, vcc
	v_xor_b32_e32 v16, v16, v9
	v_cmp_ne_u16_e32 vcc, s3, v16
	s_mov_b32 s3, s2
	s_mov_b32 s4, s34
	v_cndmask_b32_e32 v3, v3, v16, vcc
	v_mov_b32_e32 v16, 1
.LBB188_112:                            ; =>This Inner Loop Header: Depth=1
	s_min_u32 s5, s3, 8
	v_lshrrev_b32_sdwa v18, s4, v3 dst_sel:DWORD dst_unused:UNUSED_PAD src0_sel:DWORD src1_sel:WORD_0
	v_bfe_u32 v18, v18, 0, s5
	v_lshl_add_u32 v18, v18, 4, v17
	ds_add_u32 v18, v16
	s_add_i32 s4, s4, 8
	s_add_i32 s3, s3, -8
	s_cmp_lt_u32 s4, s35
	v_add_u32_e32 v17, 0x1000, v17
	s_cbranch_scc1 .LBB188_112
; %bb.113:
	v_mov_b32_e32 v3, 0x7fff
	s_waitcnt vmcnt(2)
	v_cmp_gt_i16_e32 vcc, 0, v7
	s_movk_i32 s3, 0x8000
	v_mov_b32_e32 v17, v2
	v_cndmask_b32_e64 v16, v3, 0, vcc
	v_xor_b32_e32 v16, v16, v7
	v_cmp_ne_u16_e32 vcc, s3, v16
	s_mov_b32 s3, s2
	s_mov_b32 s4, s34
	v_cndmask_b32_e32 v3, v3, v16, vcc
	v_mov_b32_e32 v16, 1
.LBB188_114:                            ; =>This Inner Loop Header: Depth=1
	s_min_u32 s5, s3, 8
	v_lshrrev_b32_sdwa v18, s4, v3 dst_sel:DWORD dst_unused:UNUSED_PAD src0_sel:DWORD src1_sel:WORD_0
	v_bfe_u32 v18, v18, 0, s5
	v_lshl_add_u32 v18, v18, 4, v17
	ds_add_u32 v18, v16
	s_add_i32 s4, s4, 8
	s_add_i32 s3, s3, -8
	s_cmp_lt_u32 s4, s35
	v_add_u32_e32 v17, 0x1000, v17
	s_cbranch_scc1 .LBB188_114
; %bb.115:
	v_mov_b32_e32 v3, 0x7fff
	s_waitcnt vmcnt(1)
	v_cmp_gt_i16_e32 vcc, 0, v5
	s_movk_i32 s3, 0x8000
	v_mov_b32_e32 v17, v2
	v_cndmask_b32_e64 v16, v3, 0, vcc
	v_xor_b32_e32 v16, v16, v5
	v_cmp_ne_u16_e32 vcc, s3, v16
	s_mov_b32 s3, s2
	s_mov_b32 s4, s34
	v_cndmask_b32_e32 v3, v3, v16, vcc
	v_mov_b32_e32 v16, 1
.LBB188_116:                            ; =>This Inner Loop Header: Depth=1
	s_min_u32 s5, s3, 8
	v_lshrrev_b32_sdwa v18, s4, v3 dst_sel:DWORD dst_unused:UNUSED_PAD src0_sel:DWORD src1_sel:WORD_0
	v_bfe_u32 v18, v18, 0, s5
	v_lshl_add_u32 v18, v18, 4, v17
	ds_add_u32 v18, v16
	s_add_i32 s4, s4, 8
	s_add_i32 s3, s3, -8
	s_cmp_lt_u32 s4, s35
	v_add_u32_e32 v17, 0x1000, v17
	s_cbranch_scc1 .LBB188_116
; %bb.117:
	v_mov_b32_e32 v3, 0x7fff
	s_waitcnt vmcnt(0)
	v_cmp_gt_i16_e32 vcc, 0, v1
	s_movk_i32 s3, 0x8000
	s_nop 0
	v_cndmask_b32_e64 v16, v3, 0, vcc
	v_xor_b32_e32 v16, v16, v1
	v_cmp_ne_u16_e32 vcc, s3, v16
	s_mov_b32 s3, s34
	s_nop 0
	v_cndmask_b32_e32 v3, v3, v16, vcc
	v_mov_b32_e32 v16, 1
.LBB188_118:                            ; =>This Inner Loop Header: Depth=1
	s_min_u32 s4, s2, 8
	v_lshrrev_b32_sdwa v17, s3, v3 dst_sel:DWORD dst_unused:UNUSED_PAD src0_sel:DWORD src1_sel:WORD_0
	v_bfe_u32 v17, v17, 0, s4
	v_lshl_add_u32 v17, v17, 4, v2
	ds_add_u32 v17, v16
	s_add_i32 s3, s3, 8
	s_add_i32 s2, s2, -8
	s_cmp_lt_u32 s3, s35
	v_add_u32_e32 v2, 0x1000, v2
	s_cbranch_scc1 .LBB188_118
.LBB188_119:
	s_and_b64 vcc, exec, s[0:1]
	s_waitcnt lgkmcnt(0)
	s_barrier
	s_cbranch_vccz .LBB188_124
; %bb.120:
	s_movk_i32 s0, 0x100
	v_cmp_gt_u32_e32 vcc, s0, v0
	v_lshlrev_b32_e32 v16, 4, v0
	v_mov_b32_e32 v3, 0
	v_mov_b32_e32 v2, v0
	s_branch .LBB188_122
.LBB188_121:                            ;   in Loop: Header=BB188_122 Depth=1
	s_or_b64 exec, exec, s[0:1]
	s_add_i32 s34, s34, 8
	v_add_u32_e32 v2, 0x100, v2
	s_cmp_ge_u32 s34, s35
	v_add_u32_e32 v16, 0x1000, v16
	s_cbranch_scc1 .LBB188_124
.LBB188_122:                            ; =>This Inner Loop Header: Depth=1
	s_and_saveexec_b64 s[0:1], vcc
	s_cbranch_execz .LBB188_121
; %bb.123:                              ;   in Loop: Header=BB188_122 Depth=1
	ds_read2_b32 v[18:19], v16 offset1:1
	ds_read2_b32 v[20:21], v16 offset0:2 offset1:3
	v_lshl_add_u64 v[22:23], v[2:3], 3, s[26:27]
	s_waitcnt lgkmcnt(1)
	v_add_u32_e32 v17, v19, v18
	s_waitcnt lgkmcnt(0)
	v_add3_u32 v18, v17, v20, v21
	v_mov_b32_e32 v19, v3
	global_atomic_add_x2 v[22:23], v[18:19], off
	s_branch .LBB188_121
.LBB188_124:
	s_mov_b64 s[2:3], 0
.LBB188_125:
	s_and_b64 vcc, exec, s[2:3]
	s_cbranch_vccz .LBB188_134
; %bb.126:
	s_mov_b32 s0, 0
	s_mov_b32 s1, 1
	s_mov_b64 s[2:3], 0
	v_mov_b32_e32 v2, 0
	s_mov_b32 s4, s0
	s_branch .LBB188_128
.LBB188_127:                            ;   in Loop: Header=BB188_128 Depth=1
	s_or_b64 exec, exec, s[8:9]
	s_add_i32 s4, s4, 2
	v_cmp_eq_u32_e64 s[6:7], 8, s4
	s_or_b64 s[2:3], s[6:7], s[2:3]
	v_add_u32_e32 v15, 0x800, v15
	s_andn2_b64 exec, exec, s[2:3]
	s_cbranch_execz .LBB188_132
.LBB188_128:                            ; =>This Inner Loop Header: Depth=1
	s_mov_b32 s5, s4
	s_or_b64 s[8:9], s[4:5], s[0:1]
	v_cmp_le_u32_e64 s[6:7], s9, 7
	v_cmp_le_u32_e64 s[10:11], s8, 7
	s_and_saveexec_b64 s[8:9], s[10:11]
; %bb.129:                              ;   in Loop: Header=BB188_128 Depth=1
	ds_write_b32 v15, v2
; %bb.130:                              ;   in Loop: Header=BB188_128 Depth=1
	s_or_b64 exec, exec, s[8:9]
	s_and_saveexec_b64 s[8:9], s[6:7]
	s_cbranch_execz .LBB188_127
; %bb.131:                              ;   in Loop: Header=BB188_128 Depth=1
	ds_write_b32 v15, v2 offset:1024
	s_branch .LBB188_127
.LBB188_132:
	s_or_b64 exec, exec, s[2:3]
	v_mov_b32_e32 v2, 0x7fff
	s_waitcnt vmcnt(11)
	v_cmp_gt_i16_e32 vcc, 0, v14
	s_movk_i32 s0, 0x8000
	s_movk_i32 s1, 0xff0
	v_cndmask_b32_e64 v3, v2, 0, vcc
	s_waitcnt vmcnt(10)
	v_cmp_gt_i16_e32 vcc, 0, v13
	v_xor_b32_e32 v3, v3, v14
	v_mov_b32_e32 v16, 1
	v_cndmask_b32_e64 v14, v2, 0, vcc
	s_waitcnt vmcnt(9)
	v_cmp_gt_i16_e32 vcc, 0, v12
	v_xor_b32_e32 v13, v14, v13
	s_waitcnt lgkmcnt(0)
	v_cndmask_b32_e64 v14, v2, 0, vcc
	s_waitcnt vmcnt(8)
	v_cmp_gt_i16_e32 vcc, 0, v11
	v_xor_b32_e32 v12, v14, v12
	s_barrier
	v_cndmask_b32_e64 v14, v2, 0, vcc
	s_waitcnt vmcnt(7)
	v_cmp_gt_i16_e32 vcc, 0, v10
	v_xor_b32_e32 v11, v14, v11
	s_nop 0
	v_cndmask_b32_e64 v14, v2, 0, vcc
	s_waitcnt vmcnt(6)
	v_cmp_gt_i16_e32 vcc, 0, v8
	v_xor_b32_e32 v10, v14, v10
	s_nop 0
	;; [unrolled: 5-line block ×8, first 2 shown]
	v_cndmask_b32_e64 v14, v2, 0, vcc
	v_cmp_ne_u16_e32 vcc, s0, v3
	v_xor_b32_e32 v1, v14, v1
	v_and_b32_e32 v14, 3, v0
	v_cndmask_b32_e32 v3, v2, v3, vcc
	v_and_b32_e32 v3, 0xffff, v3
	v_lshlrev_b32_e32 v15, 4, v3
	v_lshlrev_b32_e32 v14, 2, v14
	v_and_or_b32 v15, v15, s1, v14
	v_bfe_u32 v3, v3, 8, 8
	ds_add_u32 v15, v16
	v_lshl_or_b32 v3, v3, 4, v14
	v_cmp_ne_u16_e32 vcc, s0, v13
	ds_add_u32 v3, v16 offset:4096
	s_nop 0
	v_cndmask_b32_e32 v3, v2, v13, vcc
	v_and_b32_e32 v3, 0xffff, v3
	v_lshlrev_b32_e32 v13, 4, v3
	v_and_or_b32 v13, v13, s1, v14
	v_bfe_u32 v3, v3, 8, 8
	ds_add_u32 v13, v16
	v_lshl_or_b32 v3, v3, 4, v14
	v_cmp_ne_u16_e32 vcc, s0, v12
	ds_add_u32 v3, v16 offset:4096
	s_nop 0
	v_cndmask_b32_e32 v3, v2, v12, vcc
	v_and_b32_e32 v3, 0xffff, v3
	;; [unrolled: 10-line block ×10, first 2 shown]
	v_cmp_ne_u16_e32 vcc, s0, v1
	v_lshlrev_b32_e32 v4, 4, v3
	v_and_or_b32 v4, v4, s1, v14
	v_cndmask_b32_e32 v1, v2, v1, vcc
	v_bfe_u32 v3, v3, 8, 8
	v_and_b32_e32 v1, 0xffff, v1
	ds_add_u32 v4, v16
	v_lshl_or_b32 v3, v3, 4, v14
	v_lshlrev_b32_e32 v2, 4, v1
	ds_add_u32 v3, v16 offset:4096
	v_and_or_b32 v2, v2, s1, v14
	v_bfe_u32 v1, v1, 8, 8
	ds_add_u32 v2, v16
	v_lshl_or_b32 v1, v1, 4, v14
	ds_add_u32 v1, v16 offset:4096
	s_movk_i32 s0, 0x100
	v_cmp_gt_u32_e32 vcc, s0, v0
	s_waitcnt lgkmcnt(0)
	s_barrier
	s_and_saveexec_b64 s[0:1], vcc
	s_cbranch_execz .LBB188_134
; %bb.133:
	v_lshlrev_b32_e32 v6, 4, v0
	ds_read2_b32 v[2:3], v6 offset1:1
	ds_read2_b32 v[4:5], v6 offset0:2 offset1:3
	v_lshlrev_b32_e32 v7, 3, v0
	v_mov_b32_e32 v1, 0
	v_or_b32_e32 v8, 0x1000, v6
	s_waitcnt lgkmcnt(1)
	v_add_u32_e32 v0, v3, v2
	s_waitcnt lgkmcnt(0)
	v_add3_u32 v0, v0, v4, v5
	global_atomic_add_x2 v7, v[0:1], s[26:27]
	v_or_b32_e32 v0, 0x1008, v6
	ds_read2_b32 v[2:3], v8 offset1:1
	ds_read2_b32 v[4:5], v0 offset1:1
	s_waitcnt lgkmcnt(1)
	v_add_u32_e32 v0, v3, v2
	s_waitcnt lgkmcnt(0)
	v_add3_u32 v0, v0, v4, v5
	global_atomic_add_x2 v7, v[0:1], s[26:27] offset:2048
.LBB188_134:
	s_endpgm
	.section	.rodata,"a",@progbits
	.p2align	6, 0x0
	.amdhsa_kernel _ZN7rocprim17ROCPRIM_304000_NS6detail26onesweep_histograms_kernelINS1_34wrapped_radix_sort_onesweep_configINS0_14default_configE6__halfN2at4cuda3cub6detail10OpaqueTypeILi8EEEEELb1EPKS5_mNS0_19identity_decomposerEEEvT1_PT2_SH_SH_T3_jj
		.amdhsa_group_segment_fixed_size 8192
		.amdhsa_private_segment_fixed_size 0
		.amdhsa_kernarg_size 44
		.amdhsa_user_sgpr_count 2
		.amdhsa_user_sgpr_dispatch_ptr 0
		.amdhsa_user_sgpr_queue_ptr 0
		.amdhsa_user_sgpr_kernarg_segment_ptr 1
		.amdhsa_user_sgpr_dispatch_id 0
		.amdhsa_user_sgpr_kernarg_preload_length 0
		.amdhsa_user_sgpr_kernarg_preload_offset 0
		.amdhsa_user_sgpr_private_segment_size 0
		.amdhsa_uses_dynamic_stack 0
		.amdhsa_enable_private_segment 0
		.amdhsa_system_sgpr_workgroup_id_x 1
		.amdhsa_system_sgpr_workgroup_id_y 0
		.amdhsa_system_sgpr_workgroup_id_z 0
		.amdhsa_system_sgpr_workgroup_info 0
		.amdhsa_system_vgpr_workitem_id 0
		.amdhsa_next_free_vgpr 24
		.amdhsa_next_free_sgpr 44
		.amdhsa_accum_offset 24
		.amdhsa_reserve_vcc 1
		.amdhsa_float_round_mode_32 0
		.amdhsa_float_round_mode_16_64 0
		.amdhsa_float_denorm_mode_32 3
		.amdhsa_float_denorm_mode_16_64 3
		.amdhsa_dx10_clamp 1
		.amdhsa_ieee_mode 1
		.amdhsa_fp16_overflow 0
		.amdhsa_tg_split 0
		.amdhsa_exception_fp_ieee_invalid_op 0
		.amdhsa_exception_fp_denorm_src 0
		.amdhsa_exception_fp_ieee_div_zero 0
		.amdhsa_exception_fp_ieee_overflow 0
		.amdhsa_exception_fp_ieee_underflow 0
		.amdhsa_exception_fp_ieee_inexact 0
		.amdhsa_exception_int_div_zero 0
	.end_amdhsa_kernel
	.section	.text._ZN7rocprim17ROCPRIM_304000_NS6detail26onesweep_histograms_kernelINS1_34wrapped_radix_sort_onesweep_configINS0_14default_configE6__halfN2at4cuda3cub6detail10OpaqueTypeILi8EEEEELb1EPKS5_mNS0_19identity_decomposerEEEvT1_PT2_SH_SH_T3_jj,"axG",@progbits,_ZN7rocprim17ROCPRIM_304000_NS6detail26onesweep_histograms_kernelINS1_34wrapped_radix_sort_onesweep_configINS0_14default_configE6__halfN2at4cuda3cub6detail10OpaqueTypeILi8EEEEELb1EPKS5_mNS0_19identity_decomposerEEEvT1_PT2_SH_SH_T3_jj,comdat
.Lfunc_end188:
	.size	_ZN7rocprim17ROCPRIM_304000_NS6detail26onesweep_histograms_kernelINS1_34wrapped_radix_sort_onesweep_configINS0_14default_configE6__halfN2at4cuda3cub6detail10OpaqueTypeILi8EEEEELb1EPKS5_mNS0_19identity_decomposerEEEvT1_PT2_SH_SH_T3_jj, .Lfunc_end188-_ZN7rocprim17ROCPRIM_304000_NS6detail26onesweep_histograms_kernelINS1_34wrapped_radix_sort_onesweep_configINS0_14default_configE6__halfN2at4cuda3cub6detail10OpaqueTypeILi8EEEEELb1EPKS5_mNS0_19identity_decomposerEEEvT1_PT2_SH_SH_T3_jj
                                        ; -- End function
	.set _ZN7rocprim17ROCPRIM_304000_NS6detail26onesweep_histograms_kernelINS1_34wrapped_radix_sort_onesweep_configINS0_14default_configE6__halfN2at4cuda3cub6detail10OpaqueTypeILi8EEEEELb1EPKS5_mNS0_19identity_decomposerEEEvT1_PT2_SH_SH_T3_jj.num_vgpr, 24
	.set _ZN7rocprim17ROCPRIM_304000_NS6detail26onesweep_histograms_kernelINS1_34wrapped_radix_sort_onesweep_configINS0_14default_configE6__halfN2at4cuda3cub6detail10OpaqueTypeILi8EEEEELb1EPKS5_mNS0_19identity_decomposerEEEvT1_PT2_SH_SH_T3_jj.num_agpr, 0
	.set _ZN7rocprim17ROCPRIM_304000_NS6detail26onesweep_histograms_kernelINS1_34wrapped_radix_sort_onesweep_configINS0_14default_configE6__halfN2at4cuda3cub6detail10OpaqueTypeILi8EEEEELb1EPKS5_mNS0_19identity_decomposerEEEvT1_PT2_SH_SH_T3_jj.numbered_sgpr, 44
	.set _ZN7rocprim17ROCPRIM_304000_NS6detail26onesweep_histograms_kernelINS1_34wrapped_radix_sort_onesweep_configINS0_14default_configE6__halfN2at4cuda3cub6detail10OpaqueTypeILi8EEEEELb1EPKS5_mNS0_19identity_decomposerEEEvT1_PT2_SH_SH_T3_jj.num_named_barrier, 0
	.set _ZN7rocprim17ROCPRIM_304000_NS6detail26onesweep_histograms_kernelINS1_34wrapped_radix_sort_onesweep_configINS0_14default_configE6__halfN2at4cuda3cub6detail10OpaqueTypeILi8EEEEELb1EPKS5_mNS0_19identity_decomposerEEEvT1_PT2_SH_SH_T3_jj.private_seg_size, 0
	.set _ZN7rocprim17ROCPRIM_304000_NS6detail26onesweep_histograms_kernelINS1_34wrapped_radix_sort_onesweep_configINS0_14default_configE6__halfN2at4cuda3cub6detail10OpaqueTypeILi8EEEEELb1EPKS5_mNS0_19identity_decomposerEEEvT1_PT2_SH_SH_T3_jj.uses_vcc, 1
	.set _ZN7rocprim17ROCPRIM_304000_NS6detail26onesweep_histograms_kernelINS1_34wrapped_radix_sort_onesweep_configINS0_14default_configE6__halfN2at4cuda3cub6detail10OpaqueTypeILi8EEEEELb1EPKS5_mNS0_19identity_decomposerEEEvT1_PT2_SH_SH_T3_jj.uses_flat_scratch, 0
	.set _ZN7rocprim17ROCPRIM_304000_NS6detail26onesweep_histograms_kernelINS1_34wrapped_radix_sort_onesweep_configINS0_14default_configE6__halfN2at4cuda3cub6detail10OpaqueTypeILi8EEEEELb1EPKS5_mNS0_19identity_decomposerEEEvT1_PT2_SH_SH_T3_jj.has_dyn_sized_stack, 0
	.set _ZN7rocprim17ROCPRIM_304000_NS6detail26onesweep_histograms_kernelINS1_34wrapped_radix_sort_onesweep_configINS0_14default_configE6__halfN2at4cuda3cub6detail10OpaqueTypeILi8EEEEELb1EPKS5_mNS0_19identity_decomposerEEEvT1_PT2_SH_SH_T3_jj.has_recursion, 0
	.set _ZN7rocprim17ROCPRIM_304000_NS6detail26onesweep_histograms_kernelINS1_34wrapped_radix_sort_onesweep_configINS0_14default_configE6__halfN2at4cuda3cub6detail10OpaqueTypeILi8EEEEELb1EPKS5_mNS0_19identity_decomposerEEEvT1_PT2_SH_SH_T3_jj.has_indirect_call, 0
	.section	.AMDGPU.csdata,"",@progbits
; Kernel info:
; codeLenInByte = 5684
; TotalNumSgprs: 50
; NumVgprs: 24
; NumAgprs: 0
; TotalNumVgprs: 24
; ScratchSize: 0
; MemoryBound: 0
; FloatMode: 240
; IeeeMode: 1
; LDSByteSize: 8192 bytes/workgroup (compile time only)
; SGPRBlocks: 6
; VGPRBlocks: 2
; NumSGPRsForWavesPerEU: 50
; NumVGPRsForWavesPerEU: 24
; AccumOffset: 24
; Occupancy: 8
; WaveLimiterHint : 1
; COMPUTE_PGM_RSRC2:SCRATCH_EN: 0
; COMPUTE_PGM_RSRC2:USER_SGPR: 2
; COMPUTE_PGM_RSRC2:TRAP_HANDLER: 0
; COMPUTE_PGM_RSRC2:TGID_X_EN: 1
; COMPUTE_PGM_RSRC2:TGID_Y_EN: 0
; COMPUTE_PGM_RSRC2:TGID_Z_EN: 0
; COMPUTE_PGM_RSRC2:TIDIG_COMP_CNT: 0
; COMPUTE_PGM_RSRC3_GFX90A:ACCUM_OFFSET: 5
; COMPUTE_PGM_RSRC3_GFX90A:TG_SPLIT: 0
	.section	.text._ZN7rocprim17ROCPRIM_304000_NS6detail31onesweep_scan_histograms_kernelINS1_34wrapped_radix_sort_onesweep_configINS0_14default_configE6__halfN2at4cuda3cub6detail10OpaqueTypeILi8EEEEEmEEvPT0_,"axG",@progbits,_ZN7rocprim17ROCPRIM_304000_NS6detail31onesweep_scan_histograms_kernelINS1_34wrapped_radix_sort_onesweep_configINS0_14default_configE6__halfN2at4cuda3cub6detail10OpaqueTypeILi8EEEEEmEEvPT0_,comdat
	.protected	_ZN7rocprim17ROCPRIM_304000_NS6detail31onesweep_scan_histograms_kernelINS1_34wrapped_radix_sort_onesweep_configINS0_14default_configE6__halfN2at4cuda3cub6detail10OpaqueTypeILi8EEEEEmEEvPT0_ ; -- Begin function _ZN7rocprim17ROCPRIM_304000_NS6detail31onesweep_scan_histograms_kernelINS1_34wrapped_radix_sort_onesweep_configINS0_14default_configE6__halfN2at4cuda3cub6detail10OpaqueTypeILi8EEEEEmEEvPT0_
	.globl	_ZN7rocprim17ROCPRIM_304000_NS6detail31onesweep_scan_histograms_kernelINS1_34wrapped_radix_sort_onesweep_configINS0_14default_configE6__halfN2at4cuda3cub6detail10OpaqueTypeILi8EEEEEmEEvPT0_
	.p2align	8
	.type	_ZN7rocprim17ROCPRIM_304000_NS6detail31onesweep_scan_histograms_kernelINS1_34wrapped_radix_sort_onesweep_configINS0_14default_configE6__halfN2at4cuda3cub6detail10OpaqueTypeILi8EEEEEmEEvPT0_,@function
_ZN7rocprim17ROCPRIM_304000_NS6detail31onesweep_scan_histograms_kernelINS1_34wrapped_radix_sort_onesweep_configINS0_14default_configE6__halfN2at4cuda3cub6detail10OpaqueTypeILi8EEEEEmEEvPT0_: ; @_ZN7rocprim17ROCPRIM_304000_NS6detail31onesweep_scan_histograms_kernelINS1_34wrapped_radix_sort_onesweep_configINS0_14default_configE6__halfN2at4cuda3cub6detail10OpaqueTypeILi8EEEEEmEEvPT0_
; %bb.0:
	s_load_dwordx2 s[0:1], s[0:1], 0x0
	s_lshl_b32 s2, s2, 8
	s_mov_b32 s3, 0
	s_lshl_b64 s[2:3], s[2:3], 3
	v_lshlrev_b32_e32 v8, 3, v0
	s_waitcnt lgkmcnt(0)
	s_add_u32 s6, s0, s2
	s_movk_i32 s0, 0x100
	s_addc_u32 s7, s1, s3
	v_cmp_gt_u32_e32 vcc, s0, v0
                                        ; implicit-def: $vgpr2_vgpr3
	s_and_saveexec_b64 s[0:1], vcc
	s_cbranch_execz .LBB189_2
; %bb.1:
	global_load_dwordx2 v[2:3], v8, s[6:7]
.LBB189_2:
	s_or_b64 exec, exec, s[0:1]
	v_mbcnt_lo_u32_b32 v1, -1, 0
	v_mov_b32_e32 v6, 0
	v_mbcnt_hi_u32_b32 v9, -1, v1
	s_waitcnt vmcnt(0)
	v_mov_b32_dpp v4, v2 row_shr:1 row_mask:0xf bank_mask:0xf
	v_mov_b32_e32 v5, v6
	v_and_b32_e32 v1, 15, v9
	v_mov_b32_dpp v7, v3 row_shr:1 row_mask:0xf bank_mask:0xf
	v_lshl_add_u64 v[4:5], v[2:3], 0, v[4:5]
	v_lshl_add_u64 v[6:7], v[6:7], 0, v[4:5]
	v_cmp_eq_u32_e64 s[0:1], 0, v1
	v_cmp_ne_u32_e64 s[4:5], 0, v9
	s_nop 0
	v_cndmask_b32_e64 v10, v4, v2, s[0:1]
	v_cndmask_b32_e64 v5, v7, v3, s[0:1]
	v_cndmask_b32_e64 v4, v6, v2, s[0:1]
	v_mov_b32_dpp v6, v10 row_shr:2 row_mask:0xf bank_mask:0xf
	v_mov_b32_dpp v7, v5 row_shr:2 row_mask:0xf bank_mask:0xf
	v_lshl_add_u64 v[6:7], v[6:7], 0, v[4:5]
	v_cmp_lt_u32_e64 s[0:1], 1, v1
	s_nop 1
	v_cndmask_b32_e64 v10, v10, v6, s[0:1]
	v_cndmask_b32_e64 v5, v5, v7, s[0:1]
	v_cndmask_b32_e64 v4, v4, v6, s[0:1]
	v_mov_b32_dpp v6, v10 row_shr:4 row_mask:0xf bank_mask:0xf
	v_mov_b32_dpp v7, v5 row_shr:4 row_mask:0xf bank_mask:0xf
	v_lshl_add_u64 v[6:7], v[6:7], 0, v[4:5]
	v_cmp_lt_u32_e64 s[0:1], 3, v1
	;; [unrolled: 8-line block ×3, first 2 shown]
	s_nop 1
	v_cndmask_b32_e64 v1, v10, v6, s[0:1]
	v_cndmask_b32_e64 v5, v5, v7, s[0:1]
	;; [unrolled: 1-line block ×3, first 2 shown]
	v_mov_b32_dpp v6, v1 row_bcast:15 row_mask:0xf bank_mask:0xf
	v_mov_b32_dpp v7, v5 row_bcast:15 row_mask:0xf bank_mask:0xf
	v_and_b32_e32 v10, 16, v9
	v_lshl_add_u64 v[6:7], v[6:7], 0, v[4:5]
	v_cmp_eq_u32_e64 s[2:3], 0, v10
	v_cmp_eq_u32_e64 s[0:1], 0, v9
	s_nop 0
	v_cndmask_b32_e64 v10, v7, v5, s[2:3]
	v_cndmask_b32_e64 v1, v6, v1, s[2:3]
	s_nop 0
	v_mov_b32_dpp v10, v10 row_bcast:31 row_mask:0xf bank_mask:0xf
	v_mov_b32_dpp v1, v1 row_bcast:31 row_mask:0xf bank_mask:0xf
	s_and_saveexec_b64 s[8:9], s[4:5]
; %bb.3:
	v_cndmask_b32_e64 v3, v7, v5, s[2:3]
	v_cndmask_b32_e64 v2, v6, v4, s[2:3]
	v_cmp_lt_u32_e64 s[2:3], 31, v9
	s_nop 1
	v_cndmask_b32_e64 v5, 0, v10, s[2:3]
	v_cndmask_b32_e64 v4, 0, v1, s[2:3]
	v_lshl_add_u64 v[2:3], v[4:5], 0, v[2:3]
; %bb.4:
	s_or_b64 exec, exec, s[8:9]
	v_or_b32_e32 v1, 63, v0
	v_lshrrev_b32_e32 v4, 6, v0
	v_cmp_eq_u32_e64 s[2:3], v0, v1
	s_and_saveexec_b64 s[4:5], s[2:3]
; %bb.5:
	v_lshlrev_b32_e32 v1, 3, v4
	ds_write_b64 v1, v[2:3]
; %bb.6:
	s_or_b64 exec, exec, s[4:5]
	v_cmp_gt_u32_e64 s[2:3], 4, v0
	s_waitcnt lgkmcnt(0)
	s_barrier
	s_and_saveexec_b64 s[4:5], s[2:3]
	s_cbranch_execz .LBB189_8
; %bb.7:
	ds_read_b64 v[6:7], v8
	v_mov_b32_e32 v10, 0
	v_mov_b32_e32 v13, v10
	v_and_b32_e32 v1, 3, v9
	v_cmp_eq_u32_e64 s[2:3], 0, v1
	s_waitcnt lgkmcnt(0)
	v_mov_b32_dpp v12, v6 row_shr:1 row_mask:0xf bank_mask:0xf
	v_mov_b32_dpp v11, v7 row_shr:1 row_mask:0xf bank_mask:0xf
	v_lshl_add_u64 v[12:13], v[6:7], 0, v[12:13]
	v_lshl_add_u64 v[10:11], v[10:11], 0, v[12:13]
	v_cndmask_b32_e64 v11, v11, v7, s[2:3]
	v_cndmask_b32_e64 v5, v12, v6, s[2:3]
	v_cndmask_b32_e64 v10, v10, v6, s[2:3]
	v_mov_b32_dpp v7, v11 row_shr:2 row_mask:0xf bank_mask:0xf
	v_mov_b32_dpp v5, v5 row_shr:2 row_mask:0xf bank_mask:0xf
	v_cmp_lt_u32_e64 s[2:3], 1, v1
	s_nop 1
	v_cndmask_b32_e64 v6, 0, v5, s[2:3]
	v_cndmask_b32_e64 v7, 0, v7, s[2:3]
	v_lshl_add_u64 v[6:7], v[6:7], 0, v[10:11]
	ds_write_b64 v8, v[6:7]
.LBB189_8:
	s_or_b64 exec, exec, s[4:5]
	v_cmp_lt_u32_e64 s[2:3], 63, v0
	v_mov_b64_e32 v[0:1], 0
	s_waitcnt lgkmcnt(0)
	s_barrier
	s_and_saveexec_b64 s[4:5], s[2:3]
; %bb.9:
	v_lshl_add_u32 v0, v4, 3, -8
	ds_read_b64 v[0:1], v0
; %bb.10:
	s_or_b64 exec, exec, s[4:5]
	v_add_u32_e32 v4, -1, v9
	v_and_b32_e32 v5, 64, v9
	v_cmp_lt_i32_e64 s[2:3], v4, v5
	s_waitcnt lgkmcnt(0)
	v_lshl_add_u64 v[2:3], v[0:1], 0, v[2:3]
	v_cndmask_b32_e64 v4, v4, v9, s[2:3]
	v_lshlrev_b32_e32 v4, 2, v4
	ds_bpermute_b32 v2, v4, v2
	ds_bpermute_b32 v3, v4, v3
	s_and_saveexec_b64 s[2:3], vcc
	s_cbranch_execz .LBB189_12
; %bb.11:
	s_waitcnt lgkmcnt(0)
	v_cndmask_b32_e64 v1, v3, v1, s[0:1]
	v_cndmask_b32_e64 v0, v2, v0, s[0:1]
	global_store_dwordx2 v8, v[0:1], s[6:7]
.LBB189_12:
	s_endpgm
	.section	.rodata,"a",@progbits
	.p2align	6, 0x0
	.amdhsa_kernel _ZN7rocprim17ROCPRIM_304000_NS6detail31onesweep_scan_histograms_kernelINS1_34wrapped_radix_sort_onesweep_configINS0_14default_configE6__halfN2at4cuda3cub6detail10OpaqueTypeILi8EEEEEmEEvPT0_
		.amdhsa_group_segment_fixed_size 32
		.amdhsa_private_segment_fixed_size 0
		.amdhsa_kernarg_size 8
		.amdhsa_user_sgpr_count 2
		.amdhsa_user_sgpr_dispatch_ptr 0
		.amdhsa_user_sgpr_queue_ptr 0
		.amdhsa_user_sgpr_kernarg_segment_ptr 1
		.amdhsa_user_sgpr_dispatch_id 0
		.amdhsa_user_sgpr_kernarg_preload_length 0
		.amdhsa_user_sgpr_kernarg_preload_offset 0
		.amdhsa_user_sgpr_private_segment_size 0
		.amdhsa_uses_dynamic_stack 0
		.amdhsa_enable_private_segment 0
		.amdhsa_system_sgpr_workgroup_id_x 1
		.amdhsa_system_sgpr_workgroup_id_y 0
		.amdhsa_system_sgpr_workgroup_id_z 0
		.amdhsa_system_sgpr_workgroup_info 0
		.amdhsa_system_vgpr_workitem_id 0
		.amdhsa_next_free_vgpr 14
		.amdhsa_next_free_sgpr 10
		.amdhsa_accum_offset 16
		.amdhsa_reserve_vcc 1
		.amdhsa_float_round_mode_32 0
		.amdhsa_float_round_mode_16_64 0
		.amdhsa_float_denorm_mode_32 3
		.amdhsa_float_denorm_mode_16_64 3
		.amdhsa_dx10_clamp 1
		.amdhsa_ieee_mode 1
		.amdhsa_fp16_overflow 0
		.amdhsa_tg_split 0
		.amdhsa_exception_fp_ieee_invalid_op 0
		.amdhsa_exception_fp_denorm_src 0
		.amdhsa_exception_fp_ieee_div_zero 0
		.amdhsa_exception_fp_ieee_overflow 0
		.amdhsa_exception_fp_ieee_underflow 0
		.amdhsa_exception_fp_ieee_inexact 0
		.amdhsa_exception_int_div_zero 0
	.end_amdhsa_kernel
	.section	.text._ZN7rocprim17ROCPRIM_304000_NS6detail31onesweep_scan_histograms_kernelINS1_34wrapped_radix_sort_onesweep_configINS0_14default_configE6__halfN2at4cuda3cub6detail10OpaqueTypeILi8EEEEEmEEvPT0_,"axG",@progbits,_ZN7rocprim17ROCPRIM_304000_NS6detail31onesweep_scan_histograms_kernelINS1_34wrapped_radix_sort_onesweep_configINS0_14default_configE6__halfN2at4cuda3cub6detail10OpaqueTypeILi8EEEEEmEEvPT0_,comdat
.Lfunc_end189:
	.size	_ZN7rocprim17ROCPRIM_304000_NS6detail31onesweep_scan_histograms_kernelINS1_34wrapped_radix_sort_onesweep_configINS0_14default_configE6__halfN2at4cuda3cub6detail10OpaqueTypeILi8EEEEEmEEvPT0_, .Lfunc_end189-_ZN7rocprim17ROCPRIM_304000_NS6detail31onesweep_scan_histograms_kernelINS1_34wrapped_radix_sort_onesweep_configINS0_14default_configE6__halfN2at4cuda3cub6detail10OpaqueTypeILi8EEEEEmEEvPT0_
                                        ; -- End function
	.set _ZN7rocprim17ROCPRIM_304000_NS6detail31onesweep_scan_histograms_kernelINS1_34wrapped_radix_sort_onesweep_configINS0_14default_configE6__halfN2at4cuda3cub6detail10OpaqueTypeILi8EEEEEmEEvPT0_.num_vgpr, 14
	.set _ZN7rocprim17ROCPRIM_304000_NS6detail31onesweep_scan_histograms_kernelINS1_34wrapped_radix_sort_onesweep_configINS0_14default_configE6__halfN2at4cuda3cub6detail10OpaqueTypeILi8EEEEEmEEvPT0_.num_agpr, 0
	.set _ZN7rocprim17ROCPRIM_304000_NS6detail31onesweep_scan_histograms_kernelINS1_34wrapped_radix_sort_onesweep_configINS0_14default_configE6__halfN2at4cuda3cub6detail10OpaqueTypeILi8EEEEEmEEvPT0_.numbered_sgpr, 10
	.set _ZN7rocprim17ROCPRIM_304000_NS6detail31onesweep_scan_histograms_kernelINS1_34wrapped_radix_sort_onesweep_configINS0_14default_configE6__halfN2at4cuda3cub6detail10OpaqueTypeILi8EEEEEmEEvPT0_.num_named_barrier, 0
	.set _ZN7rocprim17ROCPRIM_304000_NS6detail31onesweep_scan_histograms_kernelINS1_34wrapped_radix_sort_onesweep_configINS0_14default_configE6__halfN2at4cuda3cub6detail10OpaqueTypeILi8EEEEEmEEvPT0_.private_seg_size, 0
	.set _ZN7rocprim17ROCPRIM_304000_NS6detail31onesweep_scan_histograms_kernelINS1_34wrapped_radix_sort_onesweep_configINS0_14default_configE6__halfN2at4cuda3cub6detail10OpaqueTypeILi8EEEEEmEEvPT0_.uses_vcc, 1
	.set _ZN7rocprim17ROCPRIM_304000_NS6detail31onesweep_scan_histograms_kernelINS1_34wrapped_radix_sort_onesweep_configINS0_14default_configE6__halfN2at4cuda3cub6detail10OpaqueTypeILi8EEEEEmEEvPT0_.uses_flat_scratch, 0
	.set _ZN7rocprim17ROCPRIM_304000_NS6detail31onesweep_scan_histograms_kernelINS1_34wrapped_radix_sort_onesweep_configINS0_14default_configE6__halfN2at4cuda3cub6detail10OpaqueTypeILi8EEEEEmEEvPT0_.has_dyn_sized_stack, 0
	.set _ZN7rocprim17ROCPRIM_304000_NS6detail31onesweep_scan_histograms_kernelINS1_34wrapped_radix_sort_onesweep_configINS0_14default_configE6__halfN2at4cuda3cub6detail10OpaqueTypeILi8EEEEEmEEvPT0_.has_recursion, 0
	.set _ZN7rocprim17ROCPRIM_304000_NS6detail31onesweep_scan_histograms_kernelINS1_34wrapped_radix_sort_onesweep_configINS0_14default_configE6__halfN2at4cuda3cub6detail10OpaqueTypeILi8EEEEEmEEvPT0_.has_indirect_call, 0
	.section	.AMDGPU.csdata,"",@progbits
; Kernel info:
; codeLenInByte = 848
; TotalNumSgprs: 16
; NumVgprs: 14
; NumAgprs: 0
; TotalNumVgprs: 14
; ScratchSize: 0
; MemoryBound: 0
; FloatMode: 240
; IeeeMode: 1
; LDSByteSize: 32 bytes/workgroup (compile time only)
; SGPRBlocks: 1
; VGPRBlocks: 1
; NumSGPRsForWavesPerEU: 16
; NumVGPRsForWavesPerEU: 14
; AccumOffset: 16
; Occupancy: 8
; WaveLimiterHint : 0
; COMPUTE_PGM_RSRC2:SCRATCH_EN: 0
; COMPUTE_PGM_RSRC2:USER_SGPR: 2
; COMPUTE_PGM_RSRC2:TRAP_HANDLER: 0
; COMPUTE_PGM_RSRC2:TGID_X_EN: 1
; COMPUTE_PGM_RSRC2:TGID_Y_EN: 0
; COMPUTE_PGM_RSRC2:TGID_Z_EN: 0
; COMPUTE_PGM_RSRC2:TIDIG_COMP_CNT: 0
; COMPUTE_PGM_RSRC3_GFX90A:ACCUM_OFFSET: 3
; COMPUTE_PGM_RSRC3_GFX90A:TG_SPLIT: 0
	.section	.text._ZN7rocprim17ROCPRIM_304000_NS6detail16transform_kernelINS1_24wrapped_transform_configINS0_14default_configE6__halfEES5_PKS5_PS5_NS0_8identityIS5_EEEEvT1_mT2_T3_,"axG",@progbits,_ZN7rocprim17ROCPRIM_304000_NS6detail16transform_kernelINS1_24wrapped_transform_configINS0_14default_configE6__halfEES5_PKS5_PS5_NS0_8identityIS5_EEEEvT1_mT2_T3_,comdat
	.protected	_ZN7rocprim17ROCPRIM_304000_NS6detail16transform_kernelINS1_24wrapped_transform_configINS0_14default_configE6__halfEES5_PKS5_PS5_NS0_8identityIS5_EEEEvT1_mT2_T3_ ; -- Begin function _ZN7rocprim17ROCPRIM_304000_NS6detail16transform_kernelINS1_24wrapped_transform_configINS0_14default_configE6__halfEES5_PKS5_PS5_NS0_8identityIS5_EEEEvT1_mT2_T3_
	.globl	_ZN7rocprim17ROCPRIM_304000_NS6detail16transform_kernelINS1_24wrapped_transform_configINS0_14default_configE6__halfEES5_PKS5_PS5_NS0_8identityIS5_EEEEvT1_mT2_T3_
	.p2align	8
	.type	_ZN7rocprim17ROCPRIM_304000_NS6detail16transform_kernelINS1_24wrapped_transform_configINS0_14default_configE6__halfEES5_PKS5_PS5_NS0_8identityIS5_EEEEvT1_mT2_T3_,@function
_ZN7rocprim17ROCPRIM_304000_NS6detail16transform_kernelINS1_24wrapped_transform_configINS0_14default_configE6__halfEES5_PKS5_PS5_NS0_8identityIS5_EEEEvT1_mT2_T3_: ; @_ZN7rocprim17ROCPRIM_304000_NS6detail16transform_kernelINS1_24wrapped_transform_configINS0_14default_configE6__halfEES5_PKS5_PS5_NS0_8identityIS5_EEEEvT1_mT2_T3_
; %bb.0:
	s_load_dword s3, s[0:1], 0x20
	s_load_dwordx4 s[4:7], s[0:1], 0x0
	s_load_dwordx2 s[8:9], s[0:1], 0x10
	s_lshl_b32 s0, s2, 9
	s_mov_b32 s1, 0
	s_waitcnt lgkmcnt(0)
	s_add_i32 s3, s3, -1
	s_lshl_b64 s[10:11], s[0:1], 1
	s_add_u32 s4, s4, s10
	s_addc_u32 s5, s5, s11
	v_mov_b32_e32 v3, 0
	v_lshlrev_b32_e32 v2, 1, v0
	s_cmp_lg_u32 s2, s3
	v_lshl_add_u64 v[4:5], s[4:5], 0, v[2:3]
	s_cbranch_scc0 .LBB190_2
; %bb.1:
	global_load_ushort v1, v[4:5], off
	global_load_ushort v3, v[4:5], off offset:256
	global_load_ushort v7, v[4:5], off offset:512
	;; [unrolled: 1-line block ×3, first 2 shown]
	s_add_u32 s4, s8, s10
	s_addc_u32 s5, s9, s11
	s_waitcnt vmcnt(3)
	global_store_short v2, v1, s[4:5]
	s_waitcnt vmcnt(3)
	global_store_short v2, v3, s[4:5] offset:256
	s_waitcnt vmcnt(3)
	global_store_short v2, v7, s[4:5] offset:512
	s_mov_b64 s[4:5], -1
	s_cbranch_execz .LBB190_3
	s_branch .LBB190_16
.LBB190_2:
	s_mov_b64 s[4:5], 0
                                        ; implicit-def: $vgpr6
.LBB190_3:
	s_sub_i32 s6, s6, s0
	v_cmp_gt_u32_e32 vcc, s6, v0
                                        ; implicit-def: $vgpr7
	s_and_saveexec_b64 s[0:1], vcc
	s_cbranch_execz .LBB190_5
; %bb.4:
	global_load_ushort v7, v[4:5], off
.LBB190_5:
	s_or_b64 exec, exec, s[0:1]
	v_or_b32_e32 v1, 0x80, v0
	v_cmp_gt_u32_e64 s[0:1], s6, v1
                                        ; implicit-def: $vgpr8
	s_and_saveexec_b64 s[2:3], s[0:1]
	s_cbranch_execz .LBB190_7
; %bb.6:
	global_load_ushort v8, v[4:5], off offset:256
.LBB190_7:
	s_or_b64 exec, exec, s[2:3]
	v_or_b32_e32 v1, 0x100, v0
	v_cmp_gt_u32_e64 s[2:3], s6, v1
                                        ; implicit-def: $vgpr9
	s_and_saveexec_b64 s[4:5], s[2:3]
	s_cbranch_execz .LBB190_9
; %bb.8:
	global_load_ushort v9, v[4:5], off offset:512
.LBB190_9:
	s_or_b64 exec, exec, s[4:5]
	v_or_b32_e32 v0, 0x180, v0
	v_cmp_gt_u32_e64 s[4:5], s6, v0
                                        ; implicit-def: $vgpr6
	s_and_saveexec_b64 s[6:7], s[4:5]
	s_cbranch_execz .LBB190_11
; %bb.10:
	global_load_ushort v6, v[4:5], off offset:768
.LBB190_11:
	s_or_b64 exec, exec, s[6:7]
	s_add_u32 s6, s8, s10
	s_addc_u32 s7, s9, s11
	v_mov_b32_e32 v3, 0
	v_lshl_add_u64 v[0:1], s[6:7], 0, v[2:3]
	s_and_saveexec_b64 s[6:7], vcc
	s_cbranch_execnz .LBB190_19
; %bb.12:
	s_or_b64 exec, exec, s[6:7]
	s_and_saveexec_b64 s[6:7], s[0:1]
	s_cbranch_execnz .LBB190_20
.LBB190_13:
	s_or_b64 exec, exec, s[6:7]
	s_and_saveexec_b64 s[0:1], s[2:3]
	s_cbranch_execz .LBB190_15
.LBB190_14:
	s_waitcnt vmcnt(0)
	global_store_short v[0:1], v9, off offset:512
.LBB190_15:
	s_or_b64 exec, exec, s[0:1]
.LBB190_16:
	s_and_saveexec_b64 s[0:1], s[4:5]
	s_cbranch_execnz .LBB190_18
; %bb.17:
	s_endpgm
.LBB190_18:
	s_add_u32 s0, s8, s10
	s_addc_u32 s1, s9, s11
	s_waitcnt vmcnt(0)
	global_store_short v2, v6, s[0:1] offset:768
	s_endpgm
.LBB190_19:
	s_waitcnt vmcnt(0)
	global_store_short v[0:1], v7, off
	s_or_b64 exec, exec, s[6:7]
	s_and_saveexec_b64 s[6:7], s[0:1]
	s_cbranch_execz .LBB190_13
.LBB190_20:
	s_waitcnt vmcnt(0)
	global_store_short v[0:1], v8, off offset:256
	s_or_b64 exec, exec, s[6:7]
	s_and_saveexec_b64 s[0:1], s[2:3]
	s_cbranch_execnz .LBB190_14
	s_branch .LBB190_15
	.section	.rodata,"a",@progbits
	.p2align	6, 0x0
	.amdhsa_kernel _ZN7rocprim17ROCPRIM_304000_NS6detail16transform_kernelINS1_24wrapped_transform_configINS0_14default_configE6__halfEES5_PKS5_PS5_NS0_8identityIS5_EEEEvT1_mT2_T3_
		.amdhsa_group_segment_fixed_size 0
		.amdhsa_private_segment_fixed_size 0
		.amdhsa_kernarg_size 288
		.amdhsa_user_sgpr_count 2
		.amdhsa_user_sgpr_dispatch_ptr 0
		.amdhsa_user_sgpr_queue_ptr 0
		.amdhsa_user_sgpr_kernarg_segment_ptr 1
		.amdhsa_user_sgpr_dispatch_id 0
		.amdhsa_user_sgpr_kernarg_preload_length 0
		.amdhsa_user_sgpr_kernarg_preload_offset 0
		.amdhsa_user_sgpr_private_segment_size 0
		.amdhsa_uses_dynamic_stack 0
		.amdhsa_enable_private_segment 0
		.amdhsa_system_sgpr_workgroup_id_x 1
		.amdhsa_system_sgpr_workgroup_id_y 0
		.amdhsa_system_sgpr_workgroup_id_z 0
		.amdhsa_system_sgpr_workgroup_info 0
		.amdhsa_system_vgpr_workitem_id 0
		.amdhsa_next_free_vgpr 10
		.amdhsa_next_free_sgpr 12
		.amdhsa_accum_offset 12
		.amdhsa_reserve_vcc 1
		.amdhsa_float_round_mode_32 0
		.amdhsa_float_round_mode_16_64 0
		.amdhsa_float_denorm_mode_32 3
		.amdhsa_float_denorm_mode_16_64 3
		.amdhsa_dx10_clamp 1
		.amdhsa_ieee_mode 1
		.amdhsa_fp16_overflow 0
		.amdhsa_tg_split 0
		.amdhsa_exception_fp_ieee_invalid_op 0
		.amdhsa_exception_fp_denorm_src 0
		.amdhsa_exception_fp_ieee_div_zero 0
		.amdhsa_exception_fp_ieee_overflow 0
		.amdhsa_exception_fp_ieee_underflow 0
		.amdhsa_exception_fp_ieee_inexact 0
		.amdhsa_exception_int_div_zero 0
	.end_amdhsa_kernel
	.section	.text._ZN7rocprim17ROCPRIM_304000_NS6detail16transform_kernelINS1_24wrapped_transform_configINS0_14default_configE6__halfEES5_PKS5_PS5_NS0_8identityIS5_EEEEvT1_mT2_T3_,"axG",@progbits,_ZN7rocprim17ROCPRIM_304000_NS6detail16transform_kernelINS1_24wrapped_transform_configINS0_14default_configE6__halfEES5_PKS5_PS5_NS0_8identityIS5_EEEEvT1_mT2_T3_,comdat
.Lfunc_end190:
	.size	_ZN7rocprim17ROCPRIM_304000_NS6detail16transform_kernelINS1_24wrapped_transform_configINS0_14default_configE6__halfEES5_PKS5_PS5_NS0_8identityIS5_EEEEvT1_mT2_T3_, .Lfunc_end190-_ZN7rocprim17ROCPRIM_304000_NS6detail16transform_kernelINS1_24wrapped_transform_configINS0_14default_configE6__halfEES5_PKS5_PS5_NS0_8identityIS5_EEEEvT1_mT2_T3_
                                        ; -- End function
	.set _ZN7rocprim17ROCPRIM_304000_NS6detail16transform_kernelINS1_24wrapped_transform_configINS0_14default_configE6__halfEES5_PKS5_PS5_NS0_8identityIS5_EEEEvT1_mT2_T3_.num_vgpr, 10
	.set _ZN7rocprim17ROCPRIM_304000_NS6detail16transform_kernelINS1_24wrapped_transform_configINS0_14default_configE6__halfEES5_PKS5_PS5_NS0_8identityIS5_EEEEvT1_mT2_T3_.num_agpr, 0
	.set _ZN7rocprim17ROCPRIM_304000_NS6detail16transform_kernelINS1_24wrapped_transform_configINS0_14default_configE6__halfEES5_PKS5_PS5_NS0_8identityIS5_EEEEvT1_mT2_T3_.numbered_sgpr, 12
	.set _ZN7rocprim17ROCPRIM_304000_NS6detail16transform_kernelINS1_24wrapped_transform_configINS0_14default_configE6__halfEES5_PKS5_PS5_NS0_8identityIS5_EEEEvT1_mT2_T3_.num_named_barrier, 0
	.set _ZN7rocprim17ROCPRIM_304000_NS6detail16transform_kernelINS1_24wrapped_transform_configINS0_14default_configE6__halfEES5_PKS5_PS5_NS0_8identityIS5_EEEEvT1_mT2_T3_.private_seg_size, 0
	.set _ZN7rocprim17ROCPRIM_304000_NS6detail16transform_kernelINS1_24wrapped_transform_configINS0_14default_configE6__halfEES5_PKS5_PS5_NS0_8identityIS5_EEEEvT1_mT2_T3_.uses_vcc, 1
	.set _ZN7rocprim17ROCPRIM_304000_NS6detail16transform_kernelINS1_24wrapped_transform_configINS0_14default_configE6__halfEES5_PKS5_PS5_NS0_8identityIS5_EEEEvT1_mT2_T3_.uses_flat_scratch, 0
	.set _ZN7rocprim17ROCPRIM_304000_NS6detail16transform_kernelINS1_24wrapped_transform_configINS0_14default_configE6__halfEES5_PKS5_PS5_NS0_8identityIS5_EEEEvT1_mT2_T3_.has_dyn_sized_stack, 0
	.set _ZN7rocprim17ROCPRIM_304000_NS6detail16transform_kernelINS1_24wrapped_transform_configINS0_14default_configE6__halfEES5_PKS5_PS5_NS0_8identityIS5_EEEEvT1_mT2_T3_.has_recursion, 0
	.set _ZN7rocprim17ROCPRIM_304000_NS6detail16transform_kernelINS1_24wrapped_transform_configINS0_14default_configE6__halfEES5_PKS5_PS5_NS0_8identityIS5_EEEEvT1_mT2_T3_.has_indirect_call, 0
	.section	.AMDGPU.csdata,"",@progbits
; Kernel info:
; codeLenInByte = 460
; TotalNumSgprs: 18
; NumVgprs: 10
; NumAgprs: 0
; TotalNumVgprs: 10
; ScratchSize: 0
; MemoryBound: 0
; FloatMode: 240
; IeeeMode: 1
; LDSByteSize: 0 bytes/workgroup (compile time only)
; SGPRBlocks: 2
; VGPRBlocks: 1
; NumSGPRsForWavesPerEU: 18
; NumVGPRsForWavesPerEU: 10
; AccumOffset: 12
; Occupancy: 8
; WaveLimiterHint : 1
; COMPUTE_PGM_RSRC2:SCRATCH_EN: 0
; COMPUTE_PGM_RSRC2:USER_SGPR: 2
; COMPUTE_PGM_RSRC2:TRAP_HANDLER: 0
; COMPUTE_PGM_RSRC2:TGID_X_EN: 1
; COMPUTE_PGM_RSRC2:TGID_Y_EN: 0
; COMPUTE_PGM_RSRC2:TGID_Z_EN: 0
; COMPUTE_PGM_RSRC2:TIDIG_COMP_CNT: 0
; COMPUTE_PGM_RSRC3_GFX90A:ACCUM_OFFSET: 2
; COMPUTE_PGM_RSRC3_GFX90A:TG_SPLIT: 0
	.section	.text._ZN7rocprim17ROCPRIM_304000_NS6detail25onesweep_iteration_kernelINS1_34wrapped_radix_sort_onesweep_configINS0_14default_configE6__halfN2at4cuda3cub6detail10OpaqueTypeILi8EEEEELb1EPKS5_PS5_PKSB_PSB_mNS0_19identity_decomposerEEEvT1_T2_T3_T4_jPT5_SP_PNS1_23onesweep_lookback_stateET6_jjj,"axG",@progbits,_ZN7rocprim17ROCPRIM_304000_NS6detail25onesweep_iteration_kernelINS1_34wrapped_radix_sort_onesweep_configINS0_14default_configE6__halfN2at4cuda3cub6detail10OpaqueTypeILi8EEEEELb1EPKS5_PS5_PKSB_PSB_mNS0_19identity_decomposerEEEvT1_T2_T3_T4_jPT5_SP_PNS1_23onesweep_lookback_stateET6_jjj,comdat
	.protected	_ZN7rocprim17ROCPRIM_304000_NS6detail25onesweep_iteration_kernelINS1_34wrapped_radix_sort_onesweep_configINS0_14default_configE6__halfN2at4cuda3cub6detail10OpaqueTypeILi8EEEEELb1EPKS5_PS5_PKSB_PSB_mNS0_19identity_decomposerEEEvT1_T2_T3_T4_jPT5_SP_PNS1_23onesweep_lookback_stateET6_jjj ; -- Begin function _ZN7rocprim17ROCPRIM_304000_NS6detail25onesweep_iteration_kernelINS1_34wrapped_radix_sort_onesweep_configINS0_14default_configE6__halfN2at4cuda3cub6detail10OpaqueTypeILi8EEEEELb1EPKS5_PS5_PKSB_PSB_mNS0_19identity_decomposerEEEvT1_T2_T3_T4_jPT5_SP_PNS1_23onesweep_lookback_stateET6_jjj
	.globl	_ZN7rocprim17ROCPRIM_304000_NS6detail25onesweep_iteration_kernelINS1_34wrapped_radix_sort_onesweep_configINS0_14default_configE6__halfN2at4cuda3cub6detail10OpaqueTypeILi8EEEEELb1EPKS5_PS5_PKSB_PSB_mNS0_19identity_decomposerEEEvT1_T2_T3_T4_jPT5_SP_PNS1_23onesweep_lookback_stateET6_jjj
	.p2align	8
	.type	_ZN7rocprim17ROCPRIM_304000_NS6detail25onesweep_iteration_kernelINS1_34wrapped_radix_sort_onesweep_configINS0_14default_configE6__halfN2at4cuda3cub6detail10OpaqueTypeILi8EEEEELb1EPKS5_PS5_PKSB_PSB_mNS0_19identity_decomposerEEEvT1_T2_T3_T4_jPT5_SP_PNS1_23onesweep_lookback_stateET6_jjj,@function
_ZN7rocprim17ROCPRIM_304000_NS6detail25onesweep_iteration_kernelINS1_34wrapped_radix_sort_onesweep_configINS0_14default_configE6__halfN2at4cuda3cub6detail10OpaqueTypeILi8EEEEELb1EPKS5_PS5_PKSB_PSB_mNS0_19identity_decomposerEEEvT1_T2_T3_T4_jPT5_SP_PNS1_23onesweep_lookback_stateET6_jjj: ; @_ZN7rocprim17ROCPRIM_304000_NS6detail25onesweep_iteration_kernelINS1_34wrapped_radix_sort_onesweep_configINS0_14default_configE6__halfN2at4cuda3cub6detail10OpaqueTypeILi8EEEEELb1EPKS5_PS5_PKSB_PSB_mNS0_19identity_decomposerEEEvT1_T2_T3_T4_jPT5_SP_PNS1_23onesweep_lookback_stateET6_jjj
; %bb.0:
	s_load_dwordx8 s[56:63], s[0:1], 0x0
	s_load_dwordx4 s[68:71], s[0:1], 0x44
	s_load_dwordx4 s[64:67], s[0:1], 0x28
	s_load_dwordx2 s[72:73], s[0:1], 0x38
	s_mov_b32 s3, s2
	s_mov_b64 s[4:5], -1
	s_waitcnt lgkmcnt(0)
	s_cmp_ge_u32 s2, s70
	s_mul_i32 s54, s2, 0xc00
	v_mbcnt_lo_u32_b32 v1, -1, 0
	s_cbranch_scc0 .LBB191_152
; %bb.1:
	s_load_dword s6, s[0:1], 0x20
	s_mulk_i32 s70, 0xf400
	s_mov_b32 s55, 0
	s_lshl_b64 s[4:5], s[54:55], 1
	v_mbcnt_hi_u32_b32 v3, -1, v1
	s_waitcnt lgkmcnt(0)
	s_add_i32 s70, s70, s6
	s_add_u32 s4, s56, s4
	v_and_b32_e32 v8, 0xc0, v0
	s_addc_u32 s5, s57, s5
	v_mul_u32_u24_e32 v14, 12, v8
	v_mov_b32_e32 v5, 0
	v_lshlrev_b32_e32 v4, 1, v3
	v_lshl_add_u64 v[6:7], s[4:5], 0, v[4:5]
	v_lshlrev_b32_e32 v4, 1, v14
	v_lshl_add_u64 v[4:5], v[6:7], 0, v[4:5]
	v_or_b32_e32 v7, v3, v14
	v_cmp_gt_u32_e32 vcc, s70, v7
	v_mov_b32_e32 v11, -1
	v_mov_b32_e32 v6, -1
	s_and_saveexec_b64 s[4:5], vcc
	s_cbranch_execz .LBB191_3
; %bb.2:
	global_load_ushort v6, v[4:5], off
.LBB191_3:
	s_or_b64 exec, exec, s[4:5]
	v_add_u32_e32 v2, 64, v7
	v_cmp_gt_u32_e64 s[50:51], s70, v2
	s_and_saveexec_b64 s[4:5], s[50:51]
	s_cbranch_execz .LBB191_5
; %bb.4:
	global_load_ushort v11, v[4:5], off offset:128
.LBB191_5:
	s_or_b64 exec, exec, s[4:5]
	v_add_u32_e32 v2, 0x80, v7
	v_cmp_gt_u32_e64 s[4:5], s70, v2
	v_mov_b32_e32 v23, -1
	v_mov_b32_e32 v19, -1
	s_and_saveexec_b64 s[6:7], s[4:5]
	s_cbranch_execz .LBB191_7
; %bb.6:
	global_load_ushort v19, v[4:5], off offset:256
.LBB191_7:
	s_or_b64 exec, exec, s[6:7]
	v_add_u32_e32 v2, 0xc0, v7
	v_cmp_gt_u32_e64 s[6:7], s70, v2
	s_and_saveexec_b64 s[8:9], s[6:7]
	s_cbranch_execz .LBB191_9
; %bb.8:
	global_load_ushort v23, v[4:5], off offset:384
.LBB191_9:
	s_or_b64 exec, exec, s[8:9]
	v_add_u32_e32 v2, 0x100, v7
	v_cmp_gt_u32_e64 s[8:9], s70, v2
	v_mov_b32_e32 v35, -1
	v_mov_b32_e32 v29, -1
	s_and_saveexec_b64 s[10:11], s[8:9]
	s_cbranch_execz .LBB191_11
; %bb.10:
	global_load_ushort v29, v[4:5], off offset:512
.LBB191_11:
	;; [unrolled: 18-line block ×5, first 2 shown]
	s_or_b64 exec, exec, s[10:11]
	v_add_u32_e32 v7, 0x2c0, v7
	v_and_b32_e32 v2, 0x3ff, v0
	v_cmp_gt_u32_e64 s[10:11], s70, v7
	s_and_saveexec_b64 s[24:25], s[10:11]
	s_cbranch_execz .LBB191_25
; %bb.24:
	global_load_ushort v16, v[4:5], off offset:1408
.LBB191_25:
	s_or_b64 exec, exec, s[24:25]
	s_load_dword s24, s[0:1], 0x5c
	s_load_dword s33, s[0:1], 0x50
	s_add_u32 s25, s0, 0x50
	s_addc_u32 s26, s1, 0
	v_mov_b32_e32 v5, 0
	s_waitcnt lgkmcnt(0)
	s_lshr_b32 s27, s24, 16
	s_cmp_lt_u32 s2, s33
	s_cselect_b32 s24, 12, 18
	s_add_u32 s24, s25, s24
	s_addc_u32 s25, s26, 0
	global_load_ushort v17, v5, s[24:25]
	v_mov_b32_e32 v15, 0x7fff
	s_waitcnt vmcnt(1)
	v_cmp_gt_i16_e64 s[24:25], 0, v6
	s_movk_i32 s40, 0x8000
	v_bfe_u32 v4, v0, 10, 10
	v_cndmask_b32_e64 v10, v15, 0, s[24:25]
	v_xor_b32_e32 v10, v10, v6
	v_cmp_ne_u16_e64 s[24:25], s40, v10
	v_bfe_u32 v7, v0, 20, 10
	v_mad_u32_u24 v18, v7, s27, v4
	v_cndmask_b32_e64 v6, v15, v10, s[24:25]
	v_lshrrev_b32_sdwa v6, s68, v6 dst_sel:DWORD dst_unused:UNUSED_PAD src0_sel:DWORD src1_sel:WORD_0
	s_lshl_b32 s24, -1, s69
	v_bitop3_b32 v20, v6, s24, v6 bitop3:0x30
	v_and_b32_e32 v4, 1, v20
	v_lshlrev_b32_e32 v13, 30, v20
	v_mov_b32_e32 v12, v5
	v_mov_b32_e32 v24, v5
	s_not_b32 s74, s24
	v_lshlrev_b32_e32 v25, 29, v20
	v_lshlrev_b32_e32 v43, 25, v20
	v_lshl_add_u64 v[6:7], v[4:5], 0, -1
	v_cmp_ne_u32_e64 s[24:25], 0, v4
	v_not_b32_e32 v4, v13
	v_lshlrev_b32_e32 v33, 28, v20
	v_cmp_gt_i64_e64 s[26:27], 0, v[12:13]
	v_cmp_gt_i64_e64 s[28:29], 0, v[24:25]
	v_not_b32_e32 v12, v25
	v_not_b32_e32 v25, v43
	v_xor_b32_e32 v7, s25, v7
	v_ashrrev_i32_e32 v4, 31, v4
	v_mov_b32_e32 v32, v5
	v_lshlrev_b32_e32 v37, 27, v20
	v_not_b32_e32 v13, v33
	v_xor_b32_e32 v6, s24, v6
	v_ashrrev_i32_e32 v12, 31, v12
	v_ashrrev_i32_e32 v27, 31, v25
	v_and_b32_e32 v7, exec_hi, v7
	v_xor_b32_e32 v25, s27, v4
	v_mov_b32_e32 v36, v5
	v_lshlrev_b32_e32 v41, 26, v20
	v_cmp_gt_i64_e64 s[30:31], 0, v[32:33]
	v_not_b32_e32 v22, v37
	v_ashrrev_i32_e32 v13, 31, v13
	v_and_b32_e32 v6, exec_lo, v6
	v_xor_b32_e32 v4, s26, v4
	v_xor_b32_e32 v28, s29, v12
	v_and_b32_e32 v7, v7, v25
	v_mov_b32_e32 v40, v5
	v_cmp_gt_i64_e64 s[34:35], 0, v[36:37]
	v_not_b32_e32 v24, v41
	v_ashrrev_i32_e32 v22, 31, v22
	v_xor_b32_e32 v30, s31, v13
	v_and_b32_e32 v4, v6, v4
	v_and_b32_e32 v6, v7, v28
	v_cmp_gt_i64_e64 s[36:37], 0, v[40:41]
	v_ashrrev_i32_e32 v24, 31, v24
	v_xor_b32_e32 v12, s28, v12
	v_xor_b32_e32 v32, s35, v22
	v_and_b32_e32 v6, v6, v30
	v_xor_b32_e32 v13, s30, v13
	v_xor_b32_e32 v33, s37, v24
	v_and_b32_e32 v4, v4, v12
	v_and_b32_e32 v6, v6, v32
	v_mov_b32_e32 v42, v5
	v_xor_b32_e32 v22, s34, v22
	v_and_b32_e32 v4, v4, v13
	v_and_b32_e32 v12, v6, v33
	v_cmp_gt_i64_e64 s[38:39], 0, v[42:43]
	v_xor_b32_e32 v24, s36, v24
	v_and_b32_e32 v4, v4, v22
	v_and_b32_e32 v4, v4, v24
	v_mul_u32_u24_e32 v9, 20, v2
	ds_write2_b32 v9, v5, v5 offset0:4 offset1:5
	ds_write2_b32 v9, v5, v5 offset0:6 offset1:7
	ds_write_b32 v9, v5 offset:32
	s_waitcnt lgkmcnt(0)
	s_barrier
	s_waitcnt vmcnt(0)
	; wave barrier
	v_mad_u64_u32 v[6:7], s[24:25], v18, v17, v[2:3]
	v_lshrrev_b32_e32 v6, 6, v6
	v_lshlrev_b32_e32 v25, 2, v6
	v_xor_b32_e32 v6, s39, v27
	v_xor_b32_e32 v7, s38, v27
	v_and_b32_e32 v12, v12, v6
	v_and_b32_e32 v4, v4, v7
	v_lshlrev_b32_e32 v7, 24, v20
	v_mov_b32_e32 v6, v5
	v_cmp_gt_i64_e64 s[24:25], 0, v[6:7]
	v_not_b32_e32 v6, v7
	v_ashrrev_i32_e32 v6, 31, v6
	v_xor_b32_e32 v7, s25, v6
	v_xor_b32_e32 v6, s24, v6
	v_and_b32_e32 v6, v4, v6
	v_and_b32_e32 v7, v12, v7
	v_mbcnt_lo_u32_b32 v4, v6, 0
	v_mbcnt_hi_u32_b32 v12, v7, v4
	v_cmp_eq_u32_e64 s[24:25], 0, v12
	v_cmp_ne_u64_e64 s[26:27], 0, v[6:7]
	v_mad_u32_u24 v13, v20, 20, v25
	s_and_b64 s[26:27], s[26:27], s[24:25]
	s_and_saveexec_b64 s[24:25], s[26:27]
; %bb.26:
	v_bcnt_u32_b32 v4, v6, 0
	v_bcnt_u32_b32 v4, v7, v4
	ds_write_b32 v13, v4 offset:16
; %bb.27:
	s_or_b64 exec, exec, s[24:25]
	v_cmp_gt_i16_e64 s[24:25], 0, v11
	; wave barrier
	s_nop 1
	v_cndmask_b32_e64 v4, v15, 0, s[24:25]
	v_xor_b32_e32 v11, v4, v11
	v_cmp_ne_u16_e64 s[24:25], s40, v11
	s_nop 1
	v_cndmask_b32_e64 v4, v15, v11, s[24:25]
	v_lshrrev_b32_sdwa v4, s68, v4 dst_sel:DWORD dst_unused:UNUSED_PAD src0_sel:DWORD src1_sel:WORD_0
	v_and_b32_e32 v18, s74, v4
	v_and_b32_e32 v4, 1, v18
	v_lshl_add_u64 v[6:7], v[4:5], 0, -1
	v_cmp_ne_u32_e64 s[24:25], 0, v4
	v_mad_u32_u24 v17, v18, 20, v25
	ds_read_b32 v15, v17 offset:16
	v_xor_b32_e32 v6, s24, v6
	v_xor_b32_e32 v4, s25, v7
	v_and_b32_e32 v20, exec_lo, v6
	v_lshlrev_b32_e32 v7, 30, v18
	v_mov_b32_e32 v6, v5
	v_cmp_gt_i64_e64 s[24:25], 0, v[6:7]
	v_not_b32_e32 v6, v7
	v_ashrrev_i32_e32 v6, 31, v6
	v_and_b32_e32 v4, exec_hi, v4
	v_xor_b32_e32 v7, s25, v6
	v_xor_b32_e32 v6, s24, v6
	v_and_b32_e32 v4, v4, v7
	v_and_b32_e32 v20, v20, v6
	v_lshlrev_b32_e32 v7, 29, v18
	v_mov_b32_e32 v6, v5
	v_cmp_gt_i64_e64 s[24:25], 0, v[6:7]
	v_not_b32_e32 v6, v7
	v_ashrrev_i32_e32 v6, 31, v6
	v_xor_b32_e32 v7, s25, v6
	v_xor_b32_e32 v6, s24, v6
	v_and_b32_e32 v4, v4, v7
	v_and_b32_e32 v20, v20, v6
	v_lshlrev_b32_e32 v7, 28, v18
	v_mov_b32_e32 v6, v5
	v_cmp_gt_i64_e64 s[24:25], 0, v[6:7]
	v_not_b32_e32 v6, v7
	v_ashrrev_i32_e32 v6, 31, v6
	;; [unrolled: 9-line block ×5, first 2 shown]
	v_xor_b32_e32 v7, s25, v6
	v_xor_b32_e32 v6, s24, v6
	v_and_b32_e32 v4, v4, v7
	v_lshlrev_b32_e32 v7, 24, v18
	v_and_b32_e32 v20, v20, v6
	v_mov_b32_e32 v6, v5
	v_not_b32_e32 v5, v7
	v_cmp_gt_i64_e64 s[24:25], 0, v[6:7]
	v_ashrrev_i32_e32 v5, 31, v5
	s_nop 0
	v_xor_b32_e32 v6, s25, v5
	v_xor_b32_e32 v7, s24, v5
	v_and_b32_e32 v5, v4, v6
	v_and_b32_e32 v4, v20, v7
	v_mbcnt_lo_u32_b32 v6, v4, 0
	v_mbcnt_hi_u32_b32 v18, v5, v6
	v_cmp_eq_u32_e64 s[24:25], 0, v18
	v_cmp_ne_u64_e64 s[26:27], 0, v[4:5]
	s_and_b64 s[26:27], s[26:27], s[24:25]
	; wave barrier
	s_and_saveexec_b64 s[24:25], s[26:27]
	s_cbranch_execz .LBB191_29
; %bb.28:
	v_bcnt_u32_b32 v4, v4, 0
	v_bcnt_u32_b32 v4, v5, v4
	s_waitcnt lgkmcnt(0)
	v_add_u32_e32 v4, v15, v4
	ds_write_b32 v17, v4 offset:16
.LBB191_29:
	s_or_b64 exec, exec, s[24:25]
	v_mov_b32_e32 v27, 0x7fff
	v_cmp_gt_i16_e64 s[24:25], 0, v19
	s_movk_i32 s28, 0x8000
	v_mov_b32_e32 v5, 0
	v_cndmask_b32_e64 v4, v27, 0, s[24:25]
	v_xor_b32_e32 v19, v4, v19
	v_cmp_ne_u16_e64 s[24:25], s28, v19
	; wave barrier
	s_nop 1
	v_cndmask_b32_e64 v4, v27, v19, s[24:25]
	v_lshrrev_b32_sdwa v4, s68, v4 dst_sel:DWORD dst_unused:UNUSED_PAD src0_sel:DWORD src1_sel:WORD_0
	v_and_b32_e32 v24, s74, v4
	v_and_b32_e32 v4, 1, v24
	v_lshl_add_u64 v[6:7], v[4:5], 0, -1
	v_cmp_ne_u32_e64 s[24:25], 0, v4
	v_mad_u32_u24 v22, v24, 20, v25
	ds_read_b32 v20, v22 offset:16
	v_xor_b32_e32 v6, s24, v6
	v_xor_b32_e32 v4, s25, v7
	v_and_b32_e32 v28, exec_lo, v6
	v_lshlrev_b32_e32 v7, 30, v24
	v_mov_b32_e32 v6, v5
	v_cmp_gt_i64_e64 s[24:25], 0, v[6:7]
	v_not_b32_e32 v6, v7
	v_ashrrev_i32_e32 v6, 31, v6
	v_and_b32_e32 v4, exec_hi, v4
	v_xor_b32_e32 v7, s25, v6
	v_xor_b32_e32 v6, s24, v6
	v_and_b32_e32 v4, v4, v7
	v_and_b32_e32 v28, v28, v6
	v_lshlrev_b32_e32 v7, 29, v24
	v_mov_b32_e32 v6, v5
	v_cmp_gt_i64_e64 s[24:25], 0, v[6:7]
	v_not_b32_e32 v6, v7
	v_ashrrev_i32_e32 v6, 31, v6
	v_xor_b32_e32 v7, s25, v6
	v_xor_b32_e32 v6, s24, v6
	v_and_b32_e32 v4, v4, v7
	v_and_b32_e32 v28, v28, v6
	v_lshlrev_b32_e32 v7, 28, v24
	v_mov_b32_e32 v6, v5
	v_cmp_gt_i64_e64 s[24:25], 0, v[6:7]
	v_not_b32_e32 v6, v7
	v_ashrrev_i32_e32 v6, 31, v6
	;; [unrolled: 9-line block ×6, first 2 shown]
	v_xor_b32_e32 v7, s25, v6
	v_xor_b32_e32 v6, s24, v6
	v_and_b32_e32 v6, v28, v6
	v_and_b32_e32 v7, v4, v7
	v_mbcnt_lo_u32_b32 v4, v6, 0
	v_mbcnt_hi_u32_b32 v24, v7, v4
	v_cmp_eq_u32_e64 s[24:25], 0, v24
	v_cmp_ne_u64_e64 s[26:27], 0, v[6:7]
	s_and_b64 s[26:27], s[26:27], s[24:25]
	; wave barrier
	s_and_saveexec_b64 s[24:25], s[26:27]
	s_cbranch_execz .LBB191_31
; %bb.30:
	v_bcnt_u32_b32 v4, v6, 0
	v_bcnt_u32_b32 v4, v7, v4
	s_waitcnt lgkmcnt(0)
	v_add_u32_e32 v4, v20, v4
	ds_write_b32 v22, v4 offset:16
.LBB191_31:
	s_or_b64 exec, exec, s[24:25]
	v_cmp_gt_i16_e64 s[24:25], 0, v23
	; wave barrier
	s_nop 1
	v_cndmask_b32_e64 v4, v27, 0, s[24:25]
	v_xor_b32_e32 v23, v4, v23
	v_cmp_ne_u16_e64 s[24:25], s28, v23
	s_nop 1
	v_cndmask_b32_e64 v4, v27, v23, s[24:25]
	v_lshrrev_b32_sdwa v4, s68, v4 dst_sel:DWORD dst_unused:UNUSED_PAD src0_sel:DWORD src1_sel:WORD_0
	v_and_b32_e32 v30, s74, v4
	v_and_b32_e32 v4, 1, v30
	v_lshl_add_u64 v[6:7], v[4:5], 0, -1
	v_cmp_ne_u32_e64 s[24:25], 0, v4
	v_mad_u32_u24 v28, v30, 20, v25
	ds_read_b32 v27, v28 offset:16
	v_xor_b32_e32 v6, s24, v6
	v_xor_b32_e32 v4, s25, v7
	v_and_b32_e32 v32, exec_lo, v6
	v_lshlrev_b32_e32 v7, 30, v30
	v_mov_b32_e32 v6, v5
	v_cmp_gt_i64_e64 s[24:25], 0, v[6:7]
	v_not_b32_e32 v6, v7
	v_ashrrev_i32_e32 v6, 31, v6
	v_and_b32_e32 v4, exec_hi, v4
	v_xor_b32_e32 v7, s25, v6
	v_xor_b32_e32 v6, s24, v6
	v_and_b32_e32 v4, v4, v7
	v_and_b32_e32 v32, v32, v6
	v_lshlrev_b32_e32 v7, 29, v30
	v_mov_b32_e32 v6, v5
	v_cmp_gt_i64_e64 s[24:25], 0, v[6:7]
	v_not_b32_e32 v6, v7
	v_ashrrev_i32_e32 v6, 31, v6
	v_xor_b32_e32 v7, s25, v6
	v_xor_b32_e32 v6, s24, v6
	v_and_b32_e32 v4, v4, v7
	v_and_b32_e32 v32, v32, v6
	v_lshlrev_b32_e32 v7, 28, v30
	v_mov_b32_e32 v6, v5
	v_cmp_gt_i64_e64 s[24:25], 0, v[6:7]
	v_not_b32_e32 v6, v7
	v_ashrrev_i32_e32 v6, 31, v6
	;; [unrolled: 9-line block ×5, first 2 shown]
	v_xor_b32_e32 v7, s25, v6
	v_xor_b32_e32 v6, s24, v6
	v_and_b32_e32 v4, v4, v7
	v_lshlrev_b32_e32 v7, 24, v30
	v_and_b32_e32 v32, v32, v6
	v_mov_b32_e32 v6, v5
	v_not_b32_e32 v5, v7
	v_cmp_gt_i64_e64 s[24:25], 0, v[6:7]
	v_ashrrev_i32_e32 v5, 31, v5
	s_nop 0
	v_xor_b32_e32 v6, s25, v5
	v_xor_b32_e32 v7, s24, v5
	v_and_b32_e32 v5, v4, v6
	v_and_b32_e32 v4, v32, v7
	v_mbcnt_lo_u32_b32 v6, v4, 0
	v_mbcnt_hi_u32_b32 v30, v5, v6
	v_cmp_eq_u32_e64 s[24:25], 0, v30
	v_cmp_ne_u64_e64 s[26:27], 0, v[4:5]
	s_and_b64 s[26:27], s[26:27], s[24:25]
	; wave barrier
	s_and_saveexec_b64 s[24:25], s[26:27]
	s_cbranch_execz .LBB191_33
; %bb.32:
	v_bcnt_u32_b32 v4, v4, 0
	v_bcnt_u32_b32 v4, v5, v4
	s_waitcnt lgkmcnt(0)
	v_add_u32_e32 v4, v27, v4
	ds_write_b32 v28, v4 offset:16
.LBB191_33:
	s_or_b64 exec, exec, s[24:25]
	v_mov_b32_e32 v37, 0x7fff
	v_cmp_gt_i16_e64 s[24:25], 0, v29
	v_mov_b32_e32 v5, 0
	s_nop 0
	v_cndmask_b32_e64 v4, v37, 0, s[24:25]
	v_xor_b32_e32 v29, v4, v29
	v_cmp_ne_u16_e64 s[24:25], s28, v29
	; wave barrier
	s_nop 1
	v_cndmask_b32_e64 v4, v37, v29, s[24:25]
	v_lshrrev_b32_sdwa v4, s68, v4 dst_sel:DWORD dst_unused:UNUSED_PAD src0_sel:DWORD src1_sel:WORD_0
	v_and_b32_e32 v36, s74, v4
	v_and_b32_e32 v4, 1, v36
	v_lshl_add_u64 v[6:7], v[4:5], 0, -1
	v_cmp_ne_u32_e64 s[24:25], 0, v4
	v_mad_u32_u24 v33, v36, 20, v25
	ds_read_b32 v32, v33 offset:16
	v_xor_b32_e32 v6, s24, v6
	v_xor_b32_e32 v4, s25, v7
	v_and_b32_e32 v38, exec_lo, v6
	v_lshlrev_b32_e32 v7, 30, v36
	v_mov_b32_e32 v6, v5
	v_cmp_gt_i64_e64 s[24:25], 0, v[6:7]
	v_not_b32_e32 v6, v7
	v_ashrrev_i32_e32 v6, 31, v6
	v_and_b32_e32 v4, exec_hi, v4
	v_xor_b32_e32 v7, s25, v6
	v_xor_b32_e32 v6, s24, v6
	v_and_b32_e32 v4, v4, v7
	v_and_b32_e32 v38, v38, v6
	v_lshlrev_b32_e32 v7, 29, v36
	v_mov_b32_e32 v6, v5
	v_cmp_gt_i64_e64 s[24:25], 0, v[6:7]
	v_not_b32_e32 v6, v7
	v_ashrrev_i32_e32 v6, 31, v6
	v_xor_b32_e32 v7, s25, v6
	v_xor_b32_e32 v6, s24, v6
	v_and_b32_e32 v4, v4, v7
	v_and_b32_e32 v38, v38, v6
	v_lshlrev_b32_e32 v7, 28, v36
	v_mov_b32_e32 v6, v5
	v_cmp_gt_i64_e64 s[24:25], 0, v[6:7]
	v_not_b32_e32 v6, v7
	v_ashrrev_i32_e32 v6, 31, v6
	;; [unrolled: 9-line block ×6, first 2 shown]
	v_xor_b32_e32 v7, s25, v6
	v_xor_b32_e32 v6, s24, v6
	v_and_b32_e32 v6, v38, v6
	v_and_b32_e32 v7, v4, v7
	v_mbcnt_lo_u32_b32 v4, v6, 0
	v_mbcnt_hi_u32_b32 v36, v7, v4
	v_cmp_eq_u32_e64 s[24:25], 0, v36
	v_cmp_ne_u64_e64 s[26:27], 0, v[6:7]
	s_and_b64 s[26:27], s[26:27], s[24:25]
	; wave barrier
	s_and_saveexec_b64 s[24:25], s[26:27]
	s_cbranch_execz .LBB191_35
; %bb.34:
	v_bcnt_u32_b32 v4, v6, 0
	v_bcnt_u32_b32 v4, v7, v4
	s_waitcnt lgkmcnt(0)
	v_add_u32_e32 v4, v32, v4
	ds_write_b32 v33, v4 offset:16
.LBB191_35:
	s_or_b64 exec, exec, s[24:25]
	v_cmp_gt_i16_e64 s[24:25], 0, v35
	; wave barrier
	s_nop 1
	v_cndmask_b32_e64 v4, v37, 0, s[24:25]
	v_xor_b32_e32 v35, v4, v35
	v_cmp_ne_u16_e64 s[24:25], s28, v35
	s_nop 1
	v_cndmask_b32_e64 v4, v37, v35, s[24:25]
	v_lshrrev_b32_sdwa v4, s68, v4 dst_sel:DWORD dst_unused:UNUSED_PAD src0_sel:DWORD src1_sel:WORD_0
	v_and_b32_e32 v40, s74, v4
	v_and_b32_e32 v4, 1, v40
	v_lshl_add_u64 v[6:7], v[4:5], 0, -1
	v_cmp_ne_u32_e64 s[24:25], 0, v4
	v_mad_u32_u24 v38, v40, 20, v25
	ds_read_b32 v37, v38 offset:16
	v_xor_b32_e32 v6, s24, v6
	v_xor_b32_e32 v4, s25, v7
	v_and_b32_e32 v41, exec_lo, v6
	v_lshlrev_b32_e32 v7, 30, v40
	v_mov_b32_e32 v6, v5
	v_cmp_gt_i64_e64 s[24:25], 0, v[6:7]
	v_not_b32_e32 v6, v7
	v_ashrrev_i32_e32 v6, 31, v6
	v_and_b32_e32 v4, exec_hi, v4
	v_xor_b32_e32 v7, s25, v6
	v_xor_b32_e32 v6, s24, v6
	v_and_b32_e32 v4, v4, v7
	v_and_b32_e32 v41, v41, v6
	v_lshlrev_b32_e32 v7, 29, v40
	v_mov_b32_e32 v6, v5
	v_cmp_gt_i64_e64 s[24:25], 0, v[6:7]
	v_not_b32_e32 v6, v7
	v_ashrrev_i32_e32 v6, 31, v6
	v_xor_b32_e32 v7, s25, v6
	v_xor_b32_e32 v6, s24, v6
	v_and_b32_e32 v4, v4, v7
	v_and_b32_e32 v41, v41, v6
	v_lshlrev_b32_e32 v7, 28, v40
	v_mov_b32_e32 v6, v5
	v_cmp_gt_i64_e64 s[24:25], 0, v[6:7]
	v_not_b32_e32 v6, v7
	v_ashrrev_i32_e32 v6, 31, v6
	;; [unrolled: 9-line block ×5, first 2 shown]
	v_xor_b32_e32 v7, s25, v6
	v_xor_b32_e32 v6, s24, v6
	v_and_b32_e32 v4, v4, v7
	v_lshlrev_b32_e32 v7, 24, v40
	v_and_b32_e32 v41, v41, v6
	v_mov_b32_e32 v6, v5
	v_not_b32_e32 v5, v7
	v_cmp_gt_i64_e64 s[24:25], 0, v[6:7]
	v_ashrrev_i32_e32 v5, 31, v5
	s_nop 0
	v_xor_b32_e32 v6, s25, v5
	v_xor_b32_e32 v7, s24, v5
	v_and_b32_e32 v5, v4, v6
	v_and_b32_e32 v4, v41, v7
	v_mbcnt_lo_u32_b32 v6, v4, 0
	v_mbcnt_hi_u32_b32 v40, v5, v6
	v_cmp_eq_u32_e64 s[24:25], 0, v40
	v_cmp_ne_u64_e64 s[26:27], 0, v[4:5]
	s_and_b64 s[26:27], s[26:27], s[24:25]
	; wave barrier
	s_and_saveexec_b64 s[24:25], s[26:27]
	s_cbranch_execz .LBB191_37
; %bb.36:
	v_bcnt_u32_b32 v4, v4, 0
	v_bcnt_u32_b32 v4, v5, v4
	s_waitcnt lgkmcnt(0)
	v_add_u32_e32 v4, v37, v4
	ds_write_b32 v38, v4 offset:16
.LBB191_37:
	s_or_b64 exec, exec, s[24:25]
	v_mov_b32_e32 v44, 0x7fff
	v_cmp_gt_i16_e64 s[24:25], 0, v39
	v_mov_b32_e32 v5, 0
	s_nop 0
	v_cndmask_b32_e64 v4, v44, 0, s[24:25]
	v_xor_b32_e32 v39, v4, v39
	v_cmp_ne_u16_e64 s[24:25], s28, v39
	; wave barrier
	s_nop 1
	v_cndmask_b32_e64 v4, v44, v39, s[24:25]
	v_lshrrev_b32_sdwa v4, s68, v4 dst_sel:DWORD dst_unused:UNUSED_PAD src0_sel:DWORD src1_sel:WORD_0
	v_and_b32_e32 v43, s74, v4
	v_and_b32_e32 v4, 1, v43
	v_lshl_add_u64 v[6:7], v[4:5], 0, -1
	v_cmp_ne_u32_e64 s[24:25], 0, v4
	v_mad_u32_u24 v42, v43, 20, v25
	ds_read_b32 v41, v42 offset:16
	v_xor_b32_e32 v6, s24, v6
	v_xor_b32_e32 v4, s25, v7
	v_and_b32_e32 v45, exec_lo, v6
	v_lshlrev_b32_e32 v7, 30, v43
	v_mov_b32_e32 v6, v5
	v_cmp_gt_i64_e64 s[24:25], 0, v[6:7]
	v_not_b32_e32 v6, v7
	v_ashrrev_i32_e32 v6, 31, v6
	v_and_b32_e32 v4, exec_hi, v4
	v_xor_b32_e32 v7, s25, v6
	v_xor_b32_e32 v6, s24, v6
	v_and_b32_e32 v4, v4, v7
	v_and_b32_e32 v45, v45, v6
	v_lshlrev_b32_e32 v7, 29, v43
	v_mov_b32_e32 v6, v5
	v_cmp_gt_i64_e64 s[24:25], 0, v[6:7]
	v_not_b32_e32 v6, v7
	v_ashrrev_i32_e32 v6, 31, v6
	v_xor_b32_e32 v7, s25, v6
	v_xor_b32_e32 v6, s24, v6
	v_and_b32_e32 v4, v4, v7
	v_and_b32_e32 v45, v45, v6
	v_lshlrev_b32_e32 v7, 28, v43
	v_mov_b32_e32 v6, v5
	v_cmp_gt_i64_e64 s[24:25], 0, v[6:7]
	v_not_b32_e32 v6, v7
	v_ashrrev_i32_e32 v6, 31, v6
	;; [unrolled: 9-line block ×6, first 2 shown]
	v_xor_b32_e32 v7, s25, v6
	v_xor_b32_e32 v6, s24, v6
	v_and_b32_e32 v6, v45, v6
	v_and_b32_e32 v7, v4, v7
	v_mbcnt_lo_u32_b32 v4, v6, 0
	v_mbcnt_hi_u32_b32 v43, v7, v4
	v_cmp_eq_u32_e64 s[24:25], 0, v43
	v_cmp_ne_u64_e64 s[26:27], 0, v[6:7]
	s_and_b64 s[26:27], s[26:27], s[24:25]
	; wave barrier
	s_and_saveexec_b64 s[24:25], s[26:27]
	s_cbranch_execz .LBB191_39
; %bb.38:
	v_bcnt_u32_b32 v4, v6, 0
	v_bcnt_u32_b32 v4, v7, v4
	s_waitcnt lgkmcnt(0)
	v_add_u32_e32 v4, v41, v4
	ds_write_b32 v42, v4 offset:16
.LBB191_39:
	s_or_b64 exec, exec, s[24:25]
	v_cmp_gt_i16_e64 s[24:25], 0, v34
	; wave barrier
	s_nop 1
	v_cndmask_b32_e64 v4, v44, 0, s[24:25]
	v_xor_b32_e32 v34, v4, v34
	v_cmp_ne_u16_e64 s[24:25], s28, v34
	s_nop 1
	v_cndmask_b32_e64 v4, v44, v34, s[24:25]
	v_lshrrev_b32_sdwa v4, s68, v4 dst_sel:DWORD dst_unused:UNUSED_PAD src0_sel:DWORD src1_sel:WORD_0
	v_and_b32_e32 v46, s74, v4
	v_and_b32_e32 v4, 1, v46
	v_lshl_add_u64 v[6:7], v[4:5], 0, -1
	v_cmp_ne_u32_e64 s[24:25], 0, v4
	v_mad_u32_u24 v45, v46, 20, v25
	ds_read_b32 v44, v45 offset:16
	v_xor_b32_e32 v6, s24, v6
	v_xor_b32_e32 v4, s25, v7
	v_and_b32_e32 v47, exec_lo, v6
	v_lshlrev_b32_e32 v7, 30, v46
	v_mov_b32_e32 v6, v5
	v_cmp_gt_i64_e64 s[24:25], 0, v[6:7]
	v_not_b32_e32 v6, v7
	v_ashrrev_i32_e32 v6, 31, v6
	v_and_b32_e32 v4, exec_hi, v4
	v_xor_b32_e32 v7, s25, v6
	v_xor_b32_e32 v6, s24, v6
	v_and_b32_e32 v4, v4, v7
	v_and_b32_e32 v47, v47, v6
	v_lshlrev_b32_e32 v7, 29, v46
	v_mov_b32_e32 v6, v5
	v_cmp_gt_i64_e64 s[24:25], 0, v[6:7]
	v_not_b32_e32 v6, v7
	v_ashrrev_i32_e32 v6, 31, v6
	v_xor_b32_e32 v7, s25, v6
	v_xor_b32_e32 v6, s24, v6
	v_and_b32_e32 v4, v4, v7
	v_and_b32_e32 v47, v47, v6
	v_lshlrev_b32_e32 v7, 28, v46
	v_mov_b32_e32 v6, v5
	v_cmp_gt_i64_e64 s[24:25], 0, v[6:7]
	v_not_b32_e32 v6, v7
	v_ashrrev_i32_e32 v6, 31, v6
	;; [unrolled: 9-line block ×5, first 2 shown]
	v_xor_b32_e32 v7, s25, v6
	v_xor_b32_e32 v6, s24, v6
	v_and_b32_e32 v4, v4, v7
	v_lshlrev_b32_e32 v7, 24, v46
	v_and_b32_e32 v47, v47, v6
	v_mov_b32_e32 v6, v5
	v_not_b32_e32 v5, v7
	v_cmp_gt_i64_e64 s[24:25], 0, v[6:7]
	v_ashrrev_i32_e32 v5, 31, v5
	s_nop 0
	v_xor_b32_e32 v6, s25, v5
	v_xor_b32_e32 v7, s24, v5
	v_and_b32_e32 v5, v4, v6
	v_and_b32_e32 v4, v47, v7
	v_mbcnt_lo_u32_b32 v6, v4, 0
	v_mbcnt_hi_u32_b32 v46, v5, v6
	v_cmp_eq_u32_e64 s[24:25], 0, v46
	v_cmp_ne_u64_e64 s[26:27], 0, v[4:5]
	s_and_b64 s[26:27], s[26:27], s[24:25]
	; wave barrier
	s_and_saveexec_b64 s[24:25], s[26:27]
	s_cbranch_execz .LBB191_41
; %bb.40:
	v_bcnt_u32_b32 v4, v4, 0
	v_bcnt_u32_b32 v4, v5, v4
	s_waitcnt lgkmcnt(0)
	v_add_u32_e32 v4, v44, v4
	ds_write_b32 v45, v4 offset:16
.LBB191_41:
	s_or_b64 exec, exec, s[24:25]
	v_mov_b32_e32 v51, 0x7fff
	v_cmp_gt_i16_e64 s[24:25], 0, v31
	v_mov_b32_e32 v5, 0
	s_nop 0
	v_cndmask_b32_e64 v4, v51, 0, s[24:25]
	v_xor_b32_e32 v31, v4, v31
	v_cmp_ne_u16_e64 s[24:25], s28, v31
	; wave barrier
	s_nop 1
	v_cndmask_b32_e64 v4, v51, v31, s[24:25]
	v_lshrrev_b32_sdwa v4, s68, v4 dst_sel:DWORD dst_unused:UNUSED_PAD src0_sel:DWORD src1_sel:WORD_0
	v_and_b32_e32 v49, s74, v4
	v_and_b32_e32 v4, 1, v49
	v_lshl_add_u64 v[6:7], v[4:5], 0, -1
	v_cmp_ne_u32_e64 s[24:25], 0, v4
	v_mad_u32_u24 v48, v49, 20, v25
	ds_read_b32 v47, v48 offset:16
	v_xor_b32_e32 v6, s24, v6
	v_xor_b32_e32 v4, s25, v7
	v_and_b32_e32 v50, exec_lo, v6
	v_lshlrev_b32_e32 v7, 30, v49
	v_mov_b32_e32 v6, v5
	v_cmp_gt_i64_e64 s[24:25], 0, v[6:7]
	v_not_b32_e32 v6, v7
	v_ashrrev_i32_e32 v6, 31, v6
	v_and_b32_e32 v4, exec_hi, v4
	v_xor_b32_e32 v7, s25, v6
	v_xor_b32_e32 v6, s24, v6
	v_and_b32_e32 v4, v4, v7
	v_and_b32_e32 v50, v50, v6
	v_lshlrev_b32_e32 v7, 29, v49
	v_mov_b32_e32 v6, v5
	v_cmp_gt_i64_e64 s[24:25], 0, v[6:7]
	v_not_b32_e32 v6, v7
	v_ashrrev_i32_e32 v6, 31, v6
	v_xor_b32_e32 v7, s25, v6
	v_xor_b32_e32 v6, s24, v6
	v_and_b32_e32 v4, v4, v7
	v_and_b32_e32 v50, v50, v6
	v_lshlrev_b32_e32 v7, 28, v49
	v_mov_b32_e32 v6, v5
	v_cmp_gt_i64_e64 s[24:25], 0, v[6:7]
	v_not_b32_e32 v6, v7
	v_ashrrev_i32_e32 v6, 31, v6
	;; [unrolled: 9-line block ×6, first 2 shown]
	v_xor_b32_e32 v7, s25, v6
	v_xor_b32_e32 v6, s24, v6
	v_and_b32_e32 v6, v50, v6
	v_and_b32_e32 v7, v4, v7
	v_mbcnt_lo_u32_b32 v4, v6, 0
	v_mbcnt_hi_u32_b32 v50, v7, v4
	v_cmp_eq_u32_e64 s[24:25], 0, v50
	v_cmp_ne_u64_e64 s[26:27], 0, v[6:7]
	s_and_b64 s[26:27], s[26:27], s[24:25]
	; wave barrier
	s_and_saveexec_b64 s[24:25], s[26:27]
	s_cbranch_execz .LBB191_43
; %bb.42:
	v_bcnt_u32_b32 v4, v6, 0
	v_bcnt_u32_b32 v4, v7, v4
	s_waitcnt lgkmcnt(0)
	v_add_u32_e32 v4, v47, v4
	ds_write_b32 v48, v4 offset:16
.LBB191_43:
	s_or_b64 exec, exec, s[24:25]
	v_cmp_gt_i16_e64 s[24:25], 0, v26
	; wave barrier
	s_nop 1
	v_cndmask_b32_e64 v4, v51, 0, s[24:25]
	v_xor_b32_e32 v49, v4, v26
	v_cmp_ne_u16_e64 s[24:25], s28, v49
	s_nop 1
	v_cndmask_b32_e64 v4, v51, v49, s[24:25]
	v_lshrrev_b32_sdwa v4, s68, v4 dst_sel:DWORD dst_unused:UNUSED_PAD src0_sel:DWORD src1_sel:WORD_0
	v_and_b32_e32 v52, s74, v4
	v_and_b32_e32 v4, 1, v52
	v_lshl_add_u64 v[6:7], v[4:5], 0, -1
	v_cmp_ne_u32_e64 s[24:25], 0, v4
	v_mad_u32_u24 v26, v52, 20, v25
	ds_read_b32 v51, v26 offset:16
	v_xor_b32_e32 v6, s24, v6
	v_xor_b32_e32 v4, s25, v7
	v_and_b32_e32 v53, exec_lo, v6
	v_lshlrev_b32_e32 v7, 30, v52
	v_mov_b32_e32 v6, v5
	v_cmp_gt_i64_e64 s[24:25], 0, v[6:7]
	v_not_b32_e32 v6, v7
	v_ashrrev_i32_e32 v6, 31, v6
	v_and_b32_e32 v4, exec_hi, v4
	v_xor_b32_e32 v7, s25, v6
	v_xor_b32_e32 v6, s24, v6
	v_and_b32_e32 v4, v4, v7
	v_and_b32_e32 v53, v53, v6
	v_lshlrev_b32_e32 v7, 29, v52
	v_mov_b32_e32 v6, v5
	v_cmp_gt_i64_e64 s[24:25], 0, v[6:7]
	v_not_b32_e32 v6, v7
	v_ashrrev_i32_e32 v6, 31, v6
	v_xor_b32_e32 v7, s25, v6
	v_xor_b32_e32 v6, s24, v6
	v_and_b32_e32 v4, v4, v7
	v_and_b32_e32 v53, v53, v6
	v_lshlrev_b32_e32 v7, 28, v52
	v_mov_b32_e32 v6, v5
	v_cmp_gt_i64_e64 s[24:25], 0, v[6:7]
	v_not_b32_e32 v6, v7
	v_ashrrev_i32_e32 v6, 31, v6
	;; [unrolled: 9-line block ×5, first 2 shown]
	v_xor_b32_e32 v7, s25, v6
	v_xor_b32_e32 v6, s24, v6
	v_and_b32_e32 v4, v4, v7
	v_lshlrev_b32_e32 v7, 24, v52
	v_and_b32_e32 v53, v53, v6
	v_mov_b32_e32 v6, v5
	v_not_b32_e32 v5, v7
	v_cmp_gt_i64_e64 s[24:25], 0, v[6:7]
	v_ashrrev_i32_e32 v5, 31, v5
	s_nop 0
	v_xor_b32_e32 v6, s25, v5
	v_xor_b32_e32 v7, s24, v5
	v_and_b32_e32 v5, v4, v6
	v_and_b32_e32 v4, v53, v7
	v_mbcnt_lo_u32_b32 v6, v4, 0
	v_mbcnt_hi_u32_b32 v53, v5, v6
	v_cmp_eq_u32_e64 s[24:25], 0, v53
	v_cmp_ne_u64_e64 s[26:27], 0, v[4:5]
	s_and_b64 s[26:27], s[26:27], s[24:25]
	; wave barrier
	s_and_saveexec_b64 s[24:25], s[26:27]
	s_cbranch_execz .LBB191_45
; %bb.44:
	v_bcnt_u32_b32 v4, v4, 0
	v_bcnt_u32_b32 v4, v5, v4
	s_waitcnt lgkmcnt(0)
	v_add_u32_e32 v4, v51, v4
	ds_write_b32 v26, v4 offset:16
.LBB191_45:
	s_or_b64 exec, exec, s[24:25]
	v_mov_b32_e32 v57, 0x7fff
	v_cmp_gt_i16_e64 s[24:25], 0, v21
	v_mov_b32_e32 v5, 0
	s_nop 0
	v_cndmask_b32_e64 v4, v57, 0, s[24:25]
	v_xor_b32_e32 v52, v4, v21
	v_cmp_ne_u16_e64 s[24:25], s28, v52
	; wave barrier
	s_nop 1
	v_cndmask_b32_e64 v4, v57, v52, s[24:25]
	v_lshrrev_b32_sdwa v4, s68, v4 dst_sel:DWORD dst_unused:UNUSED_PAD src0_sel:DWORD src1_sel:WORD_0
	v_and_b32_e32 v55, s74, v4
	v_and_b32_e32 v4, 1, v55
	v_lshl_add_u64 v[6:7], v[4:5], 0, -1
	v_cmp_ne_u32_e64 s[24:25], 0, v4
	v_mad_u32_u24 v21, v55, 20, v25
	ds_read_b32 v54, v21 offset:16
	v_xor_b32_e32 v6, s24, v6
	v_xor_b32_e32 v4, s25, v7
	v_and_b32_e32 v56, exec_lo, v6
	v_lshlrev_b32_e32 v7, 30, v55
	v_mov_b32_e32 v6, v5
	v_cmp_gt_i64_e64 s[24:25], 0, v[6:7]
	v_not_b32_e32 v6, v7
	v_ashrrev_i32_e32 v6, 31, v6
	v_and_b32_e32 v4, exec_hi, v4
	v_xor_b32_e32 v7, s25, v6
	v_xor_b32_e32 v6, s24, v6
	v_and_b32_e32 v4, v4, v7
	v_and_b32_e32 v56, v56, v6
	v_lshlrev_b32_e32 v7, 29, v55
	v_mov_b32_e32 v6, v5
	v_cmp_gt_i64_e64 s[24:25], 0, v[6:7]
	v_not_b32_e32 v6, v7
	v_ashrrev_i32_e32 v6, 31, v6
	v_xor_b32_e32 v7, s25, v6
	v_xor_b32_e32 v6, s24, v6
	v_and_b32_e32 v4, v4, v7
	v_and_b32_e32 v56, v56, v6
	v_lshlrev_b32_e32 v7, 28, v55
	v_mov_b32_e32 v6, v5
	v_cmp_gt_i64_e64 s[24:25], 0, v[6:7]
	v_not_b32_e32 v6, v7
	v_ashrrev_i32_e32 v6, 31, v6
	;; [unrolled: 9-line block ×6, first 2 shown]
	v_xor_b32_e32 v7, s25, v6
	v_xor_b32_e32 v6, s24, v6
	v_and_b32_e32 v6, v56, v6
	v_and_b32_e32 v7, v4, v7
	v_mbcnt_lo_u32_b32 v4, v6, 0
	v_mbcnt_hi_u32_b32 v56, v7, v4
	v_cmp_eq_u32_e64 s[24:25], 0, v56
	v_cmp_ne_u64_e64 s[26:27], 0, v[6:7]
	s_and_b64 s[26:27], s[26:27], s[24:25]
	; wave barrier
	s_and_saveexec_b64 s[24:25], s[26:27]
	s_cbranch_execz .LBB191_47
; %bb.46:
	v_bcnt_u32_b32 v4, v6, 0
	v_bcnt_u32_b32 v4, v7, v4
	s_waitcnt lgkmcnt(0)
	v_add_u32_e32 v4, v54, v4
	ds_write_b32 v21, v4 offset:16
.LBB191_47:
	s_or_b64 exec, exec, s[24:25]
	v_cmp_gt_i16_e64 s[24:25], 0, v16
	; wave barrier
	s_nop 1
	v_cndmask_b32_e64 v4, v57, 0, s[24:25]
	v_xor_b32_e32 v55, v4, v16
	v_cmp_ne_u16_e64 s[24:25], s28, v55
	s_nop 1
	v_cndmask_b32_e64 v4, v57, v55, s[24:25]
	v_lshrrev_b32_sdwa v4, s68, v4 dst_sel:DWORD dst_unused:UNUSED_PAD src0_sel:DWORD src1_sel:WORD_0
	v_and_b32_e32 v58, s74, v4
	v_and_b32_e32 v4, 1, v58
	v_lshl_add_u64 v[6:7], v[4:5], 0, -1
	v_cmp_ne_u32_e64 s[24:25], 0, v4
	v_mad_u32_u24 v16, v58, 20, v25
	ds_read_b32 v57, v16 offset:16
	v_xor_b32_e32 v6, s24, v6
	v_xor_b32_e32 v4, s25, v7
	v_and_b32_e32 v25, exec_lo, v6
	v_lshlrev_b32_e32 v7, 30, v58
	v_mov_b32_e32 v6, v5
	v_cmp_gt_i64_e64 s[24:25], 0, v[6:7]
	v_not_b32_e32 v6, v7
	v_ashrrev_i32_e32 v6, 31, v6
	v_and_b32_e32 v4, exec_hi, v4
	v_xor_b32_e32 v7, s25, v6
	v_xor_b32_e32 v6, s24, v6
	v_and_b32_e32 v4, v4, v7
	v_and_b32_e32 v25, v25, v6
	v_lshlrev_b32_e32 v7, 29, v58
	v_mov_b32_e32 v6, v5
	v_cmp_gt_i64_e64 s[24:25], 0, v[6:7]
	v_not_b32_e32 v6, v7
	v_ashrrev_i32_e32 v6, 31, v6
	v_xor_b32_e32 v7, s25, v6
	v_xor_b32_e32 v6, s24, v6
	v_and_b32_e32 v4, v4, v7
	v_and_b32_e32 v25, v25, v6
	v_lshlrev_b32_e32 v7, 28, v58
	v_mov_b32_e32 v6, v5
	v_cmp_gt_i64_e64 s[24:25], 0, v[6:7]
	v_not_b32_e32 v6, v7
	v_ashrrev_i32_e32 v6, 31, v6
	;; [unrolled: 9-line block ×5, first 2 shown]
	v_xor_b32_e32 v7, s25, v6
	v_xor_b32_e32 v6, s24, v6
	v_and_b32_e32 v4, v4, v7
	v_lshlrev_b32_e32 v7, 24, v58
	v_and_b32_e32 v25, v25, v6
	v_mov_b32_e32 v6, v5
	v_not_b32_e32 v5, v7
	v_cmp_gt_i64_e64 s[24:25], 0, v[6:7]
	v_ashrrev_i32_e32 v5, 31, v5
	s_nop 0
	v_xor_b32_e32 v6, s25, v5
	v_xor_b32_e32 v7, s24, v5
	v_and_b32_e32 v5, v4, v6
	v_and_b32_e32 v4, v25, v7
	v_mbcnt_lo_u32_b32 v6, v4, 0
	v_mbcnt_hi_u32_b32 v58, v5, v6
	v_cmp_eq_u32_e64 s[24:25], 0, v58
	v_cmp_ne_u64_e64 s[26:27], 0, v[4:5]
	s_and_b64 s[26:27], s[26:27], s[24:25]
	; wave barrier
	s_and_saveexec_b64 s[24:25], s[26:27]
	s_cbranch_execz .LBB191_49
; %bb.48:
	v_bcnt_u32_b32 v4, v4, 0
	v_bcnt_u32_b32 v4, v5, v4
	s_waitcnt lgkmcnt(0)
	v_add_u32_e32 v4, v57, v4
	ds_write_b32 v16, v4 offset:16
.LBB191_49:
	s_or_b64 exec, exec, s[24:25]
	; wave barrier
	s_waitcnt lgkmcnt(0)
	s_barrier
	ds_read2_b32 v[6:7], v9 offset0:4 offset1:5
	ds_read2_b32 v[4:5], v9 offset0:6 offset1:7
	ds_read_b32 v25, v9 offset:32
	v_min_u32_e32 v8, 0xc0, v8
	v_or_b32_e32 v8, 63, v8
	s_waitcnt lgkmcnt(1)
	v_add3_u32 v59, v7, v6, v4
	s_waitcnt lgkmcnt(0)
	v_add3_u32 v25, v59, v5, v25
	v_and_b32_e32 v59, 15, v3
	v_cmp_ne_u32_e64 s[24:25], 0, v59
	v_mov_b32_dpp v60, v25 row_shr:1 row_mask:0xf bank_mask:0xf
	s_nop 0
	v_cndmask_b32_e64 v60, 0, v60, s[24:25]
	v_add_u32_e32 v25, v60, v25
	v_cmp_lt_u32_e64 s[24:25], 1, v59
	s_nop 0
	v_mov_b32_dpp v60, v25 row_shr:2 row_mask:0xf bank_mask:0xf
	v_cndmask_b32_e64 v60, 0, v60, s[24:25]
	v_add_u32_e32 v25, v25, v60
	v_cmp_lt_u32_e64 s[24:25], 3, v59
	s_nop 0
	v_mov_b32_dpp v60, v25 row_shr:4 row_mask:0xf bank_mask:0xf
	;; [unrolled: 5-line block ×3, first 2 shown]
	v_cndmask_b32_e64 v59, 0, v60, s[24:25]
	v_add_u32_e32 v25, v25, v59
	v_bfe_i32 v60, v3, 4, 1
	v_cmp_lt_u32_e64 s[24:25], 31, v3
	v_mov_b32_dpp v59, v25 row_bcast:15 row_mask:0xf bank_mask:0xf
	v_and_b32_e32 v59, v60, v59
	v_add_u32_e32 v25, v25, v59
	s_nop 1
	v_mov_b32_dpp v59, v25 row_bcast:31 row_mask:0xf bank_mask:0xf
	v_cndmask_b32_e64 v59, 0, v59, s[24:25]
	v_add_u32_e32 v25, v25, v59
	v_lshrrev_b32_e32 v59, 6, v2
	v_cmp_eq_u32_e64 s[24:25], v2, v8
	s_and_saveexec_b64 s[26:27], s[24:25]
; %bb.50:
	v_lshlrev_b32_e32 v8, 2, v59
	ds_write_b32 v8, v25
; %bb.51:
	s_or_b64 exec, exec, s[26:27]
	v_cmp_gt_u32_e64 s[24:25], 4, v2
	s_waitcnt lgkmcnt(0)
	s_barrier
	s_and_saveexec_b64 s[26:27], s[24:25]
	s_cbranch_execz .LBB191_53
; %bb.52:
	v_lshlrev_b32_e32 v8, 2, v2
	ds_read_b32 v60, v8
	v_and_b32_e32 v61, 3, v3
	v_cmp_ne_u32_e64 s[24:25], 0, v61
	s_waitcnt lgkmcnt(0)
	v_mov_b32_dpp v62, v60 row_shr:1 row_mask:0xf bank_mask:0xf
	v_cndmask_b32_e64 v62, 0, v62, s[24:25]
	v_add_u32_e32 v60, v62, v60
	v_cmp_lt_u32_e64 s[24:25], 1, v61
	s_nop 0
	v_mov_b32_dpp v62, v60 row_shr:2 row_mask:0xf bank_mask:0xf
	v_cndmask_b32_e64 v61, 0, v62, s[24:25]
	v_add_u32_e32 v60, v60, v61
	ds_write_b32 v8, v60
.LBB191_53:
	s_or_b64 exec, exec, s[26:27]
	v_cmp_lt_u32_e64 s[24:25], 63, v2
	v_mov_b32_e32 v8, 0
	s_waitcnt lgkmcnt(0)
	s_barrier
	s_and_saveexec_b64 s[26:27], s[24:25]
; %bb.54:
	v_lshl_add_u32 v8, v59, 2, -4
	ds_read_b32 v8, v8
; %bb.55:
	s_or_b64 exec, exec, s[26:27]
	v_add_u32_e32 v59, -1, v3
	v_and_b32_e32 v60, 64, v3
	v_cmp_lt_i32_e64 s[24:25], v59, v60
	s_waitcnt lgkmcnt(0)
	v_add_u32_e32 v25, v8, v25
	v_cndmask_b32_e64 v59, v59, v3, s[24:25]
	v_lshlrev_b32_e32 v59, 2, v59
	ds_bpermute_b32 v25, v59, v25
	v_cmp_eq_u32_e64 s[24:25], 0, v3
	s_waitcnt lgkmcnt(0)
	s_nop 0
	v_cndmask_b32_e64 v8, v25, v8, s[24:25]
	v_cmp_ne_u32_e64 s[24:25], 0, v2
	s_nop 1
	v_cndmask_b32_e64 v8, 0, v8, s[24:25]
	v_add_u32_e32 v6, v8, v6
	v_add_u32_e32 v7, v6, v7
	;; [unrolled: 1-line block ×4, first 2 shown]
	ds_write2_b32 v9, v8, v6 offset0:4 offset1:5
	ds_write2_b32 v9, v7, v4 offset0:6 offset1:7
	ds_write_b32 v9, v5 offset:32
	s_waitcnt lgkmcnt(0)
	s_barrier
	ds_read_b32 v6, v45 offset:16
	ds_read_b32 v7, v48 offset:16
	;; [unrolled: 1-line block ×13, first 2 shown]
	v_add_u32_e32 v9, 1, v2
	s_movk_i32 s24, 0x100
	v_cmp_ne_u32_e64 s[24:25], s24, v9
	v_mov_b32_e32 v5, 0xc00
	s_and_saveexec_b64 s[26:27], s[24:25]
; %bb.56:
	v_mul_u32_u24_e32 v5, 20, v9
	ds_read_b32 v5, v5 offset:16
; %bb.57:
	s_or_b64 exec, exec, s[26:27]
	s_waitcnt lgkmcnt(7)
	v_add_u32_e32 v28, v13, v12
	s_waitcnt lgkmcnt(6)
	v_add3_u32 v26, v18, v15, v16
	v_add3_u32 v18, v46, v44, v6
	v_lshlrev_b32_e32 v6, 1, v28
	s_waitcnt lgkmcnt(5)
	v_add3_u32 v25, v24, v20, v17
	s_waitcnt lgkmcnt(0)
	s_barrier
	ds_write_b16 v6, v10 offset:2048
	v_lshlrev_b32_e32 v6, 1, v26
	v_add3_u32 v24, v30, v27, v21
	ds_write_b16 v6, v11 offset:2048
	v_lshlrev_b32_e32 v6, 1, v25
	v_add3_u32 v22, v36, v32, v22
	;; [unrolled: 3-line block ×4, first 2 shown]
	ds_write_b16 v6, v29 offset:2048
	v_lshlrev_b32_e32 v6, 1, v21
	ds_write_b16 v6, v35 offset:2048
	v_lshlrev_b32_e32 v6, 1, v20
	v_add3_u32 v17, v50, v47, v7
	ds_write_b16 v6, v39 offset:2048
	v_lshlrev_b32_e32 v6, 1, v18
	v_add3_u32 v16, v53, v51, v8
	;; [unrolled: 3-line block ×4, first 2 shown]
	ds_write_b16 v6, v49 offset:2048
	v_lshlrev_b32_e32 v6, 1, v15
	ds_write_b16 v6, v52 offset:2048
	v_lshlrev_b32_e32 v6, 1, v7
	ds_write_b16 v6, v55 offset:2048
	v_sub_u32_e32 v6, v5, v4
	v_lshl_add_u32 v8, s2, 8, v2
	v_mov_b32_e32 v9, 0
	v_lshl_add_u64 v[10:11], v[8:9], 2, s[72:73]
	v_or_b32_e32 v5, 2.0, v6
	s_mov_b64 s[26:27], 0
	s_brev_b32 s34, -4
	s_mov_b32 s35, s3
	v_mov_b32_e32 v19, 0
	s_waitcnt lgkmcnt(0)
	s_barrier
	global_store_dword v[10:11], v5, off sc1
                                        ; implicit-def: $sgpr24_sgpr25
	s_branch .LBB191_60
.LBB191_58:                             ;   in Loop: Header=BB191_60 Depth=1
	s_or_b64 exec, exec, s[30:31]
.LBB191_59:                             ;   in Loop: Header=BB191_60 Depth=1
	s_or_b64 exec, exec, s[28:29]
	v_and_b32_e32 v8, 0x3fffffff, v5
	v_add_u32_e32 v19, v8, v19
	v_cmp_gt_i32_e64 s[24:25], -2.0, v5
	s_and_b64 s[28:29], exec, s[24:25]
	s_or_b64 s[26:27], s[28:29], s[26:27]
	s_andn2_b64 exec, exec, s[26:27]
	s_cbranch_execz .LBB191_65
.LBB191_60:                             ; =>This Loop Header: Depth=1
                                        ;     Child Loop BB191_63 Depth 2
	s_or_b64 s[24:25], s[24:25], exec
	s_cmp_eq_u32 s35, 0
	s_cbranch_scc1 .LBB191_64
; %bb.61:                               ;   in Loop: Header=BB191_60 Depth=1
	s_add_i32 s35, s35, -1
	v_lshl_add_u32 v8, s35, 8, v2
	v_lshl_add_u64 v[12:13], v[8:9], 2, s[72:73]
	global_load_dword v5, v[12:13], off sc1
	s_waitcnt vmcnt(0)
	v_cmp_gt_u32_e64 s[24:25], 2.0, v5
	s_and_saveexec_b64 s[28:29], s[24:25]
	s_cbranch_execz .LBB191_59
; %bb.62:                               ;   in Loop: Header=BB191_60 Depth=1
	s_mov_b64 s[30:31], 0
.LBB191_63:                             ;   Parent Loop BB191_60 Depth=1
                                        ; =>  This Inner Loop Header: Depth=2
	global_load_dword v5, v[12:13], off sc1
	s_waitcnt vmcnt(0)
	v_cmp_lt_u32_e64 s[24:25], s34, v5
	s_or_b64 s[30:31], s[24:25], s[30:31]
	s_andn2_b64 exec, exec, s[30:31]
	s_cbranch_execnz .LBB191_63
	s_branch .LBB191_58
.LBB191_64:                             ;   in Loop: Header=BB191_60 Depth=1
                                        ; implicit-def: $sgpr35
	s_and_b64 s[28:29], exec, s[24:25]
	s_or_b64 s[26:27], s[28:29], s[26:27]
	s_andn2_b64 exec, exec, s[26:27]
	s_cbranch_execnz .LBB191_60
.LBB191_65:
	s_or_b64 exec, exec, s[26:27]
	v_add_u32_e32 v5, v19, v6
	v_or_b32_e32 v5, 0x80000000, v5
	v_lshlrev_b32_e32 v8, 3, v2
	global_store_dword v[10:11], v5, off sc1
	global_load_dwordx2 v[10:11], v8, s[64:65]
	v_sub_co_u32_e64 v12, s[24:25], v19, v4
	v_mov_b32_e32 v5, 0
	s_nop 0
	v_subb_co_u32_e64 v13, s[24:25], 0, 0, s[24:25]
	v_cmp_gt_u32_e64 s[24:25], s70, v2
	s_waitcnt vmcnt(0)
	v_lshl_add_u64 v[10:11], v[12:13], 0, v[10:11]
	ds_write_b64 v8, v[10:11]
	s_waitcnt lgkmcnt(0)
	s_barrier
	s_and_saveexec_b64 s[28:29], s[24:25]
	s_cbranch_execz .LBB191_67
; %bb.66:
	v_mad_i32_i24 v9, v2, -6, v8
	ds_read_u16 v9, v9 offset:2048
	s_movk_i32 s26, 0x8000
	v_mov_b32_e32 v13, 0x7fff
	v_lshlrev_b32_e32 v12, 1, v2
	s_waitcnt lgkmcnt(0)
	v_cmp_ne_u16_e64 s[26:27], s26, v9
	s_nop 1
	v_cndmask_b32_e64 v10, v13, v9, s[26:27]
	v_lshrrev_b32_sdwa v10, s68, v10 dst_sel:DWORD dst_unused:UNUSED_PAD src0_sel:DWORD src1_sel:WORD_0
	v_and_b32_e32 v10, s74, v10
	v_lshlrev_b32_e32 v10, 3, v10
	ds_read_b64 v[10:11], v10
	v_cmp_gt_i16_e64 s[26:27], 0, v9
	s_waitcnt lgkmcnt(0)
	v_lshl_add_u64 v[10:11], v[10:11], 1, s[58:59]
	v_cndmask_b32_e64 v13, v13, 0, s[26:27]
	v_xor_b32_e32 v9, v13, v9
	v_mov_b32_e32 v13, v5
	v_lshl_add_u64 v[10:11], v[10:11], 0, v[12:13]
	global_store_short v[10:11], v9, off
.LBB191_67:
	s_or_b64 exec, exec, s[28:29]
	v_add_u32_e32 v9, 0x100, v2
	v_cmp_gt_u32_e64 s[26:27], s70, v9
	s_and_saveexec_b64 s[30:31], s[26:27]
	s_cbranch_execz .LBB191_69
; %bb.68:
	v_mad_i32_i24 v9, v2, -6, v8
	ds_read_u16 v9, v9 offset:2560
	s_movk_i32 s28, 0x8000
	v_mov_b32_e32 v13, 0x7fff
	v_lshlrev_b32_e32 v12, 1, v2
	s_waitcnt lgkmcnt(0)
	v_cmp_ne_u16_e64 s[28:29], s28, v9
	s_nop 1
	v_cndmask_b32_e64 v10, v13, v9, s[28:29]
	v_lshrrev_b32_sdwa v10, s68, v10 dst_sel:DWORD dst_unused:UNUSED_PAD src0_sel:DWORD src1_sel:WORD_0
	v_and_b32_e32 v10, s74, v10
	v_lshlrev_b32_e32 v10, 3, v10
	ds_read_b64 v[10:11], v10
	v_cmp_gt_i16_e64 s[28:29], 0, v9
	s_waitcnt lgkmcnt(0)
	v_lshl_add_u64 v[10:11], v[10:11], 1, s[58:59]
	v_cndmask_b32_e64 v13, v13, 0, s[28:29]
	v_xor_b32_e32 v9, v13, v9
	v_mov_b32_e32 v13, 0
	v_lshl_add_u64 v[10:11], v[10:11], 0, v[12:13]
	global_store_short v[10:11], v9, off offset:512
.LBB191_69:
	s_or_b64 exec, exec, s[30:31]
	v_add_u32_e32 v12, 0x200, v2
	v_cmp_gt_u32_e64 s[28:29], s70, v12
	s_and_saveexec_b64 s[34:35], s[28:29]
	s_cbranch_execz .LBB191_71
; %bb.70:
	v_mad_i32_i24 v9, v2, -6, v8
	ds_read_u16 v9, v9 offset:3072
	s_movk_i32 s30, 0x8000
	v_mov_b32_e32 v13, 0x7fff
	v_lshlrev_b32_e32 v30, 1, v2
	v_mov_b32_e32 v31, 0
	s_waitcnt lgkmcnt(0)
	v_cmp_ne_u16_e64 s[30:31], s30, v9
	s_nop 1
	v_cndmask_b32_e64 v10, v13, v9, s[30:31]
	v_lshrrev_b32_sdwa v10, s68, v10 dst_sel:DWORD dst_unused:UNUSED_PAD src0_sel:DWORD src1_sel:WORD_0
	v_and_b32_e32 v10, s74, v10
	v_lshlrev_b32_e32 v10, 3, v10
	ds_read_b64 v[10:11], v10
	v_cmp_gt_i16_e64 s[30:31], 0, v9
	s_waitcnt lgkmcnt(0)
	v_lshl_add_u64 v[10:11], v[10:11], 1, s[58:59]
	v_cndmask_b32_e64 v13, v13, 0, s[30:31]
	v_xor_b32_e32 v9, v13, v9
	v_lshl_add_u64 v[10:11], v[10:11], 0, v[30:31]
	global_store_short v[10:11], v9, off offset:1024
.LBB191_71:
	s_or_b64 exec, exec, s[34:35]
	v_add_u32_e32 v13, 0x300, v2
	v_cmp_gt_u32_e64 s[30:31], s70, v13
	s_and_saveexec_b64 s[36:37], s[30:31]
	s_cbranch_execz .LBB191_73
; %bb.72:
	v_mad_i32_i24 v9, v2, -6, v8
	ds_read_u16 v9, v9 offset:3584
	s_movk_i32 s34, 0x8000
	v_mov_b32_e32 v19, 0x7fff
	v_lshlrev_b32_e32 v30, 1, v2
	v_mov_b32_e32 v31, 0
	s_waitcnt lgkmcnt(0)
	v_cmp_ne_u16_e64 s[34:35], s34, v9
	s_nop 1
	v_cndmask_b32_e64 v10, v19, v9, s[34:35]
	v_lshrrev_b32_sdwa v10, s68, v10 dst_sel:DWORD dst_unused:UNUSED_PAD src0_sel:DWORD src1_sel:WORD_0
	v_and_b32_e32 v10, s74, v10
	v_lshlrev_b32_e32 v10, 3, v10
	ds_read_b64 v[10:11], v10
	v_cmp_gt_i16_e64 s[34:35], 0, v9
	s_waitcnt lgkmcnt(0)
	v_lshl_add_u64 v[10:11], v[10:11], 1, s[58:59]
	v_cndmask_b32_e64 v19, v19, 0, s[34:35]
	v_xor_b32_e32 v9, v19, v9
	v_lshl_add_u64 v[10:11], v[10:11], 0, v[30:31]
	global_store_short v[10:11], v9, off offset:1536
.LBB191_73:
	s_or_b64 exec, exec, s[36:37]
	v_or_b32_e32 v19, 0x400, v2
	v_cmp_gt_u32_e64 s[34:35], s70, v19
	s_and_saveexec_b64 s[38:39], s[34:35]
	s_cbranch_execz .LBB191_75
; %bb.74:
	v_mad_i32_i24 v9, v2, -6, v8
	ds_read_u16 v9, v9 offset:4096
	s_movk_i32 s36, 0x8000
	v_mov_b32_e32 v23, 0x7fff
	v_lshlrev_b32_e32 v30, 1, v2
	v_mov_b32_e32 v31, 0
	s_waitcnt lgkmcnt(0)
	v_cmp_ne_u16_e64 s[36:37], s36, v9
	s_nop 1
	v_cndmask_b32_e64 v10, v23, v9, s[36:37]
	v_lshrrev_b32_sdwa v10, s68, v10 dst_sel:DWORD dst_unused:UNUSED_PAD src0_sel:DWORD src1_sel:WORD_0
	v_and_b32_e32 v10, s74, v10
	v_lshlrev_b32_e32 v10, 3, v10
	ds_read_b64 v[10:11], v10
	v_cmp_gt_i16_e64 s[36:37], 0, v9
	s_waitcnt lgkmcnt(0)
	v_lshl_add_u64 v[10:11], v[10:11], 1, s[58:59]
	v_cndmask_b32_e64 v23, v23, 0, s[36:37]
	v_xor_b32_e32 v9, v23, v9
	v_lshl_add_u64 v[10:11], v[10:11], 0, v[30:31]
	global_store_short v[10:11], v9, off offset:2048
.LBB191_75:
	s_or_b64 exec, exec, s[38:39]
	v_add_u32_e32 v23, 0x500, v2
	v_cmp_gt_u32_e64 s[36:37], s70, v23
	s_and_saveexec_b64 s[40:41], s[36:37]
	s_cbranch_execz .LBB191_77
; %bb.76:
	v_mad_i32_i24 v9, v2, -6, v8
	ds_read_u16 v9, v9 offset:4608
	s_movk_i32 s38, 0x8000
	v_mov_b32_e32 v27, 0x7fff
	v_lshlrev_b32_e32 v30, 1, v2
	v_mov_b32_e32 v31, 0
	s_waitcnt lgkmcnt(0)
	v_cmp_ne_u16_e64 s[38:39], s38, v9
	s_nop 1
	v_cndmask_b32_e64 v10, v27, v9, s[38:39]
	v_lshrrev_b32_sdwa v10, s68, v10 dst_sel:DWORD dst_unused:UNUSED_PAD src0_sel:DWORD src1_sel:WORD_0
	v_and_b32_e32 v10, s74, v10
	v_lshlrev_b32_e32 v10, 3, v10
	ds_read_b64 v[10:11], v10
	v_cmp_gt_i16_e64 s[38:39], 0, v9
	s_waitcnt lgkmcnt(0)
	v_lshl_add_u64 v[10:11], v[10:11], 1, s[58:59]
	v_cndmask_b32_e64 v27, v27, 0, s[38:39]
	v_xor_b32_e32 v9, v27, v9
	v_lshl_add_u64 v[10:11], v[10:11], 0, v[30:31]
	global_store_short v[10:11], v9, off offset:2560
.LBB191_77:
	s_or_b64 exec, exec, s[40:41]
	v_add_u32_e32 v27, 0x600, v2
	;; [unrolled: 28-line block ×3, first 2 shown]
	v_cmp_gt_u32_e64 s[40:41], s70, v29
	s_and_saveexec_b64 s[44:45], s[40:41]
	s_cbranch_execz .LBB191_81
; %bb.80:
	v_lshlrev_b32_e32 v10, 1, v2
	ds_read_u16 v9, v10 offset:5632
	s_movk_i32 s42, 0x8000
	v_mov_b32_e32 v11, 0x7fff
	s_waitcnt lgkmcnt(0)
	v_cmp_ne_u16_e64 s[42:43], s42, v9
	s_nop 1
	v_cndmask_b32_e64 v30, v11, v9, s[42:43]
	v_lshrrev_b32_sdwa v30, s68, v30 dst_sel:DWORD dst_unused:UNUSED_PAD src0_sel:DWORD src1_sel:WORD_0
	v_and_b32_e32 v30, s74, v30
	v_lshlrev_b32_e32 v30, 3, v30
	ds_read_b64 v[30:31], v30
	v_cmp_gt_i16_e64 s[42:43], 0, v9
	s_waitcnt lgkmcnt(0)
	v_lshl_add_u64 v[30:31], v[30:31], 1, s[58:59]
	v_cndmask_b32_e64 v11, v11, 0, s[42:43]
	v_xor_b32_e32 v9, v11, v9
	v_mov_b32_e32 v11, 0
	v_lshl_add_u64 v[10:11], v[30:31], 0, v[10:11]
	global_store_short v[10:11], v9, off offset:3584
.LBB191_81:
	s_or_b64 exec, exec, s[44:45]
	v_or_b32_e32 v30, 0x800, v2
	v_cmp_gt_u32_e64 s[42:43], s70, v30
	s_and_saveexec_b64 s[46:47], s[42:43]
	s_cbranch_execz .LBB191_83
; %bb.82:
	v_lshlrev_b32_e32 v9, 1, v2
	ds_read_u16 v9, v9 offset:6144
	s_movk_i32 s44, 0x8000
	v_mov_b32_e32 v31, 0x7fff
	v_lshlrev_b32_e32 v32, 1, v30
	v_mov_b32_e32 v33, 0
	s_waitcnt lgkmcnt(0)
	v_cmp_ne_u16_e64 s[44:45], s44, v9
	s_nop 1
	v_cndmask_b32_e64 v10, v31, v9, s[44:45]
	v_lshrrev_b32_sdwa v10, s68, v10 dst_sel:DWORD dst_unused:UNUSED_PAD src0_sel:DWORD src1_sel:WORD_0
	v_and_b32_e32 v10, s74, v10
	v_lshlrev_b32_e32 v10, 3, v10
	ds_read_b64 v[10:11], v10
	v_cmp_gt_i16_e64 s[44:45], 0, v9
	s_waitcnt lgkmcnt(0)
	v_lshl_add_u64 v[10:11], v[10:11], 1, s[58:59]
	v_cndmask_b32_e64 v31, v31, 0, s[44:45]
	v_xor_b32_e32 v9, v31, v9
	v_lshl_add_u64 v[10:11], v[10:11], 0, v[32:33]
	global_store_short v[10:11], v9, off
.LBB191_83:
	s_or_b64 exec, exec, s[46:47]
	v_add_u32_e32 v31, 0x900, v2
	v_cmp_gt_u32_e64 s[44:45], s70, v31
	s_and_saveexec_b64 s[48:49], s[44:45]
	s_cbranch_execz .LBB191_85
; %bb.84:
	v_lshlrev_b32_e32 v9, 1, v2
	ds_read_u16 v9, v9 offset:6656
	s_movk_i32 s46, 0x8000
	v_mov_b32_e32 v33, 0x7fff
	v_lshlrev_b32_e32 v32, 1, v31
	s_waitcnt lgkmcnt(0)
	v_cmp_ne_u16_e64 s[46:47], s46, v9
	s_nop 1
	v_cndmask_b32_e64 v10, v33, v9, s[46:47]
	v_lshrrev_b32_sdwa v10, s68, v10 dst_sel:DWORD dst_unused:UNUSED_PAD src0_sel:DWORD src1_sel:WORD_0
	v_and_b32_e32 v10, s74, v10
	v_lshlrev_b32_e32 v10, 3, v10
	ds_read_b64 v[10:11], v10
	v_cmp_gt_i16_e64 s[46:47], 0, v9
	s_waitcnt lgkmcnt(0)
	v_lshl_add_u64 v[10:11], v[10:11], 1, s[58:59]
	v_cndmask_b32_e64 v33, v33, 0, s[46:47]
	v_xor_b32_e32 v9, v33, v9
	v_mov_b32_e32 v33, 0
	v_lshl_add_u64 v[10:11], v[10:11], 0, v[32:33]
	global_store_short v[10:11], v9, off
.LBB191_85:
	s_or_b64 exec, exec, s[48:49]
	v_add_u32_e32 v32, 0xa00, v2
	v_cmp_gt_u32_e64 s[46:47], s70, v32
	s_and_saveexec_b64 s[52:53], s[46:47]
	s_cbranch_execz .LBB191_87
; %bb.86:
	v_lshlrev_b32_e32 v9, 1, v2
	ds_read_u16 v9, v9 offset:7168
	s_movk_i32 s48, 0x8000
	v_mov_b32_e32 v33, 0x7fff
	v_lshlrev_b32_e32 v34, 1, v32
	v_mov_b32_e32 v35, 0
	s_waitcnt lgkmcnt(0)
	v_cmp_ne_u16_e64 s[48:49], s48, v9
	s_nop 1
	v_cndmask_b32_e64 v10, v33, v9, s[48:49]
	v_lshrrev_b32_sdwa v10, s68, v10 dst_sel:DWORD dst_unused:UNUSED_PAD src0_sel:DWORD src1_sel:WORD_0
	v_and_b32_e32 v10, s74, v10
	v_lshlrev_b32_e32 v10, 3, v10
	ds_read_b64 v[10:11], v10
	v_cmp_gt_i16_e64 s[48:49], 0, v9
	s_waitcnt lgkmcnt(0)
	v_lshl_add_u64 v[10:11], v[10:11], 1, s[58:59]
	v_cndmask_b32_e64 v33, v33, 0, s[48:49]
	v_xor_b32_e32 v9, v33, v9
	v_lshl_add_u64 v[10:11], v[10:11], 0, v[34:35]
	global_store_short v[10:11], v9, off
.LBB191_87:
	s_or_b64 exec, exec, s[52:53]
	v_add_u32_e32 v33, 0xb00, v2
	v_cmp_gt_u32_e64 s[48:49], s70, v33
	s_and_saveexec_b64 s[70:71], s[48:49]
	s_cbranch_execz .LBB191_89
; %bb.88:
	v_lshlrev_b32_e32 v9, 1, v2
	ds_read_u16 v9, v9 offset:7680
	s_movk_i32 s52, 0x8000
	v_mov_b32_e32 v35, 0x7fff
	v_lshlrev_b32_e32 v34, 1, v33
	s_waitcnt lgkmcnt(0)
	v_cmp_ne_u16_e64 s[52:53], s52, v9
	s_nop 1
	v_cndmask_b32_e64 v10, v35, v9, s[52:53]
	v_lshrrev_b32_sdwa v10, s68, v10 dst_sel:DWORD dst_unused:UNUSED_PAD src0_sel:DWORD src1_sel:WORD_0
	v_and_b32_e32 v10, s74, v10
	v_lshlrev_b32_e32 v10, 3, v10
	ds_read_b64 v[10:11], v10
	v_cmp_gt_i16_e64 s[52:53], 0, v9
	s_waitcnt lgkmcnt(0)
	v_lshl_add_u64 v[10:11], v[10:11], 1, s[58:59]
	v_cndmask_b32_e64 v35, v35, 0, s[52:53]
	v_xor_b32_e32 v9, v35, v9
	v_mov_b32_e32 v35, 0
	v_lshl_add_u64 v[10:11], v[10:11], 0, v[34:35]
	global_store_short v[10:11], v9, off
.LBB191_89:
	s_or_b64 exec, exec, s[70:71]
	s_lshl_b64 s[52:53], s[54:55], 3
	s_add_u32 s52, s60, s52
	s_addc_u32 s53, s61, s53
	v_lshlrev_b32_e32 v10, 3, v3
	v_mov_b32_e32 v11, 0
	v_lshl_add_u64 v[34:35], s[52:53], 0, v[10:11]
	v_lshlrev_b32_e32 v10, 3, v14
	v_lshl_add_u64 v[10:11], v[34:35], 0, v[10:11]
                                        ; implicit-def: $vgpr42_vgpr43
	s_and_saveexec_b64 s[52:53], vcc
	s_xor_b64 s[52:53], exec, s[52:53]
	s_cbranch_execz .LBB191_101
; %bb.90:
	global_load_dwordx2 v[42:43], v[10:11], off
	s_or_b64 exec, exec, s[52:53]
                                        ; implicit-def: $vgpr44_vgpr45
	s_and_saveexec_b64 s[52:53], s[50:51]
	s_cbranch_execnz .LBB191_102
.LBB191_91:
	s_or_b64 exec, exec, s[52:53]
                                        ; implicit-def: $vgpr46_vgpr47
	s_and_saveexec_b64 s[50:51], s[4:5]
	s_cbranch_execz .LBB191_103
.LBB191_92:
	global_load_dwordx2 v[46:47], v[10:11], off offset:1024
	s_or_b64 exec, exec, s[50:51]
                                        ; implicit-def: $vgpr48_vgpr49
	s_and_saveexec_b64 s[4:5], s[6:7]
	s_cbranch_execnz .LBB191_104
.LBB191_93:
	s_or_b64 exec, exec, s[4:5]
                                        ; implicit-def: $vgpr50_vgpr51
	s_and_saveexec_b64 s[4:5], s[8:9]
	s_cbranch_execz .LBB191_105
.LBB191_94:
	global_load_dwordx2 v[50:51], v[10:11], off offset:2048
	s_or_b64 exec, exec, s[4:5]
                                        ; implicit-def: $vgpr52_vgpr53
	s_and_saveexec_b64 s[4:5], s[12:13]
	s_cbranch_execnz .LBB191_106
.LBB191_95:
	s_or_b64 exec, exec, s[4:5]
                                        ; implicit-def: $vgpr54_vgpr55
	s_and_saveexec_b64 s[4:5], s[16:17]
	s_cbranch_execz .LBB191_107
.LBB191_96:
	global_load_dwordx2 v[54:55], v[10:11], off offset:3072
	s_or_b64 exec, exec, s[4:5]
                                        ; implicit-def: $vgpr56_vgpr57
	s_and_saveexec_b64 s[4:5], s[20:21]
	s_cbranch_execnz .LBB191_108
.LBB191_97:
	s_or_b64 exec, exec, s[4:5]
                                        ; implicit-def: $vgpr58_vgpr59
	s_and_saveexec_b64 s[4:5], s[22:23]
	s_cbranch_execz .LBB191_109
.LBB191_98:
	v_add_co_u32_e32 v34, vcc, 0x1000, v10
	s_nop 1
	v_addc_co_u32_e32 v35, vcc, 0, v11, vcc
	global_load_dwordx2 v[58:59], v[34:35], off
	s_or_b64 exec, exec, s[4:5]
                                        ; implicit-def: $vgpr60_vgpr61
	s_and_saveexec_b64 s[4:5], s[18:19]
	s_cbranch_execnz .LBB191_110
.LBB191_99:
	s_or_b64 exec, exec, s[4:5]
                                        ; implicit-def: $vgpr62_vgpr63
	s_and_saveexec_b64 s[4:5], s[14:15]
	s_cbranch_execz .LBB191_111
.LBB191_100:
	v_add_co_u32_e32 v34, vcc, 0x1000, v10
	s_nop 1
	v_addc_co_u32_e32 v35, vcc, 0, v11, vcc
	global_load_dwordx2 v[62:63], v[34:35], off offset:1024
	s_or_b64 exec, exec, s[4:5]
                                        ; implicit-def: $vgpr64_vgpr65
	s_and_saveexec_b64 s[4:5], s[10:11]
	s_cbranch_execnz .LBB191_112
	s_branch .LBB191_113
.LBB191_101:
	s_or_b64 exec, exec, s[52:53]
                                        ; implicit-def: $vgpr44_vgpr45
	s_and_saveexec_b64 s[52:53], s[50:51]
	s_cbranch_execz .LBB191_91
.LBB191_102:
	global_load_dwordx2 v[44:45], v[10:11], off offset:512
	s_or_b64 exec, exec, s[52:53]
                                        ; implicit-def: $vgpr46_vgpr47
	s_and_saveexec_b64 s[50:51], s[4:5]
	s_cbranch_execnz .LBB191_92
.LBB191_103:
	s_or_b64 exec, exec, s[50:51]
                                        ; implicit-def: $vgpr48_vgpr49
	s_and_saveexec_b64 s[4:5], s[6:7]
	s_cbranch_execz .LBB191_93
.LBB191_104:
	global_load_dwordx2 v[48:49], v[10:11], off offset:1536
	s_or_b64 exec, exec, s[4:5]
                                        ; implicit-def: $vgpr50_vgpr51
	s_and_saveexec_b64 s[4:5], s[8:9]
	s_cbranch_execnz .LBB191_94
.LBB191_105:
	s_or_b64 exec, exec, s[4:5]
                                        ; implicit-def: $vgpr52_vgpr53
	s_and_saveexec_b64 s[4:5], s[12:13]
	s_cbranch_execz .LBB191_95
.LBB191_106:
	global_load_dwordx2 v[52:53], v[10:11], off offset:2560
	s_or_b64 exec, exec, s[4:5]
                                        ; implicit-def: $vgpr54_vgpr55
	s_and_saveexec_b64 s[4:5], s[16:17]
	s_cbranch_execnz .LBB191_96
.LBB191_107:
	s_or_b64 exec, exec, s[4:5]
                                        ; implicit-def: $vgpr56_vgpr57
	s_and_saveexec_b64 s[4:5], s[20:21]
	s_cbranch_execz .LBB191_97
.LBB191_108:
	global_load_dwordx2 v[56:57], v[10:11], off offset:3584
	s_or_b64 exec, exec, s[4:5]
                                        ; implicit-def: $vgpr58_vgpr59
	s_and_saveexec_b64 s[4:5], s[22:23]
	s_cbranch_execnz .LBB191_98
.LBB191_109:
	s_or_b64 exec, exec, s[4:5]
                                        ; implicit-def: $vgpr60_vgpr61
	s_and_saveexec_b64 s[4:5], s[18:19]
	s_cbranch_execz .LBB191_99
.LBB191_110:
	v_add_co_u32_e32 v34, vcc, 0x1000, v10
	s_nop 1
	v_addc_co_u32_e32 v35, vcc, 0, v11, vcc
	global_load_dwordx2 v[60:61], v[34:35], off offset:512
	s_or_b64 exec, exec, s[4:5]
                                        ; implicit-def: $vgpr62_vgpr63
	s_and_saveexec_b64 s[4:5], s[14:15]
	s_cbranch_execnz .LBB191_100
.LBB191_111:
	s_or_b64 exec, exec, s[4:5]
                                        ; implicit-def: $vgpr64_vgpr65
	s_and_saveexec_b64 s[4:5], s[10:11]
	s_cbranch_execz .LBB191_113
.LBB191_112:
	v_add_co_u32_e32 v10, vcc, 0x1000, v10
	s_nop 1
	v_addc_co_u32_e32 v11, vcc, 0, v11, vcc
	global_load_dwordx2 v[64:65], v[10:11], off offset:1536
.LBB191_113:
	s_or_b64 exec, exec, s[4:5]
	v_mov_b32_e32 v3, 0
	v_mov_b32_e32 v9, 0
	s_and_saveexec_b64 s[4:5], s[24:25]
	s_cbranch_execz .LBB191_115
; %bb.114:
	v_lshlrev_b32_e32 v9, 1, v2
	ds_read_u16 v9, v9 offset:2048
	s_movk_i32 s6, 0x8000
	v_mov_b32_e32 v10, 0x7fff
	s_waitcnt lgkmcnt(0)
	v_cmp_ne_u16_e32 vcc, s6, v9
	s_nop 1
	v_cndmask_b32_e32 v9, v10, v9, vcc
	v_lshrrev_b32_sdwa v9, s68, v9 dst_sel:DWORD dst_unused:UNUSED_PAD src0_sel:DWORD src1_sel:WORD_0
	v_and_b32_e32 v9, s74, v9
.LBB191_115:
	s_or_b64 exec, exec, s[4:5]
	s_and_saveexec_b64 s[4:5], s[26:27]
	s_cbranch_execz .LBB191_117
; %bb.116:
	v_lshlrev_b32_e32 v3, 1, v2
	ds_read_u16 v3, v3 offset:2560
	s_movk_i32 s6, 0x8000
	v_mov_b32_e32 v10, 0x7fff
	s_waitcnt lgkmcnt(0)
	v_cmp_ne_u16_e32 vcc, s6, v3
	s_nop 1
	v_cndmask_b32_e32 v3, v10, v3, vcc
	v_lshrrev_b32_sdwa v3, s68, v3 dst_sel:DWORD dst_unused:UNUSED_PAD src0_sel:DWORD src1_sel:WORD_0
	v_and_b32_e32 v3, s74, v3
.LBB191_117:
	s_or_b64 exec, exec, s[4:5]
	v_mov_b32_e32 v10, 0
	v_mov_b32_e32 v36, 0
	s_and_saveexec_b64 s[4:5], s[28:29]
	s_cbranch_execz .LBB191_119
; %bb.118:
	v_lshlrev_b32_e32 v11, 1, v2
	ds_read_u16 v11, v11 offset:3072
	s_movk_i32 s6, 0x8000
	v_mov_b32_e32 v14, 0x7fff
	s_waitcnt lgkmcnt(0)
	v_cmp_ne_u16_e32 vcc, s6, v11
	s_nop 1
	v_cndmask_b32_e32 v11, v14, v11, vcc
	v_lshrrev_b32_sdwa v11, s68, v11 dst_sel:DWORD dst_unused:UNUSED_PAD src0_sel:DWORD src1_sel:WORD_0
	v_and_b32_e32 v36, s74, v11
.LBB191_119:
	s_or_b64 exec, exec, s[4:5]
	s_and_saveexec_b64 s[4:5], s[30:31]
	s_cbranch_execz .LBB191_121
; %bb.120:
	v_lshlrev_b32_e32 v10, 1, v2
	ds_read_u16 v10, v10 offset:3584
	s_movk_i32 s6, 0x8000
	v_mov_b32_e32 v11, 0x7fff
	s_waitcnt lgkmcnt(0)
	v_cmp_ne_u16_e32 vcc, s6, v10
	s_nop 1
	v_cndmask_b32_e32 v10, v11, v10, vcc
	v_lshrrev_b32_sdwa v10, s68, v10 dst_sel:DWORD dst_unused:UNUSED_PAD src0_sel:DWORD src1_sel:WORD_0
	v_and_b32_e32 v10, s74, v10
.LBB191_121:
	;; [unrolled: 32-line block ×6, first 2 shown]
	s_or_b64 exec, exec, s[4:5]
	v_lshlrev_b32_e32 v2, 3, v28
	s_barrier
	s_waitcnt vmcnt(0)
	ds_write_b64 v2, v[42:43] offset:2048
	v_lshlrev_b32_e32 v2, 3, v26
	ds_write_b64 v2, v[44:45] offset:2048
	v_lshlrev_b32_e32 v2, 3, v25
	;; [unrolled: 2-line block ×11, first 2 shown]
	ds_write_b64 v2, v[64:65] offset:2048
	s_waitcnt lgkmcnt(0)
	s_barrier
	s_and_saveexec_b64 s[4:5], s[24:25]
	s_cbranch_execz .LBB191_196
; %bb.138:
	v_lshlrev_b32_e32 v2, 3, v9
	ds_read_b64 v[16:17], v2
	ds_read_b64 v[20:21], v8 offset:2048
	v_mov_b32_e32 v9, 0
	s_waitcnt lgkmcnt(1)
	v_lshl_add_u64 v[16:17], v[16:17], 3, s[62:63]
	v_lshl_add_u64 v[16:17], v[16:17], 0, v[8:9]
	s_waitcnt lgkmcnt(0)
	global_store_dwordx2 v[16:17], v[20:21], off
	s_or_b64 exec, exec, s[4:5]
	s_and_saveexec_b64 s[4:5], s[26:27]
	s_cbranch_execnz .LBB191_197
.LBB191_139:
	s_or_b64 exec, exec, s[4:5]
	s_and_saveexec_b64 s[4:5], s[28:29]
	s_cbranch_execz .LBB191_198
.LBB191_140:
	v_lshlrev_b32_e32 v2, 3, v36
	ds_read_b64 v[2:3], v2
	ds_read_b64 v[16:17], v8 offset:6144
	v_lshlrev_b32_e32 v20, 3, v12
	v_mov_b32_e32 v21, 0
	s_waitcnt lgkmcnt(1)
	v_lshl_add_u64 v[2:3], v[2:3], 3, s[62:63]
	v_lshl_add_u64 v[2:3], v[2:3], 0, v[20:21]
	s_waitcnt lgkmcnt(0)
	global_store_dwordx2 v[2:3], v[16:17], off
	s_or_b64 exec, exec, s[4:5]
	s_and_saveexec_b64 s[4:5], s[30:31]
	s_cbranch_execnz .LBB191_199
.LBB191_141:
	s_or_b64 exec, exec, s[4:5]
	s_and_saveexec_b64 s[4:5], s[34:35]
	s_cbranch_execz .LBB191_200
.LBB191_142:
	v_lshlrev_b32_e32 v2, 3, v37
	ds_read_b64 v[2:3], v2
	ds_read_b64 v[12:13], v8 offset:10240
	v_lshlrev_b32_e32 v16, 3, v19
	v_mov_b32_e32 v17, 0
	s_waitcnt lgkmcnt(1)
	v_lshl_add_u64 v[2:3], v[2:3], 3, s[62:63]
	v_lshl_add_u64 v[2:3], v[2:3], 0, v[16:17]
	s_waitcnt lgkmcnt(0)
	global_store_dwordx2 v[2:3], v[12:13], off
	s_or_b64 exec, exec, s[4:5]
	s_and_saveexec_b64 s[4:5], s[36:37]
	s_cbranch_execnz .LBB191_201
.LBB191_143:
	s_or_b64 exec, exec, s[4:5]
	s_and_saveexec_b64 s[4:5], s[38:39]
	s_cbranch_execz .LBB191_202
.LBB191_144:
	v_lshlrev_b32_e32 v2, 3, v38
	ds_read_b64 v[2:3], v2
	ds_read_b64 v[10:11], v8 offset:14336
	v_lshlrev_b32_e32 v12, 3, v27
	v_mov_b32_e32 v13, 0
	s_waitcnt lgkmcnt(1)
	v_lshl_add_u64 v[2:3], v[2:3], 3, s[62:63]
	v_lshl_add_u64 v[2:3], v[2:3], 0, v[12:13]
	s_waitcnt lgkmcnt(0)
	global_store_dwordx2 v[2:3], v[10:11], off
	s_or_b64 exec, exec, s[4:5]
	s_and_saveexec_b64 s[4:5], s[40:41]
	s_cbranch_execnz .LBB191_203
.LBB191_145:
	s_or_b64 exec, exec, s[4:5]
	s_and_saveexec_b64 s[4:5], s[42:43]
	s_cbranch_execz .LBB191_204
.LBB191_146:
	v_lshlrev_b32_e32 v2, 3, v39
	ds_read_b64 v[2:3], v2
	ds_read_b64 v[10:11], v8 offset:18432
	v_lshlrev_b32_e32 v12, 3, v30
	v_mov_b32_e32 v13, 0
	s_waitcnt lgkmcnt(1)
	v_lshl_add_u64 v[2:3], v[2:3], 3, s[62:63]
	v_lshl_add_u64 v[2:3], v[2:3], 0, v[12:13]
	s_waitcnt lgkmcnt(0)
	global_store_dwordx2 v[2:3], v[10:11], off
	s_or_b64 exec, exec, s[4:5]
	s_and_saveexec_b64 s[4:5], s[44:45]
	s_cbranch_execnz .LBB191_205
.LBB191_147:
	s_or_b64 exec, exec, s[4:5]
	s_and_saveexec_b64 s[4:5], s[46:47]
	s_cbranch_execz .LBB191_206
.LBB191_148:
	v_lshlrev_b32_e32 v2, 3, v40
	ds_read_b64 v[2:3], v2
	ds_read_b64 v[10:11], v8 offset:22528
	v_lshlrev_b32_e32 v12, 3, v32
	v_mov_b32_e32 v13, 0
	s_waitcnt lgkmcnt(1)
	v_lshl_add_u64 v[2:3], v[2:3], 3, s[62:63]
	v_lshl_add_u64 v[2:3], v[2:3], 0, v[12:13]
	s_waitcnt lgkmcnt(0)
	global_store_dwordx2 v[2:3], v[10:11], off
	s_or_b64 exec, exec, s[4:5]
	s_and_saveexec_b64 s[4:5], s[48:49]
	s_cbranch_execnz .LBB191_207
.LBB191_149:
	s_or_b64 exec, exec, s[4:5]
	s_add_i32 s33, s33, -1
	s_cmp_eq_u32 s2, s33
	s_cbranch_scc0 .LBB191_151
.LBB191_150:
	ds_read_b64 v[2:3], v8
	v_mov_b32_e32 v7, 0
	v_lshl_add_u64 v[4:5], v[6:7], 0, v[4:5]
	s_waitcnt lgkmcnt(0)
	v_lshl_add_u64 v[2:3], v[4:5], 0, v[2:3]
	global_store_dwordx2 v8, v[2:3], s[66:67]
.LBB191_151:
	s_mov_b64 s[4:5], 0
.LBB191_152:
	s_and_b64 vcc, exec, s[4:5]
	s_cbranch_vccz .LBB191_195
; %bb.153:
	s_mov_b32 s55, 0
	s_lshl_b64 s[4:5], s[54:55], 1
	s_add_u32 s4, s56, s4
	v_mbcnt_hi_u32_b32 v12, -1, v1
	s_addc_u32 s5, s57, s5
	v_and_b32_e32 v7, 0xc0, v0
	v_mov_b32_e32 v5, 0
	v_lshlrev_b32_e32 v4, 1, v12
	v_mul_u32_u24_e32 v3, 12, v7
	v_lshl_add_u64 v[8:9], s[4:5], 0, v[4:5]
	s_load_dword s10, s[0:1], 0x50
	s_load_dword s4, s[0:1], 0x5c
	v_lshlrev_b32_e32 v4, 1, v3
	v_lshl_add_u64 v[8:9], v[8:9], 0, v[4:5]
	global_load_ushort v1, v[8:9], off
	s_add_u32 s0, s0, 0x50
	s_addc_u32 s1, s1, 0
	s_waitcnt lgkmcnt(0)
	s_lshr_b32 s4, s4, 16
	s_cmp_lt_u32 s2, s10
	s_cselect_b32 s5, 12, 18
	s_add_u32 s0, s0, s5
	s_addc_u32 s1, s1, 0
	global_load_ushort v4, v5, s[0:1]
	v_and_b32_e32 v2, 0x3ff, v0
	v_mul_u32_u24_e32 v6, 20, v2
	ds_write2_b32 v6, v5, v5 offset0:4 offset1:5
	ds_write2_b32 v6, v5, v5 offset0:6 offset1:7
	ds_write_b32 v6, v5 offset:32
	global_load_ushort v11, v[8:9], off offset:128
	global_load_ushort v16, v[8:9], off offset:256
	;; [unrolled: 1-line block ×11, first 2 shown]
	v_mov_b32_e32 v13, 0x7fff
	s_movk_i32 s12, 0x8000
	v_bfe_u32 v10, v0, 10, 10
	v_bfe_u32 v15, v0, 20, 10
	v_mad_u32_u24 v9, v15, s4, v10
	s_lshl_b32 s4, -1, s69
	v_mov_b32_e32 v0, v5
	v_mov_b32_e32 v14, v5
	s_not_b32 s11, s4
	v_mov_b32_e32 v22, v5
	v_mov_b32_e32 v28, v5
	s_waitcnt lgkmcnt(0)
	s_barrier
	s_waitcnt vmcnt(12)
	; wave barrier
	v_cmp_gt_i16_e32 vcc, 0, v1
	s_nop 1
	v_cndmask_b32_e64 v8, v13, 0, vcc
	v_xor_b32_e32 v8, v8, v1
	v_cmp_ne_u16_e32 vcc, s12, v8
	s_waitcnt vmcnt(11)
	v_mad_u64_u32 v[32:33], s[0:1], v9, v4, v[2:3]
	v_cndmask_b32_e32 v1, v13, v8, vcc
	v_lshrrev_b32_sdwa v1, s68, v1 dst_sel:DWORD dst_unused:UNUSED_PAD src0_sel:DWORD src1_sel:WORD_0
	v_bitop3_b32 v10, v1, s4, v1 bitop3:0x30
	v_and_b32_e32 v4, 1, v10
	v_lshlrev_b32_e32 v1, 30, v10
	v_lshrrev_b32_e32 v9, 6, v32
	v_lshlrev_b32_e32 v15, 29, v10
	v_lshl_add_u64 v[32:33], v[4:5], 0, -1
	v_cmp_ne_u32_e32 vcc, 0, v4
	v_cmp_gt_i64_e64 s[0:1], 0, v[0:1]
	v_not_b32_e32 v0, v1
	v_lshlrev_b32_e32 v23, 28, v10
	v_cmp_gt_i64_e64 s[4:5], 0, v[14:15]
	v_not_b32_e32 v1, v15
	v_xor_b32_e32 v15, vcc_lo, v32
	v_ashrrev_i32_e32 v0, 31, v0
	v_not_b32_e32 v4, v23
	v_ashrrev_i32_e32 v1, 31, v1
	v_and_b32_e32 v15, exec_lo, v15
	v_xor_b32_e32 v17, s1, v0
	v_xor_b32_e32 v0, s0, v0
	v_cmp_gt_i64_e64 s[6:7], 0, v[22:23]
	v_xor_b32_e32 v14, vcc_hi, v33
	v_ashrrev_i32_e32 v4, 31, v4
	v_xor_b32_e32 v18, s5, v1
	v_xor_b32_e32 v1, s4, v1
	v_and_b32_e32 v0, v15, v0
	v_lshlrev_b32_e32 v29, 27, v10
	v_and_b32_e32 v14, exec_hi, v14
	v_xor_b32_e32 v22, s7, v4
	v_xor_b32_e32 v4, s6, v4
	v_and_b32_e32 v0, v0, v1
	v_and_b32_e32 v14, v14, v17
	;; [unrolled: 1-line block ×3, first 2 shown]
	v_not_b32_e32 v4, v29
	v_cmp_gt_i64_e64 s[8:9], 0, v[28:29]
	v_and_b32_e32 v14, v14, v18
	v_ashrrev_i32_e32 v4, 31, v4
	v_and_b32_e32 v1, v14, v22
	v_xor_b32_e32 v14, s9, v4
	v_xor_b32_e32 v4, s8, v4
	v_and_b32_e32 v14, v1, v14
	v_and_b32_e32 v4, v0, v4
	v_lshlrev_b32_e32 v1, 26, v10
	v_mov_b32_e32 v0, v5
	v_cmp_gt_i64_e32 vcc, 0, v[0:1]
	v_not_b32_e32 v0, v1
	v_ashrrev_i32_e32 v0, 31, v0
	v_xor_b32_e32 v1, vcc_hi, v0
	v_xor_b32_e32 v0, vcc_lo, v0
	v_and_b32_e32 v14, v14, v1
	v_and_b32_e32 v4, v4, v0
	v_lshlrev_b32_e32 v1, 25, v10
	v_mov_b32_e32 v0, v5
	v_cmp_gt_i64_e32 vcc, 0, v[0:1]
	v_not_b32_e32 v0, v1
	v_ashrrev_i32_e32 v0, 31, v0
	v_xor_b32_e32 v1, vcc_hi, v0
	v_xor_b32_e32 v0, vcc_lo, v0
	;; [unrolled: 9-line block ×3, first 2 shown]
	v_and_b32_e32 v0, v4, v0
	v_lshlrev_b32_e32 v20, 2, v9
	v_and_b32_e32 v1, v14, v1
	v_mbcnt_lo_u32_b32 v4, v0, 0
	v_mad_u32_u24 v9, v10, 20, v20
	v_mbcnt_hi_u32_b32 v10, v1, v4
	v_cmp_eq_u32_e32 vcc, 0, v10
	v_cmp_ne_u64_e64 s[0:1], 0, v[0:1]
	s_and_b64 s[4:5], s[0:1], vcc
	s_and_saveexec_b64 s[0:1], s[4:5]
; %bb.154:
	v_bcnt_u32_b32 v0, v0, 0
	v_bcnt_u32_b32 v0, v1, v0
	ds_write_b32 v9, v0 offset:16
; %bb.155:
	s_or_b64 exec, exec, s[0:1]
	s_waitcnt vmcnt(10)
	v_cmp_gt_i16_e32 vcc, 0, v11
	; wave barrier
	s_nop 1
	v_cndmask_b32_e64 v0, v13, 0, vcc
	v_xor_b32_e32 v11, v0, v11
	v_cmp_ne_u16_e32 vcc, s12, v11
	s_nop 1
	v_cndmask_b32_e32 v0, v13, v11, vcc
	v_lshrrev_b32_sdwa v0, s68, v0 dst_sel:DWORD dst_unused:UNUSED_PAD src0_sel:DWORD src1_sel:WORD_0
	v_and_b32_e32 v15, s11, v0
	v_and_b32_e32 v4, 1, v15
	v_lshl_add_u64 v[0:1], v[4:5], 0, -1
	v_cmp_ne_u32_e32 vcc, 0, v4
	v_mad_u32_u24 v14, v15, 20, v20
	ds_read_b32 v13, v14 offset:16
	v_xor_b32_e32 v1, vcc_hi, v1
	v_xor_b32_e32 v0, vcc_lo, v0
	v_and_b32_e32 v4, exec_hi, v1
	v_and_b32_e32 v17, exec_lo, v0
	v_lshlrev_b32_e32 v1, 30, v15
	v_mov_b32_e32 v0, v5
	v_cmp_gt_i64_e32 vcc, 0, v[0:1]
	v_not_b32_e32 v0, v1
	v_ashrrev_i32_e32 v0, 31, v0
	v_xor_b32_e32 v1, vcc_hi, v0
	v_xor_b32_e32 v0, vcc_lo, v0
	v_and_b32_e32 v4, v4, v1
	v_and_b32_e32 v17, v17, v0
	v_lshlrev_b32_e32 v1, 29, v15
	v_mov_b32_e32 v0, v5
	v_cmp_gt_i64_e32 vcc, 0, v[0:1]
	v_not_b32_e32 v0, v1
	v_ashrrev_i32_e32 v0, 31, v0
	v_xor_b32_e32 v1, vcc_hi, v0
	v_xor_b32_e32 v0, vcc_lo, v0
	v_and_b32_e32 v4, v4, v1
	v_and_b32_e32 v17, v17, v0
	;; [unrolled: 9-line block ×7, first 2 shown]
	v_mbcnt_lo_u32_b32 v4, v0, 0
	v_mbcnt_hi_u32_b32 v15, v1, v4
	v_cmp_eq_u32_e32 vcc, 0, v15
	v_cmp_ne_u64_e64 s[0:1], 0, v[0:1]
	s_and_b64 s[4:5], s[0:1], vcc
	; wave barrier
	s_and_saveexec_b64 s[0:1], s[4:5]
	s_cbranch_execz .LBB191_157
; %bb.156:
	v_bcnt_u32_b32 v0, v0, 0
	v_bcnt_u32_b32 v0, v1, v0
	s_waitcnt lgkmcnt(0)
	v_add_u32_e32 v0, v13, v0
	ds_write_b32 v14, v0 offset:16
.LBB191_157:
	s_or_b64 exec, exec, s[0:1]
	v_mov_b32_e32 v23, 0x7fff
	s_waitcnt vmcnt(9)
	v_cmp_gt_i16_e32 vcc, 0, v16
	s_movk_i32 s4, 0x8000
	v_mov_b32_e32 v1, 0
	v_cndmask_b32_e64 v0, v23, 0, vcc
	v_xor_b32_e32 v16, v0, v16
	v_cmp_ne_u16_e32 vcc, s4, v16
	; wave barrier
	s_nop 1
	v_cndmask_b32_e32 v0, v23, v16, vcc
	v_lshrrev_b32_sdwa v0, s68, v0 dst_sel:DWORD dst_unused:UNUSED_PAD src0_sel:DWORD src1_sel:WORD_0
	v_and_b32_e32 v22, s11, v0
	v_and_b32_e32 v0, 1, v22
	v_lshl_add_u64 v[4:5], v[0:1], 0, -1
	v_cmp_ne_u32_e32 vcc, 0, v0
	v_mad_u32_u24 v18, v22, 20, v20
	ds_read_b32 v17, v18 offset:16
	v_xor_b32_e32 v4, vcc_lo, v4
	v_xor_b32_e32 v0, vcc_hi, v5
	v_and_b32_e32 v24, exec_lo, v4
	v_lshlrev_b32_e32 v5, 30, v22
	v_mov_b32_e32 v4, v1
	v_cmp_gt_i64_e32 vcc, 0, v[4:5]
	v_not_b32_e32 v4, v5
	v_ashrrev_i32_e32 v4, 31, v4
	v_and_b32_e32 v0, exec_hi, v0
	v_xor_b32_e32 v5, vcc_hi, v4
	v_xor_b32_e32 v4, vcc_lo, v4
	v_and_b32_e32 v0, v0, v5
	v_and_b32_e32 v24, v24, v4
	v_lshlrev_b32_e32 v5, 29, v22
	v_mov_b32_e32 v4, v1
	v_cmp_gt_i64_e32 vcc, 0, v[4:5]
	v_not_b32_e32 v4, v5
	v_ashrrev_i32_e32 v4, 31, v4
	v_xor_b32_e32 v5, vcc_hi, v4
	v_xor_b32_e32 v4, vcc_lo, v4
	v_and_b32_e32 v0, v0, v5
	v_and_b32_e32 v24, v24, v4
	v_lshlrev_b32_e32 v5, 28, v22
	v_mov_b32_e32 v4, v1
	v_cmp_gt_i64_e32 vcc, 0, v[4:5]
	v_not_b32_e32 v4, v5
	v_ashrrev_i32_e32 v4, 31, v4
	;; [unrolled: 9-line block ×6, first 2 shown]
	v_xor_b32_e32 v5, vcc_hi, v4
	v_xor_b32_e32 v4, vcc_lo, v4
	v_and_b32_e32 v4, v24, v4
	v_and_b32_e32 v5, v0, v5
	v_mbcnt_lo_u32_b32 v0, v4, 0
	v_mbcnt_hi_u32_b32 v22, v5, v0
	v_cmp_eq_u32_e32 vcc, 0, v22
	v_cmp_ne_u64_e64 s[0:1], 0, v[4:5]
	s_and_b64 s[6:7], s[0:1], vcc
	; wave barrier
	s_and_saveexec_b64 s[0:1], s[6:7]
	s_cbranch_execz .LBB191_159
; %bb.158:
	v_bcnt_u32_b32 v0, v4, 0
	v_bcnt_u32_b32 v0, v5, v0
	s_waitcnt lgkmcnt(0)
	v_add_u32_e32 v0, v17, v0
	ds_write_b32 v18, v0 offset:16
.LBB191_159:
	s_or_b64 exec, exec, s[0:1]
	s_waitcnt vmcnt(8)
	v_cmp_gt_i16_e32 vcc, 0, v21
	; wave barrier
	s_nop 1
	v_cndmask_b32_e64 v0, v23, 0, vcc
	v_xor_b32_e32 v21, v0, v21
	v_cmp_ne_u16_e32 vcc, s4, v21
	s_nop 1
	v_cndmask_b32_e32 v0, v23, v21, vcc
	v_lshrrev_b32_sdwa v0, s68, v0 dst_sel:DWORD dst_unused:UNUSED_PAD src0_sel:DWORD src1_sel:WORD_0
	v_and_b32_e32 v27, s11, v0
	v_and_b32_e32 v0, 1, v27
	v_lshl_add_u64 v[4:5], v[0:1], 0, -1
	v_cmp_ne_u32_e32 vcc, 0, v0
	v_mad_u32_u24 v24, v27, 20, v20
	ds_read_b32 v23, v24 offset:16
	v_xor_b32_e32 v4, vcc_lo, v4
	v_xor_b32_e32 v0, vcc_hi, v5
	v_and_b32_e32 v28, exec_lo, v4
	v_lshlrev_b32_e32 v5, 30, v27
	v_mov_b32_e32 v4, v1
	v_cmp_gt_i64_e32 vcc, 0, v[4:5]
	v_not_b32_e32 v4, v5
	v_ashrrev_i32_e32 v4, 31, v4
	v_and_b32_e32 v0, exec_hi, v0
	v_xor_b32_e32 v5, vcc_hi, v4
	v_xor_b32_e32 v4, vcc_lo, v4
	v_and_b32_e32 v0, v0, v5
	v_and_b32_e32 v28, v28, v4
	v_lshlrev_b32_e32 v5, 29, v27
	v_mov_b32_e32 v4, v1
	v_cmp_gt_i64_e32 vcc, 0, v[4:5]
	v_not_b32_e32 v4, v5
	v_ashrrev_i32_e32 v4, 31, v4
	v_xor_b32_e32 v5, vcc_hi, v4
	v_xor_b32_e32 v4, vcc_lo, v4
	v_and_b32_e32 v0, v0, v5
	v_and_b32_e32 v28, v28, v4
	v_lshlrev_b32_e32 v5, 28, v27
	v_mov_b32_e32 v4, v1
	v_cmp_gt_i64_e32 vcc, 0, v[4:5]
	v_not_b32_e32 v4, v5
	v_ashrrev_i32_e32 v4, 31, v4
	;; [unrolled: 9-line block ×5, first 2 shown]
	v_xor_b32_e32 v5, vcc_hi, v4
	v_xor_b32_e32 v4, vcc_lo, v4
	v_and_b32_e32 v0, v0, v5
	v_lshlrev_b32_e32 v5, 24, v27
	v_and_b32_e32 v28, v28, v4
	v_mov_b32_e32 v4, v1
	v_not_b32_e32 v1, v5
	v_cmp_gt_i64_e32 vcc, 0, v[4:5]
	v_ashrrev_i32_e32 v1, 31, v1
	s_nop 0
	v_xor_b32_e32 v4, vcc_hi, v1
	v_xor_b32_e32 v5, vcc_lo, v1
	v_and_b32_e32 v1, v0, v4
	v_and_b32_e32 v0, v28, v5
	v_mbcnt_lo_u32_b32 v4, v0, 0
	v_mbcnt_hi_u32_b32 v27, v1, v4
	v_cmp_eq_u32_e32 vcc, 0, v27
	v_cmp_ne_u64_e64 s[0:1], 0, v[0:1]
	s_and_b64 s[4:5], s[0:1], vcc
	; wave barrier
	s_and_saveexec_b64 s[0:1], s[4:5]
	s_cbranch_execz .LBB191_161
; %bb.160:
	v_bcnt_u32_b32 v0, v0, 0
	v_bcnt_u32_b32 v0, v1, v0
	s_waitcnt lgkmcnt(0)
	v_add_u32_e32 v0, v23, v0
	ds_write_b32 v24, v0 offset:16
.LBB191_161:
	s_or_b64 exec, exec, s[0:1]
	v_mov_b32_e32 v33, 0x7fff
	s_waitcnt vmcnt(7)
	v_cmp_gt_i16_e32 vcc, 0, v26
	s_movk_i32 s4, 0x8000
	v_mov_b32_e32 v1, 0
	v_cndmask_b32_e64 v0, v33, 0, vcc
	v_xor_b32_e32 v26, v0, v26
	v_cmp_ne_u16_e32 vcc, s4, v26
	; wave barrier
	s_nop 1
	v_cndmask_b32_e32 v0, v33, v26, vcc
	v_lshrrev_b32_sdwa v0, s68, v0 dst_sel:DWORD dst_unused:UNUSED_PAD src0_sel:DWORD src1_sel:WORD_0
	v_and_b32_e32 v32, s11, v0
	v_and_b32_e32 v0, 1, v32
	v_lshl_add_u64 v[4:5], v[0:1], 0, -1
	v_cmp_ne_u32_e32 vcc, 0, v0
	v_mad_u32_u24 v29, v32, 20, v20
	ds_read_b32 v28, v29 offset:16
	v_xor_b32_e32 v4, vcc_lo, v4
	v_xor_b32_e32 v0, vcc_hi, v5
	v_and_b32_e32 v34, exec_lo, v4
	v_lshlrev_b32_e32 v5, 30, v32
	v_mov_b32_e32 v4, v1
	v_cmp_gt_i64_e32 vcc, 0, v[4:5]
	v_not_b32_e32 v4, v5
	v_ashrrev_i32_e32 v4, 31, v4
	v_and_b32_e32 v0, exec_hi, v0
	v_xor_b32_e32 v5, vcc_hi, v4
	v_xor_b32_e32 v4, vcc_lo, v4
	v_and_b32_e32 v0, v0, v5
	v_and_b32_e32 v34, v34, v4
	v_lshlrev_b32_e32 v5, 29, v32
	v_mov_b32_e32 v4, v1
	v_cmp_gt_i64_e32 vcc, 0, v[4:5]
	v_not_b32_e32 v4, v5
	v_ashrrev_i32_e32 v4, 31, v4
	v_xor_b32_e32 v5, vcc_hi, v4
	v_xor_b32_e32 v4, vcc_lo, v4
	v_and_b32_e32 v0, v0, v5
	v_and_b32_e32 v34, v34, v4
	v_lshlrev_b32_e32 v5, 28, v32
	v_mov_b32_e32 v4, v1
	v_cmp_gt_i64_e32 vcc, 0, v[4:5]
	v_not_b32_e32 v4, v5
	v_ashrrev_i32_e32 v4, 31, v4
	;; [unrolled: 9-line block ×6, first 2 shown]
	v_xor_b32_e32 v5, vcc_hi, v4
	v_xor_b32_e32 v4, vcc_lo, v4
	v_and_b32_e32 v4, v34, v4
	v_and_b32_e32 v5, v0, v5
	v_mbcnt_lo_u32_b32 v0, v4, 0
	v_mbcnt_hi_u32_b32 v32, v5, v0
	v_cmp_eq_u32_e32 vcc, 0, v32
	v_cmp_ne_u64_e64 s[0:1], 0, v[4:5]
	s_and_b64 s[6:7], s[0:1], vcc
	; wave barrier
	s_and_saveexec_b64 s[0:1], s[6:7]
	s_cbranch_execz .LBB191_163
; %bb.162:
	v_bcnt_u32_b32 v0, v4, 0
	v_bcnt_u32_b32 v0, v5, v0
	s_waitcnt lgkmcnt(0)
	v_add_u32_e32 v0, v28, v0
	ds_write_b32 v29, v0 offset:16
.LBB191_163:
	s_or_b64 exec, exec, s[0:1]
	s_waitcnt vmcnt(6)
	v_cmp_gt_i16_e32 vcc, 0, v31
	; wave barrier
	s_nop 1
	v_cndmask_b32_e64 v0, v33, 0, vcc
	v_xor_b32_e32 v31, v0, v31
	v_cmp_ne_u16_e32 vcc, s4, v31
	s_nop 1
	v_cndmask_b32_e32 v0, v33, v31, vcc
	v_lshrrev_b32_sdwa v0, s68, v0 dst_sel:DWORD dst_unused:UNUSED_PAD src0_sel:DWORD src1_sel:WORD_0
	v_and_b32_e32 v37, s11, v0
	v_and_b32_e32 v0, 1, v37
	v_lshl_add_u64 v[4:5], v[0:1], 0, -1
	v_cmp_ne_u32_e32 vcc, 0, v0
	v_mad_u32_u24 v34, v37, 20, v20
	ds_read_b32 v33, v34 offset:16
	v_xor_b32_e32 v4, vcc_lo, v4
	v_xor_b32_e32 v0, vcc_hi, v5
	v_and_b32_e32 v38, exec_lo, v4
	v_lshlrev_b32_e32 v5, 30, v37
	v_mov_b32_e32 v4, v1
	v_cmp_gt_i64_e32 vcc, 0, v[4:5]
	v_not_b32_e32 v4, v5
	v_ashrrev_i32_e32 v4, 31, v4
	v_and_b32_e32 v0, exec_hi, v0
	v_xor_b32_e32 v5, vcc_hi, v4
	v_xor_b32_e32 v4, vcc_lo, v4
	v_and_b32_e32 v0, v0, v5
	v_and_b32_e32 v38, v38, v4
	v_lshlrev_b32_e32 v5, 29, v37
	v_mov_b32_e32 v4, v1
	v_cmp_gt_i64_e32 vcc, 0, v[4:5]
	v_not_b32_e32 v4, v5
	v_ashrrev_i32_e32 v4, 31, v4
	v_xor_b32_e32 v5, vcc_hi, v4
	v_xor_b32_e32 v4, vcc_lo, v4
	v_and_b32_e32 v0, v0, v5
	v_and_b32_e32 v38, v38, v4
	v_lshlrev_b32_e32 v5, 28, v37
	v_mov_b32_e32 v4, v1
	v_cmp_gt_i64_e32 vcc, 0, v[4:5]
	v_not_b32_e32 v4, v5
	v_ashrrev_i32_e32 v4, 31, v4
	v_xor_b32_e32 v5, vcc_hi, v4
	v_xor_b32_e32 v4, vcc_lo, v4
	v_and_b32_e32 v0, v0, v5
	v_and_b32_e32 v38, v38, v4
	v_lshlrev_b32_e32 v5, 27, v37
	v_mov_b32_e32 v4, v1
	v_cmp_gt_i64_e32 vcc, 0, v[4:5]
	v_not_b32_e32 v4, v5
	v_ashrrev_i32_e32 v4, 31, v4
	v_xor_b32_e32 v5, vcc_hi, v4
	v_xor_b32_e32 v4, vcc_lo, v4
	v_and_b32_e32 v0, v0, v5
	v_and_b32_e32 v38, v38, v4
	v_lshlrev_b32_e32 v5, 26, v37
	v_mov_b32_e32 v4, v1
	v_cmp_gt_i64_e32 vcc, 0, v[4:5]
	v_not_b32_e32 v4, v5
	v_ashrrev_i32_e32 v4, 31, v4
	v_xor_b32_e32 v5, vcc_hi, v4
	v_xor_b32_e32 v4, vcc_lo, v4
	v_and_b32_e32 v0, v0, v5
	v_and_b32_e32 v38, v38, v4
	v_lshlrev_b32_e32 v5, 25, v37
	v_mov_b32_e32 v4, v1
	v_cmp_gt_i64_e32 vcc, 0, v[4:5]
	v_not_b32_e32 v4, v5
	v_ashrrev_i32_e32 v4, 31, v4
	v_xor_b32_e32 v5, vcc_hi, v4
	v_xor_b32_e32 v4, vcc_lo, v4
	v_and_b32_e32 v0, v0, v5
	v_lshlrev_b32_e32 v5, 24, v37
	v_and_b32_e32 v38, v38, v4
	v_mov_b32_e32 v4, v1
	v_not_b32_e32 v1, v5
	v_cmp_gt_i64_e32 vcc, 0, v[4:5]
	v_ashrrev_i32_e32 v1, 31, v1
	s_nop 0
	v_xor_b32_e32 v4, vcc_hi, v1
	v_xor_b32_e32 v5, vcc_lo, v1
	v_and_b32_e32 v1, v0, v4
	v_and_b32_e32 v0, v38, v5
	v_mbcnt_lo_u32_b32 v4, v0, 0
	v_mbcnt_hi_u32_b32 v37, v1, v4
	v_cmp_eq_u32_e32 vcc, 0, v37
	v_cmp_ne_u64_e64 s[0:1], 0, v[0:1]
	s_and_b64 s[4:5], s[0:1], vcc
	; wave barrier
	s_and_saveexec_b64 s[0:1], s[4:5]
	s_cbranch_execz .LBB191_165
; %bb.164:
	v_bcnt_u32_b32 v0, v0, 0
	v_bcnt_u32_b32 v0, v1, v0
	s_waitcnt lgkmcnt(0)
	v_add_u32_e32 v0, v33, v0
	ds_write_b32 v34, v0 offset:16
.LBB191_165:
	s_or_b64 exec, exec, s[0:1]
	v_mov_b32_e32 v42, 0x7fff
	s_waitcnt vmcnt(5)
	v_cmp_gt_i16_e32 vcc, 0, v36
	s_movk_i32 s4, 0x8000
	v_mov_b32_e32 v1, 0
	v_cndmask_b32_e64 v0, v42, 0, vcc
	v_xor_b32_e32 v36, v0, v36
	v_cmp_ne_u16_e32 vcc, s4, v36
	; wave barrier
	s_nop 1
	v_cndmask_b32_e32 v0, v42, v36, vcc
	v_lshrrev_b32_sdwa v0, s68, v0 dst_sel:DWORD dst_unused:UNUSED_PAD src0_sel:DWORD src1_sel:WORD_0
	v_and_b32_e32 v41, s11, v0
	v_and_b32_e32 v0, 1, v41
	v_lshl_add_u64 v[4:5], v[0:1], 0, -1
	v_cmp_ne_u32_e32 vcc, 0, v0
	v_mad_u32_u24 v39, v41, 20, v20
	ds_read_b32 v38, v39 offset:16
	v_xor_b32_e32 v4, vcc_lo, v4
	v_xor_b32_e32 v0, vcc_hi, v5
	v_and_b32_e32 v43, exec_lo, v4
	v_lshlrev_b32_e32 v5, 30, v41
	v_mov_b32_e32 v4, v1
	v_cmp_gt_i64_e32 vcc, 0, v[4:5]
	v_not_b32_e32 v4, v5
	v_ashrrev_i32_e32 v4, 31, v4
	v_and_b32_e32 v0, exec_hi, v0
	v_xor_b32_e32 v5, vcc_hi, v4
	v_xor_b32_e32 v4, vcc_lo, v4
	v_and_b32_e32 v0, v0, v5
	v_and_b32_e32 v43, v43, v4
	v_lshlrev_b32_e32 v5, 29, v41
	v_mov_b32_e32 v4, v1
	v_cmp_gt_i64_e32 vcc, 0, v[4:5]
	v_not_b32_e32 v4, v5
	v_ashrrev_i32_e32 v4, 31, v4
	v_xor_b32_e32 v5, vcc_hi, v4
	v_xor_b32_e32 v4, vcc_lo, v4
	v_and_b32_e32 v0, v0, v5
	v_and_b32_e32 v43, v43, v4
	v_lshlrev_b32_e32 v5, 28, v41
	v_mov_b32_e32 v4, v1
	v_cmp_gt_i64_e32 vcc, 0, v[4:5]
	v_not_b32_e32 v4, v5
	v_ashrrev_i32_e32 v4, 31, v4
	;; [unrolled: 9-line block ×6, first 2 shown]
	v_xor_b32_e32 v5, vcc_hi, v4
	v_xor_b32_e32 v4, vcc_lo, v4
	v_and_b32_e32 v4, v43, v4
	v_and_b32_e32 v5, v0, v5
	v_mbcnt_lo_u32_b32 v0, v4, 0
	v_mbcnt_hi_u32_b32 v41, v5, v0
	v_cmp_eq_u32_e32 vcc, 0, v41
	v_cmp_ne_u64_e64 s[0:1], 0, v[4:5]
	s_and_b64 s[6:7], s[0:1], vcc
	; wave barrier
	s_and_saveexec_b64 s[0:1], s[6:7]
	s_cbranch_execz .LBB191_167
; %bb.166:
	v_bcnt_u32_b32 v0, v4, 0
	v_bcnt_u32_b32 v0, v5, v0
	s_waitcnt lgkmcnt(0)
	v_add_u32_e32 v0, v38, v0
	ds_write_b32 v39, v0 offset:16
.LBB191_167:
	s_or_b64 exec, exec, s[0:1]
	s_waitcnt vmcnt(4)
	v_cmp_gt_i16_e32 vcc, 0, v40
	; wave barrier
	s_nop 1
	v_cndmask_b32_e64 v0, v42, 0, vcc
	v_xor_b32_e32 v40, v0, v40
	v_cmp_ne_u16_e32 vcc, s4, v40
	s_nop 1
	v_cndmask_b32_e32 v0, v42, v40, vcc
	v_lshrrev_b32_sdwa v0, s68, v0 dst_sel:DWORD dst_unused:UNUSED_PAD src0_sel:DWORD src1_sel:WORD_0
	v_and_b32_e32 v44, s11, v0
	v_and_b32_e32 v0, 1, v44
	v_lshl_add_u64 v[4:5], v[0:1], 0, -1
	v_cmp_ne_u32_e32 vcc, 0, v0
	v_mad_u32_u24 v43, v44, 20, v20
	ds_read_b32 v42, v43 offset:16
	v_xor_b32_e32 v4, vcc_lo, v4
	v_xor_b32_e32 v0, vcc_hi, v5
	v_and_b32_e32 v45, exec_lo, v4
	v_lshlrev_b32_e32 v5, 30, v44
	v_mov_b32_e32 v4, v1
	v_cmp_gt_i64_e32 vcc, 0, v[4:5]
	v_not_b32_e32 v4, v5
	v_ashrrev_i32_e32 v4, 31, v4
	v_and_b32_e32 v0, exec_hi, v0
	v_xor_b32_e32 v5, vcc_hi, v4
	v_xor_b32_e32 v4, vcc_lo, v4
	v_and_b32_e32 v0, v0, v5
	v_and_b32_e32 v45, v45, v4
	v_lshlrev_b32_e32 v5, 29, v44
	v_mov_b32_e32 v4, v1
	v_cmp_gt_i64_e32 vcc, 0, v[4:5]
	v_not_b32_e32 v4, v5
	v_ashrrev_i32_e32 v4, 31, v4
	v_xor_b32_e32 v5, vcc_hi, v4
	v_xor_b32_e32 v4, vcc_lo, v4
	v_and_b32_e32 v0, v0, v5
	v_and_b32_e32 v45, v45, v4
	v_lshlrev_b32_e32 v5, 28, v44
	v_mov_b32_e32 v4, v1
	v_cmp_gt_i64_e32 vcc, 0, v[4:5]
	v_not_b32_e32 v4, v5
	v_ashrrev_i32_e32 v4, 31, v4
	;; [unrolled: 9-line block ×5, first 2 shown]
	v_xor_b32_e32 v5, vcc_hi, v4
	v_xor_b32_e32 v4, vcc_lo, v4
	v_and_b32_e32 v0, v0, v5
	v_lshlrev_b32_e32 v5, 24, v44
	v_and_b32_e32 v45, v45, v4
	v_mov_b32_e32 v4, v1
	v_not_b32_e32 v1, v5
	v_cmp_gt_i64_e32 vcc, 0, v[4:5]
	v_ashrrev_i32_e32 v1, 31, v1
	s_nop 0
	v_xor_b32_e32 v4, vcc_hi, v1
	v_xor_b32_e32 v5, vcc_lo, v1
	v_and_b32_e32 v1, v0, v4
	v_and_b32_e32 v0, v45, v5
	v_mbcnt_lo_u32_b32 v4, v0, 0
	v_mbcnt_hi_u32_b32 v44, v1, v4
	v_cmp_eq_u32_e32 vcc, 0, v44
	v_cmp_ne_u64_e64 s[0:1], 0, v[0:1]
	s_and_b64 s[4:5], s[0:1], vcc
	; wave barrier
	s_and_saveexec_b64 s[0:1], s[4:5]
	s_cbranch_execz .LBB191_169
; %bb.168:
	v_bcnt_u32_b32 v0, v0, 0
	v_bcnt_u32_b32 v0, v1, v0
	s_waitcnt lgkmcnt(0)
	v_add_u32_e32 v0, v42, v0
	ds_write_b32 v43, v0 offset:16
.LBB191_169:
	s_or_b64 exec, exec, s[0:1]
	v_mov_b32_e32 v48, 0x7fff
	s_waitcnt vmcnt(3)
	v_cmp_gt_i16_e32 vcc, 0, v35
	s_movk_i32 s4, 0x8000
	v_mov_b32_e32 v1, 0
	v_cndmask_b32_e64 v0, v48, 0, vcc
	v_xor_b32_e32 v35, v0, v35
	v_cmp_ne_u16_e32 vcc, s4, v35
	; wave barrier
	s_nop 1
	v_cndmask_b32_e32 v0, v48, v35, vcc
	v_lshrrev_b32_sdwa v0, s68, v0 dst_sel:DWORD dst_unused:UNUSED_PAD src0_sel:DWORD src1_sel:WORD_0
	v_and_b32_e32 v47, s11, v0
	v_and_b32_e32 v0, 1, v47
	v_lshl_add_u64 v[4:5], v[0:1], 0, -1
	v_cmp_ne_u32_e32 vcc, 0, v0
	v_mad_u32_u24 v46, v47, 20, v20
	ds_read_b32 v45, v46 offset:16
	v_xor_b32_e32 v4, vcc_lo, v4
	v_xor_b32_e32 v0, vcc_hi, v5
	v_and_b32_e32 v49, exec_lo, v4
	v_lshlrev_b32_e32 v5, 30, v47
	v_mov_b32_e32 v4, v1
	v_cmp_gt_i64_e32 vcc, 0, v[4:5]
	v_not_b32_e32 v4, v5
	v_ashrrev_i32_e32 v4, 31, v4
	v_and_b32_e32 v0, exec_hi, v0
	v_xor_b32_e32 v5, vcc_hi, v4
	v_xor_b32_e32 v4, vcc_lo, v4
	v_and_b32_e32 v0, v0, v5
	v_and_b32_e32 v49, v49, v4
	v_lshlrev_b32_e32 v5, 29, v47
	v_mov_b32_e32 v4, v1
	v_cmp_gt_i64_e32 vcc, 0, v[4:5]
	v_not_b32_e32 v4, v5
	v_ashrrev_i32_e32 v4, 31, v4
	v_xor_b32_e32 v5, vcc_hi, v4
	v_xor_b32_e32 v4, vcc_lo, v4
	v_and_b32_e32 v0, v0, v5
	v_and_b32_e32 v49, v49, v4
	v_lshlrev_b32_e32 v5, 28, v47
	v_mov_b32_e32 v4, v1
	v_cmp_gt_i64_e32 vcc, 0, v[4:5]
	v_not_b32_e32 v4, v5
	v_ashrrev_i32_e32 v4, 31, v4
	;; [unrolled: 9-line block ×6, first 2 shown]
	v_xor_b32_e32 v5, vcc_hi, v4
	v_xor_b32_e32 v4, vcc_lo, v4
	v_and_b32_e32 v4, v49, v4
	v_and_b32_e32 v5, v0, v5
	v_mbcnt_lo_u32_b32 v0, v4, 0
	v_mbcnt_hi_u32_b32 v47, v5, v0
	v_cmp_eq_u32_e32 vcc, 0, v47
	v_cmp_ne_u64_e64 s[0:1], 0, v[4:5]
	s_and_b64 s[6:7], s[0:1], vcc
	; wave barrier
	s_and_saveexec_b64 s[0:1], s[6:7]
	s_cbranch_execz .LBB191_171
; %bb.170:
	v_bcnt_u32_b32 v0, v4, 0
	v_bcnt_u32_b32 v0, v5, v0
	s_waitcnt lgkmcnt(0)
	v_add_u32_e32 v0, v45, v0
	ds_write_b32 v46, v0 offset:16
.LBB191_171:
	s_or_b64 exec, exec, s[0:1]
	s_waitcnt vmcnt(2)
	v_cmp_gt_i16_e32 vcc, 0, v30
	; wave barrier
	s_nop 1
	v_cndmask_b32_e64 v0, v48, 0, vcc
	v_xor_b32_e32 v30, v0, v30
	v_cmp_ne_u16_e32 vcc, s4, v30
	s_nop 1
	v_cndmask_b32_e32 v0, v48, v30, vcc
	v_lshrrev_b32_sdwa v0, s68, v0 dst_sel:DWORD dst_unused:UNUSED_PAD src0_sel:DWORD src1_sel:WORD_0
	v_and_b32_e32 v50, s11, v0
	v_and_b32_e32 v0, 1, v50
	v_lshl_add_u64 v[4:5], v[0:1], 0, -1
	v_cmp_ne_u32_e32 vcc, 0, v0
	v_mad_u32_u24 v49, v50, 20, v20
	ds_read_b32 v48, v49 offset:16
	v_xor_b32_e32 v4, vcc_lo, v4
	v_xor_b32_e32 v0, vcc_hi, v5
	v_and_b32_e32 v51, exec_lo, v4
	v_lshlrev_b32_e32 v5, 30, v50
	v_mov_b32_e32 v4, v1
	v_cmp_gt_i64_e32 vcc, 0, v[4:5]
	v_not_b32_e32 v4, v5
	v_ashrrev_i32_e32 v4, 31, v4
	v_and_b32_e32 v0, exec_hi, v0
	v_xor_b32_e32 v5, vcc_hi, v4
	v_xor_b32_e32 v4, vcc_lo, v4
	v_and_b32_e32 v0, v0, v5
	v_and_b32_e32 v51, v51, v4
	v_lshlrev_b32_e32 v5, 29, v50
	v_mov_b32_e32 v4, v1
	v_cmp_gt_i64_e32 vcc, 0, v[4:5]
	v_not_b32_e32 v4, v5
	v_ashrrev_i32_e32 v4, 31, v4
	v_xor_b32_e32 v5, vcc_hi, v4
	v_xor_b32_e32 v4, vcc_lo, v4
	v_and_b32_e32 v0, v0, v5
	v_and_b32_e32 v51, v51, v4
	v_lshlrev_b32_e32 v5, 28, v50
	v_mov_b32_e32 v4, v1
	v_cmp_gt_i64_e32 vcc, 0, v[4:5]
	v_not_b32_e32 v4, v5
	v_ashrrev_i32_e32 v4, 31, v4
	;; [unrolled: 9-line block ×5, first 2 shown]
	v_xor_b32_e32 v5, vcc_hi, v4
	v_xor_b32_e32 v4, vcc_lo, v4
	v_and_b32_e32 v0, v0, v5
	v_lshlrev_b32_e32 v5, 24, v50
	v_and_b32_e32 v51, v51, v4
	v_mov_b32_e32 v4, v1
	v_not_b32_e32 v1, v5
	v_cmp_gt_i64_e32 vcc, 0, v[4:5]
	v_ashrrev_i32_e32 v1, 31, v1
	s_nop 0
	v_xor_b32_e32 v4, vcc_hi, v1
	v_xor_b32_e32 v5, vcc_lo, v1
	v_and_b32_e32 v1, v0, v4
	v_and_b32_e32 v0, v51, v5
	v_mbcnt_lo_u32_b32 v4, v0, 0
	v_mbcnt_hi_u32_b32 v51, v1, v4
	v_cmp_eq_u32_e32 vcc, 0, v51
	v_cmp_ne_u64_e64 s[0:1], 0, v[0:1]
	s_and_b64 s[4:5], s[0:1], vcc
	; wave barrier
	s_and_saveexec_b64 s[0:1], s[4:5]
	s_cbranch_execz .LBB191_173
; %bb.172:
	v_bcnt_u32_b32 v0, v0, 0
	v_bcnt_u32_b32 v0, v1, v0
	s_waitcnt lgkmcnt(0)
	v_add_u32_e32 v0, v48, v0
	ds_write_b32 v49, v0 offset:16
.LBB191_173:
	s_or_b64 exec, exec, s[0:1]
	v_mov_b32_e32 v55, 0x7fff
	s_waitcnt vmcnt(1)
	v_cmp_gt_i16_e32 vcc, 0, v25
	s_movk_i32 s4, 0x8000
	v_mov_b32_e32 v1, 0
	v_cndmask_b32_e64 v0, v55, 0, vcc
	v_xor_b32_e32 v50, v0, v25
	v_cmp_ne_u16_e32 vcc, s4, v50
	; wave barrier
	s_nop 1
	v_cndmask_b32_e32 v0, v55, v50, vcc
	v_lshrrev_b32_sdwa v0, s68, v0 dst_sel:DWORD dst_unused:UNUSED_PAD src0_sel:DWORD src1_sel:WORD_0
	v_and_b32_e32 v53, s11, v0
	v_and_b32_e32 v0, 1, v53
	v_lshl_add_u64 v[4:5], v[0:1], 0, -1
	v_cmp_ne_u32_e32 vcc, 0, v0
	v_mad_u32_u24 v25, v53, 20, v20
	ds_read_b32 v52, v25 offset:16
	v_xor_b32_e32 v4, vcc_lo, v4
	v_xor_b32_e32 v0, vcc_hi, v5
	v_and_b32_e32 v54, exec_lo, v4
	v_lshlrev_b32_e32 v5, 30, v53
	v_mov_b32_e32 v4, v1
	v_cmp_gt_i64_e32 vcc, 0, v[4:5]
	v_not_b32_e32 v4, v5
	v_ashrrev_i32_e32 v4, 31, v4
	v_and_b32_e32 v0, exec_hi, v0
	v_xor_b32_e32 v5, vcc_hi, v4
	v_xor_b32_e32 v4, vcc_lo, v4
	v_and_b32_e32 v0, v0, v5
	v_and_b32_e32 v54, v54, v4
	v_lshlrev_b32_e32 v5, 29, v53
	v_mov_b32_e32 v4, v1
	v_cmp_gt_i64_e32 vcc, 0, v[4:5]
	v_not_b32_e32 v4, v5
	v_ashrrev_i32_e32 v4, 31, v4
	v_xor_b32_e32 v5, vcc_hi, v4
	v_xor_b32_e32 v4, vcc_lo, v4
	v_and_b32_e32 v0, v0, v5
	v_and_b32_e32 v54, v54, v4
	v_lshlrev_b32_e32 v5, 28, v53
	v_mov_b32_e32 v4, v1
	v_cmp_gt_i64_e32 vcc, 0, v[4:5]
	v_not_b32_e32 v4, v5
	v_ashrrev_i32_e32 v4, 31, v4
	;; [unrolled: 9-line block ×6, first 2 shown]
	v_xor_b32_e32 v5, vcc_hi, v4
	v_xor_b32_e32 v4, vcc_lo, v4
	v_and_b32_e32 v4, v54, v4
	v_and_b32_e32 v5, v0, v5
	v_mbcnt_lo_u32_b32 v0, v4, 0
	v_mbcnt_hi_u32_b32 v54, v5, v0
	v_cmp_eq_u32_e32 vcc, 0, v54
	v_cmp_ne_u64_e64 s[0:1], 0, v[4:5]
	s_and_b64 s[6:7], s[0:1], vcc
	; wave barrier
	s_and_saveexec_b64 s[0:1], s[6:7]
	s_cbranch_execz .LBB191_175
; %bb.174:
	v_bcnt_u32_b32 v0, v4, 0
	v_bcnt_u32_b32 v0, v5, v0
	s_waitcnt lgkmcnt(0)
	v_add_u32_e32 v0, v52, v0
	ds_write_b32 v25, v0 offset:16
.LBB191_175:
	s_or_b64 exec, exec, s[0:1]
	s_waitcnt vmcnt(0)
	v_cmp_gt_i16_e32 vcc, 0, v19
	; wave barrier
	s_nop 1
	v_cndmask_b32_e64 v0, v55, 0, vcc
	v_xor_b32_e32 v53, v0, v19
	v_cmp_ne_u16_e32 vcc, s4, v53
	s_nop 1
	v_cndmask_b32_e32 v0, v55, v53, vcc
	v_lshrrev_b32_sdwa v0, s68, v0 dst_sel:DWORD dst_unused:UNUSED_PAD src0_sel:DWORD src1_sel:WORD_0
	v_and_b32_e32 v56, s11, v0
	v_and_b32_e32 v0, 1, v56
	v_lshl_add_u64 v[4:5], v[0:1], 0, -1
	v_cmp_ne_u32_e32 vcc, 0, v0
	v_mad_u32_u24 v19, v56, 20, v20
	ds_read_b32 v55, v19 offset:16
	v_xor_b32_e32 v4, vcc_lo, v4
	v_xor_b32_e32 v0, vcc_hi, v5
	v_and_b32_e32 v20, exec_lo, v4
	v_lshlrev_b32_e32 v5, 30, v56
	v_mov_b32_e32 v4, v1
	v_cmp_gt_i64_e32 vcc, 0, v[4:5]
	v_not_b32_e32 v4, v5
	v_ashrrev_i32_e32 v4, 31, v4
	v_and_b32_e32 v0, exec_hi, v0
	v_xor_b32_e32 v5, vcc_hi, v4
	v_xor_b32_e32 v4, vcc_lo, v4
	v_and_b32_e32 v0, v0, v5
	v_and_b32_e32 v20, v20, v4
	v_lshlrev_b32_e32 v5, 29, v56
	v_mov_b32_e32 v4, v1
	v_cmp_gt_i64_e32 vcc, 0, v[4:5]
	v_not_b32_e32 v4, v5
	v_ashrrev_i32_e32 v4, 31, v4
	v_xor_b32_e32 v5, vcc_hi, v4
	v_xor_b32_e32 v4, vcc_lo, v4
	v_and_b32_e32 v0, v0, v5
	v_and_b32_e32 v20, v20, v4
	v_lshlrev_b32_e32 v5, 28, v56
	v_mov_b32_e32 v4, v1
	v_cmp_gt_i64_e32 vcc, 0, v[4:5]
	v_not_b32_e32 v4, v5
	v_ashrrev_i32_e32 v4, 31, v4
	;; [unrolled: 9-line block ×5, first 2 shown]
	v_xor_b32_e32 v5, vcc_hi, v4
	v_xor_b32_e32 v4, vcc_lo, v4
	v_and_b32_e32 v0, v0, v5
	v_lshlrev_b32_e32 v5, 24, v56
	v_and_b32_e32 v20, v20, v4
	v_mov_b32_e32 v4, v1
	v_not_b32_e32 v1, v5
	v_cmp_gt_i64_e32 vcc, 0, v[4:5]
	v_ashrrev_i32_e32 v1, 31, v1
	s_nop 0
	v_xor_b32_e32 v4, vcc_hi, v1
	v_xor_b32_e32 v5, vcc_lo, v1
	v_and_b32_e32 v1, v0, v4
	v_and_b32_e32 v0, v20, v5
	v_mbcnt_lo_u32_b32 v4, v0, 0
	v_mbcnt_hi_u32_b32 v56, v1, v4
	v_cmp_eq_u32_e32 vcc, 0, v56
	v_cmp_ne_u64_e64 s[0:1], 0, v[0:1]
	s_and_b64 s[4:5], s[0:1], vcc
	; wave barrier
	s_and_saveexec_b64 s[0:1], s[4:5]
	s_cbranch_execz .LBB191_177
; %bb.176:
	v_bcnt_u32_b32 v0, v0, 0
	v_bcnt_u32_b32 v0, v1, v0
	s_waitcnt lgkmcnt(0)
	v_add_u32_e32 v0, v55, v0
	ds_write_b32 v19, v0 offset:16
.LBB191_177:
	s_or_b64 exec, exec, s[0:1]
	; wave barrier
	s_waitcnt lgkmcnt(0)
	s_barrier
	ds_read2_b32 v[4:5], v6 offset0:4 offset1:5
	ds_read2_b32 v[0:1], v6 offset0:6 offset1:7
	ds_read_b32 v20, v6 offset:32
	v_min_u32_e32 v7, 0xc0, v7
	v_or_b32_e32 v7, 63, v7
	s_waitcnt lgkmcnt(1)
	v_add3_u32 v57, v5, v4, v0
	s_waitcnt lgkmcnt(0)
	v_add3_u32 v20, v57, v1, v20
	v_and_b32_e32 v57, 15, v12
	v_cmp_ne_u32_e32 vcc, 0, v57
	v_mov_b32_dpp v58, v20 row_shr:1 row_mask:0xf bank_mask:0xf
	s_nop 0
	v_cndmask_b32_e32 v58, 0, v58, vcc
	v_add_u32_e32 v20, v58, v20
	v_cmp_lt_u32_e32 vcc, 1, v57
	s_nop 0
	v_mov_b32_dpp v58, v20 row_shr:2 row_mask:0xf bank_mask:0xf
	v_cndmask_b32_e32 v58, 0, v58, vcc
	v_add_u32_e32 v20, v20, v58
	v_cmp_lt_u32_e32 vcc, 3, v57
	s_nop 0
	v_mov_b32_dpp v58, v20 row_shr:4 row_mask:0xf bank_mask:0xf
	;; [unrolled: 5-line block ×3, first 2 shown]
	v_cndmask_b32_e32 v57, 0, v58, vcc
	v_add_u32_e32 v20, v20, v57
	v_bfe_i32 v58, v12, 4, 1
	v_cmp_lt_u32_e32 vcc, 31, v12
	v_mov_b32_dpp v57, v20 row_bcast:15 row_mask:0xf bank_mask:0xf
	v_and_b32_e32 v57, v58, v57
	v_add_u32_e32 v20, v20, v57
	s_nop 1
	v_mov_b32_dpp v57, v20 row_bcast:31 row_mask:0xf bank_mask:0xf
	v_cndmask_b32_e32 v57, 0, v57, vcc
	v_add_u32_e32 v20, v20, v57
	v_lshrrev_b32_e32 v57, 6, v2
	v_cmp_eq_u32_e32 vcc, v2, v7
	s_and_saveexec_b64 s[0:1], vcc
; %bb.178:
	v_lshlrev_b32_e32 v7, 2, v57
	ds_write_b32 v7, v20
; %bb.179:
	s_or_b64 exec, exec, s[0:1]
	v_cmp_gt_u32_e32 vcc, 4, v2
	s_waitcnt lgkmcnt(0)
	s_barrier
	s_and_saveexec_b64 s[0:1], vcc
	s_cbranch_execz .LBB191_181
; %bb.180:
	v_lshlrev_b32_e32 v7, 2, v2
	ds_read_b32 v58, v7
	v_and_b32_e32 v59, 3, v12
	v_cmp_ne_u32_e32 vcc, 0, v59
	s_waitcnt lgkmcnt(0)
	v_mov_b32_dpp v60, v58 row_shr:1 row_mask:0xf bank_mask:0xf
	v_cndmask_b32_e32 v60, 0, v60, vcc
	v_add_u32_e32 v58, v60, v58
	v_cmp_lt_u32_e32 vcc, 1, v59
	s_nop 0
	v_mov_b32_dpp v60, v58 row_shr:2 row_mask:0xf bank_mask:0xf
	v_cndmask_b32_e32 v59, 0, v60, vcc
	v_add_u32_e32 v58, v58, v59
	ds_write_b32 v7, v58
.LBB191_181:
	s_or_b64 exec, exec, s[0:1]
	v_cmp_lt_u32_e32 vcc, 63, v2
	v_mov_b32_e32 v7, 0
	s_waitcnt lgkmcnt(0)
	s_barrier
	s_and_saveexec_b64 s[0:1], vcc
; %bb.182:
	v_lshl_add_u32 v7, v57, 2, -4
	ds_read_b32 v7, v7
; %bb.183:
	s_or_b64 exec, exec, s[0:1]
	v_add_u32_e32 v57, -1, v12
	v_and_b32_e32 v58, 64, v12
	v_cmp_lt_i32_e32 vcc, v57, v58
	s_waitcnt lgkmcnt(0)
	v_add_u32_e32 v20, v7, v20
	s_movk_i32 s0, 0x100
	v_cndmask_b32_e32 v57, v57, v12, vcc
	v_lshlrev_b32_e32 v57, 2, v57
	ds_bpermute_b32 v20, v57, v20
	v_cmp_eq_u32_e32 vcc, 0, v12
	s_waitcnt lgkmcnt(0)
	s_nop 0
	v_cndmask_b32_e32 v7, v20, v7, vcc
	v_cmp_ne_u32_e32 vcc, 0, v2
	s_nop 1
	v_cndmask_b32_e32 v7, 0, v7, vcc
	v_add_u32_e32 v4, v7, v4
	v_add_u32_e32 v5, v4, v5
	;; [unrolled: 1-line block ×4, first 2 shown]
	ds_write2_b32 v6, v7, v4 offset0:4 offset1:5
	ds_write2_b32 v6, v5, v0 offset0:6 offset1:7
	ds_write_b32 v6, v1 offset:32
	s_waitcnt lgkmcnt(0)
	s_barrier
	ds_read_b32 v4, v43 offset:16
	ds_read_b32 v5, v46 offset:16
	;; [unrolled: 1-line block ×13, first 2 shown]
	v_add_u32_e32 v6, 1, v2
	v_cmp_ne_u32_e32 vcc, s0, v6
	v_mov_b32_e32 v1, 0xc00
	s_and_saveexec_b64 s[0:1], vcc
; %bb.184:
	v_mul_u32_u24_e32 v1, 20, v6
	ds_read_b32 v1, v1 offset:16
; %bb.185:
	s_or_b64 exec, exec, s[0:1]
	s_waitcnt lgkmcnt(7)
	v_add_u32_e32 v29, v9, v10
	s_waitcnt lgkmcnt(6)
	v_add3_u32 v25, v15, v13, v14
	s_waitcnt lgkmcnt(5)
	v_add3_u32 v24, v22, v17, v18
	v_add3_u32 v17, v44, v42, v4
	v_lshlrev_b32_e32 v4, 1, v29
	s_waitcnt lgkmcnt(0)
	s_barrier
	ds_write_b16 v4, v8 offset:2048
	v_lshlrev_b32_e32 v4, 1, v25
	v_add3_u32 v22, v27, v23, v19
	ds_write_b16 v4, v11 offset:2048
	v_lshlrev_b32_e32 v4, 1, v24
	v_add3_u32 v20, v32, v28, v20
	;; [unrolled: 3-line block ×4, first 2 shown]
	ds_write_b16 v4, v26 offset:2048
	v_lshlrev_b32_e32 v4, 1, v19
	ds_write_b16 v4, v31 offset:2048
	v_lshlrev_b32_e32 v4, 1, v18
	v_add3_u32 v15, v47, v45, v5
	ds_write_b16 v4, v36 offset:2048
	v_lshlrev_b32_e32 v4, 1, v17
	v_add3_u32 v14, v51, v48, v7
	;; [unrolled: 3-line block ×4, first 2 shown]
	ds_write_b16 v4, v30 offset:2048
	v_lshlrev_b32_e32 v4, 1, v13
	ds_write_b16 v4, v50 offset:2048
	v_lshlrev_b32_e32 v4, 1, v5
	ds_write_b16 v4, v53 offset:2048
	v_sub_u32_e32 v4, v1, v0
	v_lshl_add_u32 v6, s2, 8, v2
	v_mov_b32_e32 v7, 0
	v_lshl_add_u64 v[8:9], v[6:7], 2, s[72:73]
	v_or_b32_e32 v1, 2.0, v4
	s_mov_b64 s[0:1], 0
	s_brev_b32 s8, -4
	v_mov_b32_e32 v16, 0
	s_waitcnt lgkmcnt(0)
	s_barrier
	global_store_dword v[8:9], v1, off sc1
                                        ; implicit-def: $sgpr4_sgpr5
	s_branch .LBB191_188
.LBB191_186:                            ;   in Loop: Header=BB191_188 Depth=1
	s_or_b64 exec, exec, s[6:7]
.LBB191_187:                            ;   in Loop: Header=BB191_188 Depth=1
	s_or_b64 exec, exec, s[4:5]
	v_and_b32_e32 v6, 0x3fffffff, v1
	v_add_u32_e32 v16, v6, v16
	v_cmp_gt_i32_e64 s[4:5], -2.0, v1
	s_and_b64 s[6:7], exec, s[4:5]
	s_or_b64 s[0:1], s[6:7], s[0:1]
	s_andn2_b64 exec, exec, s[0:1]
	s_cbranch_execz .LBB191_193
.LBB191_188:                            ; =>This Loop Header: Depth=1
                                        ;     Child Loop BB191_191 Depth 2
	s_or_b64 s[4:5], s[4:5], exec
	s_cmp_eq_u32 s3, 0
	s_cbranch_scc1 .LBB191_192
; %bb.189:                              ;   in Loop: Header=BB191_188 Depth=1
	s_add_i32 s3, s3, -1
	v_lshl_add_u32 v6, s3, 8, v2
	v_lshl_add_u64 v[10:11], v[6:7], 2, s[72:73]
	global_load_dword v1, v[10:11], off sc1
	s_waitcnt vmcnt(0)
	v_cmp_gt_u32_e32 vcc, 2.0, v1
	s_and_saveexec_b64 s[4:5], vcc
	s_cbranch_execz .LBB191_187
; %bb.190:                              ;   in Loop: Header=BB191_188 Depth=1
	s_mov_b64 s[6:7], 0
.LBB191_191:                            ;   Parent Loop BB191_188 Depth=1
                                        ; =>  This Inner Loop Header: Depth=2
	global_load_dword v1, v[10:11], off sc1
	s_waitcnt vmcnt(0)
	v_cmp_lt_u32_e32 vcc, s8, v1
	s_or_b64 s[6:7], vcc, s[6:7]
	s_andn2_b64 exec, exec, s[6:7]
	s_cbranch_execnz .LBB191_191
	s_branch .LBB191_186
.LBB191_192:                            ;   in Loop: Header=BB191_188 Depth=1
                                        ; implicit-def: $sgpr3
	s_and_b64 s[6:7], exec, s[4:5]
	s_or_b64 s[0:1], s[6:7], s[0:1]
	s_andn2_b64 exec, exec, s[0:1]
	s_cbranch_execnz .LBB191_188
.LBB191_193:
	s_or_b64 exec, exec, s[0:1]
	v_add_u32_e32 v1, v16, v4
	v_or_b32_e32 v1, 0x80000000, v1
	v_lshlrev_b32_e32 v6, 3, v2
	global_store_dword v[8:9], v1, off sc1
	global_load_dwordx2 v[8:9], v6, s[64:65]
	v_sub_co_u32_e32 v10, vcc, v16, v0
	v_mad_i32_i24 v16, v2, -6, v6
	s_nop 0
	v_subb_co_u32_e64 v11, s[0:1], 0, 0, vcc
	s_movk_i32 s0, 0x8000
	v_mov_b32_e32 v7, 0x7fff
	v_mov_b32_e32 v1, 0
	v_lshlrev_b32_e32 v26, 1, v2
	v_mov_b32_e32 v27, v1
	v_add_u32_e32 v61, 0xa00, v2
	v_add_u32_e32 v62, 0xb00, v2
	s_waitcnt vmcnt(0)
	v_lshl_add_u64 v[8:9], v[10:11], 0, v[8:9]
	ds_write_b64 v6, v[8:9]
	s_waitcnt lgkmcnt(0)
	s_barrier
	ds_read_u16 v8, v16 offset:2048
	ds_read_u16 v9, v16 offset:2560
	;; [unrolled: 1-line block ×8, first 2 shown]
	s_waitcnt lgkmcnt(7)
	v_cmp_ne_u16_e32 vcc, s0, v8
	s_nop 1
	v_cndmask_b32_e32 v30, v7, v8, vcc
	v_cmp_gt_i16_e32 vcc, 0, v8
	v_lshrrev_b32_sdwa v30, s68, v30 dst_sel:DWORD dst_unused:UNUSED_PAD src0_sel:DWORD src1_sel:WORD_0
	v_and_b32_e32 v30, s11, v30
	v_cndmask_b32_e64 v31, v7, 0, vcc
	s_waitcnt lgkmcnt(6)
	v_cmp_ne_u16_e32 vcc, s0, v9
	v_xor_b32_e32 v43, v31, v8
	v_lshlrev_b32_e32 v50, 3, v30
	v_cndmask_b32_e32 v32, v7, v9, vcc
	v_cmp_gt_i16_e32 vcc, 0, v9
	v_lshrrev_b32_sdwa v8, s68, v32 dst_sel:DWORD dst_unused:UNUSED_PAD src0_sel:DWORD src1_sel:WORD_0
	v_and_b32_e32 v8, s11, v8
	v_cndmask_b32_e64 v33, v7, 0, vcc
	s_waitcnt lgkmcnt(5)
	v_cmp_ne_u16_e32 vcc, s0, v10
	v_xor_b32_e32 v44, v33, v9
	v_lshlrev_b32_e32 v51, 3, v8
	;; [unrolled: 9-line block ×5, first 2 shown]
	v_cndmask_b32_e32 v41, v7, v23, vcc
	v_cmp_gt_i16_e32 vcc, 0, v23
	v_lshrrev_b32_sdwa v31, s68, v41 dst_sel:DWORD dst_unused:UNUSED_PAD src0_sel:DWORD src1_sel:WORD_0
	v_and_b32_e32 v31, s11, v31
	v_cndmask_b32_e64 v42, v7, 0, vcc
	v_xor_b32_e32 v23, v42, v23
	v_lshlrev_b32_e32 v55, 3, v31
	ds_read_b64 v[8:9], v51
	ds_read_b64 v[10:11], v52
	;; [unrolled: 1-line block ×6, first 2 shown]
	ds_read_u16 v39, v16 offset:6144
	ds_read_u16 v40, v16 offset:6656
	;; [unrolled: 1-line block ×4, first 2 shown]
	s_waitcnt lgkmcnt(4)
	v_lshl_add_u64 v[36:37], v[36:37], 1, s[58:59]
	v_lshl_add_u64 v[8:9], v[8:9], 1, s[58:59]
	;; [unrolled: 1-line block ×7, first 2 shown]
	v_cmp_ne_u16_e32 vcc, s0, v28
	v_lshl_add_u64 v[10:11], v[10:11], 0, v[26:27]
	v_lshl_add_u64 v[30:31], v[30:31], 0, v[26:27]
	;; [unrolled: 1-line block ×3, first 2 shown]
	global_store_short v[36:37], v43, off
	global_store_short v[8:9], v44, off offset:512
	global_store_short v[10:11], v45, off offset:1024
	;; [unrolled: 1-line block ×4, first 2 shown]
	v_cndmask_b32_e32 v8, v7, v28, vcc
	v_lshrrev_b32_sdwa v8, s68, v8 dst_sel:DWORD dst_unused:UNUSED_PAD src0_sel:DWORD src1_sel:WORD_0
	v_and_b32_e32 v8, s11, v8
	v_cmp_ne_u16_e32 vcc, s0, v38
	v_lshlrev_b32_e32 v21, 3, v8
	v_lshl_add_u64 v[32:33], v[34:35], 1, s[58:59]
	v_cndmask_b32_e32 v8, v7, v38, vcc
	v_lshrrev_b32_sdwa v8, s68, v8 dst_sel:DWORD dst_unused:UNUSED_PAD src0_sel:DWORD src1_sel:WORD_0
	v_and_b32_e32 v8, s11, v8
	s_waitcnt lgkmcnt(3)
	v_cmp_ne_u16_e32 vcc, s0, v39
	v_lshlrev_b32_e32 v56, 3, v8
	v_lshl_add_u64 v[32:33], v[32:33], 0, v[26:27]
	v_cndmask_b32_e32 v8, v7, v39, vcc
	v_lshrrev_b32_sdwa v8, s68, v8 dst_sel:DWORD dst_unused:UNUSED_PAD src0_sel:DWORD src1_sel:WORD_0
	v_and_b32_e32 v8, s11, v8
	v_lshlrev_b32_e32 v57, 3, v8
	ds_read_b64 v[8:9], v21
	ds_read_b64 v[10:11], v56
	;; [unrolled: 1-line block ×3, first 2 shown]
	v_cmp_gt_i16_e32 vcc, 0, v28
	global_store_short v[32:33], v23, off offset:2560
	s_waitcnt lgkmcnt(2)
	v_lshl_add_u64 v[8:9], v[8:9], 1, s[58:59]
	v_cndmask_b32_e64 v23, v7, 0, vcc
	v_xor_b32_e32 v23, v23, v28
	v_lshl_add_u64 v[8:9], v[8:9], 0, v[26:27]
	v_cmp_gt_i16_e32 vcc, 0, v38
	global_store_short v[8:9], v23, off offset:3072
	v_add_u32_e32 v28, 0x900, v2
	v_cndmask_b32_e64 v8, v7, 0, vcc
	v_xor_b32_e32 v23, v8, v38
	s_waitcnt lgkmcnt(1)
	v_lshl_add_u64 v[8:9], v[10:11], 1, s[58:59]
	v_lshl_add_u64 v[8:9], v[8:9], 0, v[26:27]
	v_cmp_gt_i16_e32 vcc, 0, v39
	global_store_short v[8:9], v23, off offset:3584
	v_or_b32_e32 v23, 0x800, v2
	v_cndmask_b32_e64 v8, v7, 0, vcc
	v_xor_b32_e32 v26, v8, v39
	s_waitcnt lgkmcnt(0)
	v_lshl_add_u64 v[8:9], v[30:31], 1, s[58:59]
	v_lshlrev_b32_e32 v10, 1, v23
	v_mov_b32_e32 v11, v1
	v_lshl_add_u64 v[8:9], v[8:9], 0, v[10:11]
	v_cmp_ne_u16_e32 vcc, s0, v40
	global_store_short v[8:9], v26, off
	v_lshlrev_b32_e32 v30, 1, v28
	v_cndmask_b32_e32 v8, v7, v40, vcc
	v_cmp_gt_i16_e32 vcc, 0, v40
	v_lshrrev_b32_sdwa v8, s68, v8 dst_sel:DWORD dst_unused:UNUSED_PAD src0_sel:DWORD src1_sel:WORD_0
	v_and_b32_e32 v8, s11, v8
	v_cndmask_b32_e64 v9, v7, 0, vcc
	v_cmp_ne_u16_e32 vcc, s0, v41
	v_lshlrev_b32_e32 v58, 3, v8
	v_xor_b32_e32 v32, v9, v40
	v_cndmask_b32_e32 v10, v7, v41, vcc
	v_lshrrev_b32_sdwa v10, s68, v10 dst_sel:DWORD dst_unused:UNUSED_PAD src0_sel:DWORD src1_sel:WORD_0
	ds_read_b64 v[8:9], v58
	v_and_b32_e32 v10, s11, v10
	v_cmp_ne_u16_e32 vcc, s0, v42
	v_lshlrev_b32_e32 v59, 3, v10
	v_mov_b32_e32 v31, v1
	v_cndmask_b32_e32 v10, v7, v42, vcc
	v_lshrrev_b32_sdwa v10, s68, v10 dst_sel:DWORD dst_unused:UNUSED_PAD src0_sel:DWORD src1_sel:WORD_0
	v_and_b32_e32 v10, s11, v10
	v_lshlrev_b32_e32 v60, 3, v10
	ds_read_b64 v[10:11], v59
	ds_read_b64 v[26:27], v60
	s_waitcnt lgkmcnt(2)
	v_lshl_add_u64 v[8:9], v[8:9], 1, s[58:59]
	v_lshl_add_u64 v[8:9], v[8:9], 0, v[30:31]
	v_cmp_gt_i16_e32 vcc, 0, v41
	global_store_short v[8:9], v32, off
	s_lshl_b64 s[0:1], s[54:55], 3
	v_cndmask_b32_e64 v8, v7, 0, vcc
	v_xor_b32_e32 v30, v8, v41
	s_waitcnt lgkmcnt(1)
	v_lshl_add_u64 v[8:9], v[10:11], 1, s[58:59]
	v_lshlrev_b32_e32 v10, 1, v61
	v_mov_b32_e32 v11, v1
	v_lshl_add_u64 v[8:9], v[8:9], 0, v[10:11]
	v_cmp_gt_i16_e32 vcc, 0, v42
	global_store_short v[8:9], v30, off
	s_waitcnt lgkmcnt(0)
	v_lshl_add_u64 v[8:9], v[26:27], 1, s[58:59]
	v_cndmask_b32_e64 v7, v7, 0, vcc
	v_lshlrev_b32_e32 v10, 1, v62
	v_xor_b32_e32 v7, v7, v42
	v_lshl_add_u64 v[8:9], v[8:9], 0, v[10:11]
	s_add_u32 s0, s60, s0
	global_store_short v[8:9], v7, off
	s_addc_u32 s1, s61, s1
	v_lshlrev_b32_e32 v8, 3, v12
	v_mov_b32_e32 v9, v1
	v_lshl_add_u64 v[8:9], s[0:1], 0, v[8:9]
	v_lshlrev_b32_e32 v10, 3, v3
	v_lshl_add_u64 v[8:9], v[8:9], 0, v[10:11]
	global_load_dwordx2 v[10:11], v[8:9], off
	global_load_dwordx2 v[26:27], v[8:9], off offset:512
	global_load_dwordx2 v[30:31], v[8:9], off offset:1024
	;; [unrolled: 1-line block ×7, first 2 shown]
	s_movk_i32 s0, 0x1000
	v_add_co_u32_e32 v8, vcc, s0, v8
	v_lshlrev_b32_e32 v3, 3, v29
	s_nop 0
	v_addc_co_u32_e32 v9, vcc, 0, v9, vcc
	global_load_dwordx2 v[42:43], v[8:9], off
	global_load_dwordx2 v[44:45], v[8:9], off offset:512
	global_load_dwordx2 v[46:47], v[8:9], off offset:1024
	global_load_dwordx2 v[48:49], v[8:9], off offset:1536
	s_barrier
	v_mov_b32_e32 v7, v1
	s_add_i32 s10, s10, -1
	s_cmp_lg_u32 s2, s10
	s_waitcnt vmcnt(11)
	ds_write_b64 v3, v[10:11] offset:2048
	v_lshlrev_b32_e32 v3, 3, v25
	s_waitcnt vmcnt(10)
	ds_write_b64 v3, v[26:27] offset:2048
	v_lshlrev_b32_e32 v3, 3, v24
	;; [unrolled: 3-line block ×11, first 2 shown]
	s_waitcnt vmcnt(0)
	ds_write_b64 v3, v[48:49] offset:2048
	s_waitcnt lgkmcnt(0)
	s_barrier
	v_mad_u32_u24 v5, v2, 6, v16
	ds_read_b64 v[2:3], v50
	ds_read2st64_b64 v[8:11], v5 offset0:4 offset1:8
	ds_read_b64 v[12:13], v51
	ds_read_b64 v[14:15], v52
	;; [unrolled: 1-line block ×3, first 2 shown]
	s_waitcnt lgkmcnt(4)
	v_lshl_add_u64 v[2:3], v[2:3], 3, s[62:63]
	v_lshl_add_u64 v[2:3], v[2:3], 0, v[6:7]
	s_waitcnt lgkmcnt(3)
	global_store_dwordx2 v[2:3], v[8:9], off
	s_waitcnt lgkmcnt(2)
	v_lshl_add_u64 v[2:3], v[12:13], 3, s[62:63]
	v_lshl_add_u64 v[2:3], v[2:3], 0, v[6:7]
	global_store_dwordx2 v[2:3], v[10:11], off offset:2048
	ds_read2st64_b64 v[8:11], v5 offset0:12 offset1:16
	s_waitcnt lgkmcnt(2)
	v_lshl_add_u64 v[2:3], v[14:15], 3, s[62:63]
	v_add_u32_e32 v12, 0x1000, v6
	v_mov_b32_e32 v13, v1
	v_lshl_add_u64 v[2:3], v[2:3], 0, v[12:13]
	s_waitcnt lgkmcnt(0)
	global_store_dwordx2 v[2:3], v[8:9], off
	v_lshl_add_u64 v[2:3], v[16:17], 3, s[62:63]
	v_add_u32_e32 v8, 0x1800, v6
	v_mov_b32_e32 v9, v1
	v_lshl_add_u64 v[2:3], v[2:3], 0, v[8:9]
	global_store_dwordx2 v[2:3], v[10:11], off
	ds_read_b64 v[2:3], v54
	ds_read2st64_b64 v[8:11], v5 offset0:20 offset1:24
	ds_read_b64 v[12:13], v55
	ds_read_b64 v[14:15], v21
	;; [unrolled: 1-line block ×3, first 2 shown]
	s_waitcnt lgkmcnt(4)
	v_lshl_add_u64 v[2:3], v[2:3], 3, s[62:63]
	v_or_b32_e32 v18, 0x2000, v6
	v_mov_b32_e32 v19, v1
	v_lshl_add_u64 v[2:3], v[2:3], 0, v[18:19]
	s_waitcnt lgkmcnt(3)
	global_store_dwordx2 v[2:3], v[8:9], off
	s_waitcnt lgkmcnt(2)
	v_lshl_add_u64 v[2:3], v[12:13], 3, s[62:63]
	v_add_u32_e32 v8, 0x2800, v6
	v_mov_b32_e32 v9, v1
	v_lshl_add_u64 v[2:3], v[2:3], 0, v[8:9]
	global_store_dwordx2 v[2:3], v[10:11], off
	ds_read2st64_b64 v[8:11], v5 offset0:28 offset1:32
	s_waitcnt lgkmcnt(2)
	v_lshl_add_u64 v[2:3], v[14:15], 3, s[62:63]
	v_add_u32_e32 v12, 0x3000, v6
	v_mov_b32_e32 v13, v1
	v_lshl_add_u64 v[2:3], v[2:3], 0, v[12:13]
	s_waitcnt lgkmcnt(0)
	global_store_dwordx2 v[2:3], v[8:9], off
	v_lshl_add_u64 v[2:3], v[16:17], 3, s[62:63]
	v_add_u32_e32 v8, 0x3800, v6
	v_mov_b32_e32 v9, v1
	v_lshl_add_u64 v[2:3], v[2:3], 0, v[8:9]
	global_store_dwordx2 v[2:3], v[10:11], off
	ds_read_b64 v[2:3], v57
	ds_read2st64_b64 v[8:11], v5 offset0:36 offset1:40
	ds_read_b64 v[12:13], v58
	ds_read_b64 v[14:15], v59
	;; [unrolled: 1-line block ×3, first 2 shown]
	s_waitcnt lgkmcnt(4)
	v_lshl_add_u64 v[2:3], v[2:3], 3, s[62:63]
	v_lshlrev_b32_e32 v18, 3, v23
	v_lshl_add_u64 v[2:3], v[2:3], 0, v[18:19]
	s_waitcnt lgkmcnt(3)
	global_store_dwordx2 v[2:3], v[8:9], off
	s_waitcnt lgkmcnt(2)
	v_lshl_add_u64 v[2:3], v[12:13], 3, s[62:63]
	v_lshlrev_b32_e32 v8, 3, v28
	v_mov_b32_e32 v9, v1
	v_lshl_add_u64 v[2:3], v[2:3], 0, v[8:9]
	global_store_dwordx2 v[2:3], v[10:11], off
	ds_read2st64_b64 v[8:11], v5 offset0:44 offset1:48
	s_waitcnt lgkmcnt(2)
	v_lshl_add_u64 v[2:3], v[14:15], 3, s[62:63]
	v_lshlrev_b32_e32 v12, 3, v61
	v_mov_b32_e32 v13, v1
	v_lshl_add_u64 v[2:3], v[2:3], 0, v[12:13]
	s_waitcnt lgkmcnt(0)
	global_store_dwordx2 v[2:3], v[8:9], off
	v_lshl_add_u64 v[2:3], v[16:17], 3, s[62:63]
	v_lshlrev_b32_e32 v8, 3, v62
	v_mov_b32_e32 v9, v1
	v_lshl_add_u64 v[2:3], v[2:3], 0, v[8:9]
	global_store_dwordx2 v[2:3], v[10:11], off
	s_cbranch_scc1 .LBB191_195
; %bb.194:
	ds_read_b64 v[2:3], v6
	v_mov_b32_e32 v5, v1
	v_lshl_add_u64 v[0:1], v[4:5], 0, v[0:1]
	s_waitcnt lgkmcnt(0)
	v_lshl_add_u64 v[0:1], v[0:1], 0, v[2:3]
	global_store_dwordx2 v6, v[0:1], s[66:67]
.LBB191_195:
	s_endpgm
.LBB191_196:
	s_or_b64 exec, exec, s[4:5]
	s_and_saveexec_b64 s[4:5], s[26:27]
	s_cbranch_execz .LBB191_139
.LBB191_197:
	v_lshlrev_b32_e32 v2, 3, v3
	ds_read_b64 v[2:3], v2
	ds_read_b64 v[16:17], v8 offset:4096
	v_mov_b32_e32 v9, 0
	s_waitcnt lgkmcnt(1)
	v_lshl_add_u64 v[2:3], v[2:3], 3, s[62:63]
	v_lshl_add_u64 v[2:3], v[2:3], 0, v[8:9]
	s_waitcnt lgkmcnt(0)
	global_store_dwordx2 v[2:3], v[16:17], off offset:2048
	s_or_b64 exec, exec, s[4:5]
	s_and_saveexec_b64 s[4:5], s[28:29]
	s_cbranch_execnz .LBB191_140
.LBB191_198:
	s_or_b64 exec, exec, s[4:5]
	s_and_saveexec_b64 s[4:5], s[30:31]
	s_cbranch_execz .LBB191_141
.LBB191_199:
	v_lshlrev_b32_e32 v2, 3, v10
	ds_read_b64 v[2:3], v2
	ds_read_b64 v[16:17], v8 offset:8192
	v_lshlrev_b32_e32 v12, 3, v13
	v_mov_b32_e32 v13, 0
	s_waitcnt lgkmcnt(1)
	v_lshl_add_u64 v[2:3], v[2:3], 3, s[62:63]
	v_lshl_add_u64 v[2:3], v[2:3], 0, v[12:13]
	s_waitcnt lgkmcnt(0)
	global_store_dwordx2 v[2:3], v[16:17], off
	s_or_b64 exec, exec, s[4:5]
	s_and_saveexec_b64 s[4:5], s[34:35]
	s_cbranch_execnz .LBB191_142
.LBB191_200:
	s_or_b64 exec, exec, s[4:5]
	s_and_saveexec_b64 s[4:5], s[36:37]
	s_cbranch_execz .LBB191_143
.LBB191_201:
	v_lshlrev_b32_e32 v2, 3, v11
	ds_read_b64 v[2:3], v2
	ds_read_b64 v[10:11], v8 offset:12288
	v_lshlrev_b32_e32 v12, 3, v23
	v_mov_b32_e32 v13, 0
	s_waitcnt lgkmcnt(1)
	v_lshl_add_u64 v[2:3], v[2:3], 3, s[62:63]
	v_lshl_add_u64 v[2:3], v[2:3], 0, v[12:13]
	s_waitcnt lgkmcnt(0)
	global_store_dwordx2 v[2:3], v[10:11], off
	s_or_b64 exec, exec, s[4:5]
	s_and_saveexec_b64 s[4:5], s[38:39]
	s_cbranch_execnz .LBB191_144
.LBB191_202:
	s_or_b64 exec, exec, s[4:5]
	s_and_saveexec_b64 s[4:5], s[40:41]
	s_cbranch_execz .LBB191_145
.LBB191_203:
	v_lshlrev_b32_e32 v2, 3, v14
	ds_read_b64 v[2:3], v2
	ds_read_b64 v[10:11], v8 offset:16384
	v_lshlrev_b32_e32 v12, 3, v29
	v_mov_b32_e32 v13, 0
	s_waitcnt lgkmcnt(1)
	v_lshl_add_u64 v[2:3], v[2:3], 3, s[62:63]
	v_lshl_add_u64 v[2:3], v[2:3], 0, v[12:13]
	s_waitcnt lgkmcnt(0)
	global_store_dwordx2 v[2:3], v[10:11], off
	s_or_b64 exec, exec, s[4:5]
	s_and_saveexec_b64 s[4:5], s[42:43]
	s_cbranch_execnz .LBB191_146
.LBB191_204:
	s_or_b64 exec, exec, s[4:5]
	s_and_saveexec_b64 s[4:5], s[44:45]
	s_cbranch_execz .LBB191_147
.LBB191_205:
	v_lshlrev_b32_e32 v2, 3, v34
	ds_read_b64 v[2:3], v2
	ds_read_b64 v[10:11], v8 offset:20480
	v_lshlrev_b32_e32 v12, 3, v31
	v_mov_b32_e32 v13, 0
	s_waitcnt lgkmcnt(1)
	v_lshl_add_u64 v[2:3], v[2:3], 3, s[62:63]
	v_lshl_add_u64 v[2:3], v[2:3], 0, v[12:13]
	s_waitcnt lgkmcnt(0)
	global_store_dwordx2 v[2:3], v[10:11], off
	s_or_b64 exec, exec, s[4:5]
	s_and_saveexec_b64 s[4:5], s[46:47]
	s_cbranch_execnz .LBB191_148
.LBB191_206:
	s_or_b64 exec, exec, s[4:5]
	s_and_saveexec_b64 s[4:5], s[48:49]
	s_cbranch_execz .LBB191_149
.LBB191_207:
	v_lshlrev_b32_e32 v2, 3, v35
	ds_read_b64 v[2:3], v2
	ds_read_b64 v[10:11], v8 offset:24576
	v_lshlrev_b32_e32 v12, 3, v33
	v_mov_b32_e32 v13, 0
	s_waitcnt lgkmcnt(1)
	v_lshl_add_u64 v[2:3], v[2:3], 3, s[62:63]
	v_lshl_add_u64 v[2:3], v[2:3], 0, v[12:13]
	s_waitcnt lgkmcnt(0)
	global_store_dwordx2 v[2:3], v[10:11], off
	s_or_b64 exec, exec, s[4:5]
	s_add_i32 s33, s33, -1
	s_cmp_eq_u32 s2, s33
	s_cbranch_scc1 .LBB191_150
	s_branch .LBB191_151
	.section	.rodata,"a",@progbits
	.p2align	6, 0x0
	.amdhsa_kernel _ZN7rocprim17ROCPRIM_304000_NS6detail25onesweep_iteration_kernelINS1_34wrapped_radix_sort_onesweep_configINS0_14default_configE6__halfN2at4cuda3cub6detail10OpaqueTypeILi8EEEEELb1EPKS5_PS5_PKSB_PSB_mNS0_19identity_decomposerEEEvT1_T2_T3_T4_jPT5_SP_PNS1_23onesweep_lookback_stateET6_jjj
		.amdhsa_group_segment_fixed_size 26624
		.amdhsa_private_segment_fixed_size 0
		.amdhsa_kernarg_size 336
		.amdhsa_user_sgpr_count 2
		.amdhsa_user_sgpr_dispatch_ptr 0
		.amdhsa_user_sgpr_queue_ptr 0
		.amdhsa_user_sgpr_kernarg_segment_ptr 1
		.amdhsa_user_sgpr_dispatch_id 0
		.amdhsa_user_sgpr_kernarg_preload_length 0
		.amdhsa_user_sgpr_kernarg_preload_offset 0
		.amdhsa_user_sgpr_private_segment_size 0
		.amdhsa_uses_dynamic_stack 0
		.amdhsa_enable_private_segment 0
		.amdhsa_system_sgpr_workgroup_id_x 1
		.amdhsa_system_sgpr_workgroup_id_y 0
		.amdhsa_system_sgpr_workgroup_id_z 0
		.amdhsa_system_sgpr_workgroup_info 0
		.amdhsa_system_vgpr_workitem_id 2
		.amdhsa_next_free_vgpr 73
		.amdhsa_next_free_sgpr 91
		.amdhsa_accum_offset 68
		.amdhsa_reserve_vcc 1
		.amdhsa_float_round_mode_32 0
		.amdhsa_float_round_mode_16_64 0
		.amdhsa_float_denorm_mode_32 3
		.amdhsa_float_denorm_mode_16_64 3
		.amdhsa_dx10_clamp 1
		.amdhsa_ieee_mode 1
		.amdhsa_fp16_overflow 0
		.amdhsa_tg_split 0
		.amdhsa_exception_fp_ieee_invalid_op 0
		.amdhsa_exception_fp_denorm_src 0
		.amdhsa_exception_fp_ieee_div_zero 0
		.amdhsa_exception_fp_ieee_overflow 0
		.amdhsa_exception_fp_ieee_underflow 0
		.amdhsa_exception_fp_ieee_inexact 0
		.amdhsa_exception_int_div_zero 0
	.end_amdhsa_kernel
	.section	.text._ZN7rocprim17ROCPRIM_304000_NS6detail25onesweep_iteration_kernelINS1_34wrapped_radix_sort_onesweep_configINS0_14default_configE6__halfN2at4cuda3cub6detail10OpaqueTypeILi8EEEEELb1EPKS5_PS5_PKSB_PSB_mNS0_19identity_decomposerEEEvT1_T2_T3_T4_jPT5_SP_PNS1_23onesweep_lookback_stateET6_jjj,"axG",@progbits,_ZN7rocprim17ROCPRIM_304000_NS6detail25onesweep_iteration_kernelINS1_34wrapped_radix_sort_onesweep_configINS0_14default_configE6__halfN2at4cuda3cub6detail10OpaqueTypeILi8EEEEELb1EPKS5_PS5_PKSB_PSB_mNS0_19identity_decomposerEEEvT1_T2_T3_T4_jPT5_SP_PNS1_23onesweep_lookback_stateET6_jjj,comdat
.Lfunc_end191:
	.size	_ZN7rocprim17ROCPRIM_304000_NS6detail25onesweep_iteration_kernelINS1_34wrapped_radix_sort_onesweep_configINS0_14default_configE6__halfN2at4cuda3cub6detail10OpaqueTypeILi8EEEEELb1EPKS5_PS5_PKSB_PSB_mNS0_19identity_decomposerEEEvT1_T2_T3_T4_jPT5_SP_PNS1_23onesweep_lookback_stateET6_jjj, .Lfunc_end191-_ZN7rocprim17ROCPRIM_304000_NS6detail25onesweep_iteration_kernelINS1_34wrapped_radix_sort_onesweep_configINS0_14default_configE6__halfN2at4cuda3cub6detail10OpaqueTypeILi8EEEEELb1EPKS5_PS5_PKSB_PSB_mNS0_19identity_decomposerEEEvT1_T2_T3_T4_jPT5_SP_PNS1_23onesweep_lookback_stateET6_jjj
                                        ; -- End function
	.set _ZN7rocprim17ROCPRIM_304000_NS6detail25onesweep_iteration_kernelINS1_34wrapped_radix_sort_onesweep_configINS0_14default_configE6__halfN2at4cuda3cub6detail10OpaqueTypeILi8EEEEELb1EPKS5_PS5_PKSB_PSB_mNS0_19identity_decomposerEEEvT1_T2_T3_T4_jPT5_SP_PNS1_23onesweep_lookback_stateET6_jjj.num_vgpr, 66
	.set _ZN7rocprim17ROCPRIM_304000_NS6detail25onesweep_iteration_kernelINS1_34wrapped_radix_sort_onesweep_configINS0_14default_configE6__halfN2at4cuda3cub6detail10OpaqueTypeILi8EEEEELb1EPKS5_PS5_PKSB_PSB_mNS0_19identity_decomposerEEEvT1_T2_T3_T4_jPT5_SP_PNS1_23onesweep_lookback_stateET6_jjj.num_agpr, 0
	.set _ZN7rocprim17ROCPRIM_304000_NS6detail25onesweep_iteration_kernelINS1_34wrapped_radix_sort_onesweep_configINS0_14default_configE6__halfN2at4cuda3cub6detail10OpaqueTypeILi8EEEEELb1EPKS5_PS5_PKSB_PSB_mNS0_19identity_decomposerEEEvT1_T2_T3_T4_jPT5_SP_PNS1_23onesweep_lookback_stateET6_jjj.numbered_sgpr, 75
	.set _ZN7rocprim17ROCPRIM_304000_NS6detail25onesweep_iteration_kernelINS1_34wrapped_radix_sort_onesweep_configINS0_14default_configE6__halfN2at4cuda3cub6detail10OpaqueTypeILi8EEEEELb1EPKS5_PS5_PKSB_PSB_mNS0_19identity_decomposerEEEvT1_T2_T3_T4_jPT5_SP_PNS1_23onesweep_lookback_stateET6_jjj.num_named_barrier, 0
	.set _ZN7rocprim17ROCPRIM_304000_NS6detail25onesweep_iteration_kernelINS1_34wrapped_radix_sort_onesweep_configINS0_14default_configE6__halfN2at4cuda3cub6detail10OpaqueTypeILi8EEEEELb1EPKS5_PS5_PKSB_PSB_mNS0_19identity_decomposerEEEvT1_T2_T3_T4_jPT5_SP_PNS1_23onesweep_lookback_stateET6_jjj.private_seg_size, 0
	.set _ZN7rocprim17ROCPRIM_304000_NS6detail25onesweep_iteration_kernelINS1_34wrapped_radix_sort_onesweep_configINS0_14default_configE6__halfN2at4cuda3cub6detail10OpaqueTypeILi8EEEEELb1EPKS5_PS5_PKSB_PSB_mNS0_19identity_decomposerEEEvT1_T2_T3_T4_jPT5_SP_PNS1_23onesweep_lookback_stateET6_jjj.uses_vcc, 1
	.set _ZN7rocprim17ROCPRIM_304000_NS6detail25onesweep_iteration_kernelINS1_34wrapped_radix_sort_onesweep_configINS0_14default_configE6__halfN2at4cuda3cub6detail10OpaqueTypeILi8EEEEELb1EPKS5_PS5_PKSB_PSB_mNS0_19identity_decomposerEEEvT1_T2_T3_T4_jPT5_SP_PNS1_23onesweep_lookback_stateET6_jjj.uses_flat_scratch, 0
	.set _ZN7rocprim17ROCPRIM_304000_NS6detail25onesweep_iteration_kernelINS1_34wrapped_radix_sort_onesweep_configINS0_14default_configE6__halfN2at4cuda3cub6detail10OpaqueTypeILi8EEEEELb1EPKS5_PS5_PKSB_PSB_mNS0_19identity_decomposerEEEvT1_T2_T3_T4_jPT5_SP_PNS1_23onesweep_lookback_stateET6_jjj.has_dyn_sized_stack, 0
	.set _ZN7rocprim17ROCPRIM_304000_NS6detail25onesweep_iteration_kernelINS1_34wrapped_radix_sort_onesweep_configINS0_14default_configE6__halfN2at4cuda3cub6detail10OpaqueTypeILi8EEEEELb1EPKS5_PS5_PKSB_PSB_mNS0_19identity_decomposerEEEvT1_T2_T3_T4_jPT5_SP_PNS1_23onesweep_lookback_stateET6_jjj.has_recursion, 0
	.set _ZN7rocprim17ROCPRIM_304000_NS6detail25onesweep_iteration_kernelINS1_34wrapped_radix_sort_onesweep_configINS0_14default_configE6__halfN2at4cuda3cub6detail10OpaqueTypeILi8EEEEELb1EPKS5_PS5_PKSB_PSB_mNS0_19identity_decomposerEEEvT1_T2_T3_T4_jPT5_SP_PNS1_23onesweep_lookback_stateET6_jjj.has_indirect_call, 0
	.section	.AMDGPU.csdata,"",@progbits
; Kernel info:
; codeLenInByte = 20996
; TotalNumSgprs: 81
; NumVgprs: 66
; NumAgprs: 0
; TotalNumVgprs: 66
; ScratchSize: 0
; MemoryBound: 0
; FloatMode: 240
; IeeeMode: 1
; LDSByteSize: 26624 bytes/workgroup (compile time only)
; SGPRBlocks: 12
; VGPRBlocks: 9
; NumSGPRsForWavesPerEU: 97
; NumVGPRsForWavesPerEU: 73
; AccumOffset: 68
; Occupancy: 6
; WaveLimiterHint : 1
; COMPUTE_PGM_RSRC2:SCRATCH_EN: 0
; COMPUTE_PGM_RSRC2:USER_SGPR: 2
; COMPUTE_PGM_RSRC2:TRAP_HANDLER: 0
; COMPUTE_PGM_RSRC2:TGID_X_EN: 1
; COMPUTE_PGM_RSRC2:TGID_Y_EN: 0
; COMPUTE_PGM_RSRC2:TGID_Z_EN: 0
; COMPUTE_PGM_RSRC2:TIDIG_COMP_CNT: 2
; COMPUTE_PGM_RSRC3_GFX90A:ACCUM_OFFSET: 16
; COMPUTE_PGM_RSRC3_GFX90A:TG_SPLIT: 0
	.section	.text._ZN7rocprim17ROCPRIM_304000_NS6detail25onesweep_iteration_kernelINS1_34wrapped_radix_sort_onesweep_configINS0_14default_configE6__halfN2at4cuda3cub6detail10OpaqueTypeILi8EEEEELb1EPS5_SD_PSB_SE_mNS0_19identity_decomposerEEEvT1_T2_T3_T4_jPT5_SL_PNS1_23onesweep_lookback_stateET6_jjj,"axG",@progbits,_ZN7rocprim17ROCPRIM_304000_NS6detail25onesweep_iteration_kernelINS1_34wrapped_radix_sort_onesweep_configINS0_14default_configE6__halfN2at4cuda3cub6detail10OpaqueTypeILi8EEEEELb1EPS5_SD_PSB_SE_mNS0_19identity_decomposerEEEvT1_T2_T3_T4_jPT5_SL_PNS1_23onesweep_lookback_stateET6_jjj,comdat
	.protected	_ZN7rocprim17ROCPRIM_304000_NS6detail25onesweep_iteration_kernelINS1_34wrapped_radix_sort_onesweep_configINS0_14default_configE6__halfN2at4cuda3cub6detail10OpaqueTypeILi8EEEEELb1EPS5_SD_PSB_SE_mNS0_19identity_decomposerEEEvT1_T2_T3_T4_jPT5_SL_PNS1_23onesweep_lookback_stateET6_jjj ; -- Begin function _ZN7rocprim17ROCPRIM_304000_NS6detail25onesweep_iteration_kernelINS1_34wrapped_radix_sort_onesweep_configINS0_14default_configE6__halfN2at4cuda3cub6detail10OpaqueTypeILi8EEEEELb1EPS5_SD_PSB_SE_mNS0_19identity_decomposerEEEvT1_T2_T3_T4_jPT5_SL_PNS1_23onesweep_lookback_stateET6_jjj
	.globl	_ZN7rocprim17ROCPRIM_304000_NS6detail25onesweep_iteration_kernelINS1_34wrapped_radix_sort_onesweep_configINS0_14default_configE6__halfN2at4cuda3cub6detail10OpaqueTypeILi8EEEEELb1EPS5_SD_PSB_SE_mNS0_19identity_decomposerEEEvT1_T2_T3_T4_jPT5_SL_PNS1_23onesweep_lookback_stateET6_jjj
	.p2align	8
	.type	_ZN7rocprim17ROCPRIM_304000_NS6detail25onesweep_iteration_kernelINS1_34wrapped_radix_sort_onesweep_configINS0_14default_configE6__halfN2at4cuda3cub6detail10OpaqueTypeILi8EEEEELb1EPS5_SD_PSB_SE_mNS0_19identity_decomposerEEEvT1_T2_T3_T4_jPT5_SL_PNS1_23onesweep_lookback_stateET6_jjj,@function
_ZN7rocprim17ROCPRIM_304000_NS6detail25onesweep_iteration_kernelINS1_34wrapped_radix_sort_onesweep_configINS0_14default_configE6__halfN2at4cuda3cub6detail10OpaqueTypeILi8EEEEELb1EPS5_SD_PSB_SE_mNS0_19identity_decomposerEEEvT1_T2_T3_T4_jPT5_SL_PNS1_23onesweep_lookback_stateET6_jjj: ; @_ZN7rocprim17ROCPRIM_304000_NS6detail25onesweep_iteration_kernelINS1_34wrapped_radix_sort_onesweep_configINS0_14default_configE6__halfN2at4cuda3cub6detail10OpaqueTypeILi8EEEEELb1EPS5_SD_PSB_SE_mNS0_19identity_decomposerEEEvT1_T2_T3_T4_jPT5_SL_PNS1_23onesweep_lookback_stateET6_jjj
; %bb.0:
	s_load_dwordx8 s[56:63], s[0:1], 0x0
	s_load_dwordx4 s[68:71], s[0:1], 0x44
	s_load_dwordx4 s[64:67], s[0:1], 0x28
	s_load_dwordx2 s[72:73], s[0:1], 0x38
	s_mov_b32 s3, s2
	s_mov_b64 s[4:5], -1
	s_waitcnt lgkmcnt(0)
	s_cmp_ge_u32 s2, s70
	s_mul_i32 s54, s2, 0xc00
	v_mbcnt_lo_u32_b32 v1, -1, 0
	s_cbranch_scc0 .LBB192_152
; %bb.1:
	s_load_dword s6, s[0:1], 0x20
	s_mulk_i32 s70, 0xf400
	s_mov_b32 s55, 0
	s_lshl_b64 s[4:5], s[54:55], 1
	v_mbcnt_hi_u32_b32 v3, -1, v1
	s_waitcnt lgkmcnt(0)
	s_add_i32 s70, s70, s6
	s_add_u32 s4, s56, s4
	v_and_b32_e32 v8, 0xc0, v0
	s_addc_u32 s5, s57, s5
	v_mul_u32_u24_e32 v14, 12, v8
	v_mov_b32_e32 v5, 0
	v_lshlrev_b32_e32 v4, 1, v3
	v_lshl_add_u64 v[6:7], s[4:5], 0, v[4:5]
	v_lshlrev_b32_e32 v4, 1, v14
	v_lshl_add_u64 v[4:5], v[6:7], 0, v[4:5]
	v_or_b32_e32 v7, v3, v14
	v_cmp_gt_u32_e32 vcc, s70, v7
	v_mov_b32_e32 v11, -1
	v_mov_b32_e32 v6, -1
	s_and_saveexec_b64 s[4:5], vcc
	s_cbranch_execz .LBB192_3
; %bb.2:
	global_load_ushort v6, v[4:5], off
.LBB192_3:
	s_or_b64 exec, exec, s[4:5]
	v_add_u32_e32 v2, 64, v7
	v_cmp_gt_u32_e64 s[50:51], s70, v2
	s_and_saveexec_b64 s[4:5], s[50:51]
	s_cbranch_execz .LBB192_5
; %bb.4:
	global_load_ushort v11, v[4:5], off offset:128
.LBB192_5:
	s_or_b64 exec, exec, s[4:5]
	v_add_u32_e32 v2, 0x80, v7
	v_cmp_gt_u32_e64 s[4:5], s70, v2
	v_mov_b32_e32 v23, -1
	v_mov_b32_e32 v19, -1
	s_and_saveexec_b64 s[6:7], s[4:5]
	s_cbranch_execz .LBB192_7
; %bb.6:
	global_load_ushort v19, v[4:5], off offset:256
.LBB192_7:
	s_or_b64 exec, exec, s[6:7]
	v_add_u32_e32 v2, 0xc0, v7
	v_cmp_gt_u32_e64 s[6:7], s70, v2
	s_and_saveexec_b64 s[8:9], s[6:7]
	s_cbranch_execz .LBB192_9
; %bb.8:
	global_load_ushort v23, v[4:5], off offset:384
.LBB192_9:
	s_or_b64 exec, exec, s[8:9]
	v_add_u32_e32 v2, 0x100, v7
	v_cmp_gt_u32_e64 s[8:9], s70, v2
	v_mov_b32_e32 v35, -1
	v_mov_b32_e32 v29, -1
	s_and_saveexec_b64 s[10:11], s[8:9]
	s_cbranch_execz .LBB192_11
; %bb.10:
	global_load_ushort v29, v[4:5], off offset:512
.LBB192_11:
	;; [unrolled: 18-line block ×5, first 2 shown]
	s_or_b64 exec, exec, s[10:11]
	v_add_u32_e32 v7, 0x2c0, v7
	v_and_b32_e32 v2, 0x3ff, v0
	v_cmp_gt_u32_e64 s[10:11], s70, v7
	s_and_saveexec_b64 s[24:25], s[10:11]
	s_cbranch_execz .LBB192_25
; %bb.24:
	global_load_ushort v16, v[4:5], off offset:1408
.LBB192_25:
	s_or_b64 exec, exec, s[24:25]
	s_load_dword s24, s[0:1], 0x5c
	s_load_dword s33, s[0:1], 0x50
	s_add_u32 s25, s0, 0x50
	s_addc_u32 s26, s1, 0
	v_mov_b32_e32 v5, 0
	s_waitcnt lgkmcnt(0)
	s_lshr_b32 s27, s24, 16
	s_cmp_lt_u32 s2, s33
	s_cselect_b32 s24, 12, 18
	s_add_u32 s24, s25, s24
	s_addc_u32 s25, s26, 0
	global_load_ushort v17, v5, s[24:25]
	v_mov_b32_e32 v15, 0x7fff
	s_waitcnt vmcnt(1)
	v_cmp_gt_i16_e64 s[24:25], 0, v6
	s_movk_i32 s40, 0x8000
	v_bfe_u32 v4, v0, 10, 10
	v_cndmask_b32_e64 v10, v15, 0, s[24:25]
	v_xor_b32_e32 v10, v10, v6
	v_cmp_ne_u16_e64 s[24:25], s40, v10
	v_bfe_u32 v7, v0, 20, 10
	v_mad_u32_u24 v18, v7, s27, v4
	v_cndmask_b32_e64 v6, v15, v10, s[24:25]
	v_lshrrev_b32_sdwa v6, s68, v6 dst_sel:DWORD dst_unused:UNUSED_PAD src0_sel:DWORD src1_sel:WORD_0
	s_lshl_b32 s24, -1, s69
	v_bitop3_b32 v20, v6, s24, v6 bitop3:0x30
	v_and_b32_e32 v4, 1, v20
	v_lshlrev_b32_e32 v13, 30, v20
	v_mov_b32_e32 v12, v5
	v_mov_b32_e32 v24, v5
	s_not_b32 s74, s24
	v_lshlrev_b32_e32 v25, 29, v20
	v_lshlrev_b32_e32 v43, 25, v20
	v_lshl_add_u64 v[6:7], v[4:5], 0, -1
	v_cmp_ne_u32_e64 s[24:25], 0, v4
	v_not_b32_e32 v4, v13
	v_lshlrev_b32_e32 v33, 28, v20
	v_cmp_gt_i64_e64 s[26:27], 0, v[12:13]
	v_cmp_gt_i64_e64 s[28:29], 0, v[24:25]
	v_not_b32_e32 v12, v25
	v_not_b32_e32 v25, v43
	v_xor_b32_e32 v7, s25, v7
	v_ashrrev_i32_e32 v4, 31, v4
	v_mov_b32_e32 v32, v5
	v_lshlrev_b32_e32 v37, 27, v20
	v_not_b32_e32 v13, v33
	v_xor_b32_e32 v6, s24, v6
	v_ashrrev_i32_e32 v12, 31, v12
	v_ashrrev_i32_e32 v27, 31, v25
	v_and_b32_e32 v7, exec_hi, v7
	v_xor_b32_e32 v25, s27, v4
	v_mov_b32_e32 v36, v5
	v_lshlrev_b32_e32 v41, 26, v20
	v_cmp_gt_i64_e64 s[30:31], 0, v[32:33]
	v_not_b32_e32 v22, v37
	v_ashrrev_i32_e32 v13, 31, v13
	v_and_b32_e32 v6, exec_lo, v6
	v_xor_b32_e32 v4, s26, v4
	v_xor_b32_e32 v28, s29, v12
	v_and_b32_e32 v7, v7, v25
	v_mov_b32_e32 v40, v5
	v_cmp_gt_i64_e64 s[34:35], 0, v[36:37]
	v_not_b32_e32 v24, v41
	v_ashrrev_i32_e32 v22, 31, v22
	v_xor_b32_e32 v30, s31, v13
	v_and_b32_e32 v4, v6, v4
	v_and_b32_e32 v6, v7, v28
	v_cmp_gt_i64_e64 s[36:37], 0, v[40:41]
	v_ashrrev_i32_e32 v24, 31, v24
	v_xor_b32_e32 v12, s28, v12
	v_xor_b32_e32 v32, s35, v22
	v_and_b32_e32 v6, v6, v30
	v_xor_b32_e32 v13, s30, v13
	v_xor_b32_e32 v33, s37, v24
	v_and_b32_e32 v4, v4, v12
	v_and_b32_e32 v6, v6, v32
	v_mov_b32_e32 v42, v5
	v_xor_b32_e32 v22, s34, v22
	v_and_b32_e32 v4, v4, v13
	v_and_b32_e32 v12, v6, v33
	v_cmp_gt_i64_e64 s[38:39], 0, v[42:43]
	v_xor_b32_e32 v24, s36, v24
	v_and_b32_e32 v4, v4, v22
	v_and_b32_e32 v4, v4, v24
	v_mul_u32_u24_e32 v9, 20, v2
	ds_write2_b32 v9, v5, v5 offset0:4 offset1:5
	ds_write2_b32 v9, v5, v5 offset0:6 offset1:7
	ds_write_b32 v9, v5 offset:32
	s_waitcnt lgkmcnt(0)
	s_barrier
	s_waitcnt vmcnt(0)
	; wave barrier
	v_mad_u64_u32 v[6:7], s[24:25], v18, v17, v[2:3]
	v_lshrrev_b32_e32 v6, 6, v6
	v_lshlrev_b32_e32 v25, 2, v6
	v_xor_b32_e32 v6, s39, v27
	v_xor_b32_e32 v7, s38, v27
	v_and_b32_e32 v12, v12, v6
	v_and_b32_e32 v4, v4, v7
	v_lshlrev_b32_e32 v7, 24, v20
	v_mov_b32_e32 v6, v5
	v_cmp_gt_i64_e64 s[24:25], 0, v[6:7]
	v_not_b32_e32 v6, v7
	v_ashrrev_i32_e32 v6, 31, v6
	v_xor_b32_e32 v7, s25, v6
	v_xor_b32_e32 v6, s24, v6
	v_and_b32_e32 v6, v4, v6
	v_and_b32_e32 v7, v12, v7
	v_mbcnt_lo_u32_b32 v4, v6, 0
	v_mbcnt_hi_u32_b32 v12, v7, v4
	v_cmp_eq_u32_e64 s[24:25], 0, v12
	v_cmp_ne_u64_e64 s[26:27], 0, v[6:7]
	v_mad_u32_u24 v13, v20, 20, v25
	s_and_b64 s[26:27], s[26:27], s[24:25]
	s_and_saveexec_b64 s[24:25], s[26:27]
; %bb.26:
	v_bcnt_u32_b32 v4, v6, 0
	v_bcnt_u32_b32 v4, v7, v4
	ds_write_b32 v13, v4 offset:16
; %bb.27:
	s_or_b64 exec, exec, s[24:25]
	v_cmp_gt_i16_e64 s[24:25], 0, v11
	; wave barrier
	s_nop 1
	v_cndmask_b32_e64 v4, v15, 0, s[24:25]
	v_xor_b32_e32 v11, v4, v11
	v_cmp_ne_u16_e64 s[24:25], s40, v11
	s_nop 1
	v_cndmask_b32_e64 v4, v15, v11, s[24:25]
	v_lshrrev_b32_sdwa v4, s68, v4 dst_sel:DWORD dst_unused:UNUSED_PAD src0_sel:DWORD src1_sel:WORD_0
	v_and_b32_e32 v18, s74, v4
	v_and_b32_e32 v4, 1, v18
	v_lshl_add_u64 v[6:7], v[4:5], 0, -1
	v_cmp_ne_u32_e64 s[24:25], 0, v4
	v_mad_u32_u24 v17, v18, 20, v25
	ds_read_b32 v15, v17 offset:16
	v_xor_b32_e32 v6, s24, v6
	v_xor_b32_e32 v4, s25, v7
	v_and_b32_e32 v20, exec_lo, v6
	v_lshlrev_b32_e32 v7, 30, v18
	v_mov_b32_e32 v6, v5
	v_cmp_gt_i64_e64 s[24:25], 0, v[6:7]
	v_not_b32_e32 v6, v7
	v_ashrrev_i32_e32 v6, 31, v6
	v_and_b32_e32 v4, exec_hi, v4
	v_xor_b32_e32 v7, s25, v6
	v_xor_b32_e32 v6, s24, v6
	v_and_b32_e32 v4, v4, v7
	v_and_b32_e32 v20, v20, v6
	v_lshlrev_b32_e32 v7, 29, v18
	v_mov_b32_e32 v6, v5
	v_cmp_gt_i64_e64 s[24:25], 0, v[6:7]
	v_not_b32_e32 v6, v7
	v_ashrrev_i32_e32 v6, 31, v6
	v_xor_b32_e32 v7, s25, v6
	v_xor_b32_e32 v6, s24, v6
	v_and_b32_e32 v4, v4, v7
	v_and_b32_e32 v20, v20, v6
	v_lshlrev_b32_e32 v7, 28, v18
	v_mov_b32_e32 v6, v5
	v_cmp_gt_i64_e64 s[24:25], 0, v[6:7]
	v_not_b32_e32 v6, v7
	v_ashrrev_i32_e32 v6, 31, v6
	v_xor_b32_e32 v7, s25, v6
	v_xor_b32_e32 v6, s24, v6
	v_and_b32_e32 v4, v4, v7
	v_and_b32_e32 v20, v20, v6
	v_lshlrev_b32_e32 v7, 27, v18
	v_mov_b32_e32 v6, v5
	v_cmp_gt_i64_e64 s[24:25], 0, v[6:7]
	v_not_b32_e32 v6, v7
	v_ashrrev_i32_e32 v6, 31, v6
	v_xor_b32_e32 v7, s25, v6
	v_xor_b32_e32 v6, s24, v6
	v_and_b32_e32 v4, v4, v7
	v_and_b32_e32 v20, v20, v6
	v_lshlrev_b32_e32 v7, 26, v18
	v_mov_b32_e32 v6, v5
	v_cmp_gt_i64_e64 s[24:25], 0, v[6:7]
	v_not_b32_e32 v6, v7
	v_ashrrev_i32_e32 v6, 31, v6
	v_xor_b32_e32 v7, s25, v6
	v_xor_b32_e32 v6, s24, v6
	v_and_b32_e32 v4, v4, v7
	v_and_b32_e32 v20, v20, v6
	v_lshlrev_b32_e32 v7, 25, v18
	v_mov_b32_e32 v6, v5
	v_cmp_gt_i64_e64 s[24:25], 0, v[6:7]
	v_not_b32_e32 v6, v7
	v_ashrrev_i32_e32 v6, 31, v6
	v_xor_b32_e32 v7, s25, v6
	v_xor_b32_e32 v6, s24, v6
	v_and_b32_e32 v4, v4, v7
	v_lshlrev_b32_e32 v7, 24, v18
	v_and_b32_e32 v20, v20, v6
	v_mov_b32_e32 v6, v5
	v_not_b32_e32 v5, v7
	v_cmp_gt_i64_e64 s[24:25], 0, v[6:7]
	v_ashrrev_i32_e32 v5, 31, v5
	s_nop 0
	v_xor_b32_e32 v6, s25, v5
	v_xor_b32_e32 v7, s24, v5
	v_and_b32_e32 v5, v4, v6
	v_and_b32_e32 v4, v20, v7
	v_mbcnt_lo_u32_b32 v6, v4, 0
	v_mbcnt_hi_u32_b32 v18, v5, v6
	v_cmp_eq_u32_e64 s[24:25], 0, v18
	v_cmp_ne_u64_e64 s[26:27], 0, v[4:5]
	s_and_b64 s[26:27], s[26:27], s[24:25]
	; wave barrier
	s_and_saveexec_b64 s[24:25], s[26:27]
	s_cbranch_execz .LBB192_29
; %bb.28:
	v_bcnt_u32_b32 v4, v4, 0
	v_bcnt_u32_b32 v4, v5, v4
	s_waitcnt lgkmcnt(0)
	v_add_u32_e32 v4, v15, v4
	ds_write_b32 v17, v4 offset:16
.LBB192_29:
	s_or_b64 exec, exec, s[24:25]
	v_mov_b32_e32 v27, 0x7fff
	v_cmp_gt_i16_e64 s[24:25], 0, v19
	s_movk_i32 s28, 0x8000
	v_mov_b32_e32 v5, 0
	v_cndmask_b32_e64 v4, v27, 0, s[24:25]
	v_xor_b32_e32 v19, v4, v19
	v_cmp_ne_u16_e64 s[24:25], s28, v19
	; wave barrier
	s_nop 1
	v_cndmask_b32_e64 v4, v27, v19, s[24:25]
	v_lshrrev_b32_sdwa v4, s68, v4 dst_sel:DWORD dst_unused:UNUSED_PAD src0_sel:DWORD src1_sel:WORD_0
	v_and_b32_e32 v24, s74, v4
	v_and_b32_e32 v4, 1, v24
	v_lshl_add_u64 v[6:7], v[4:5], 0, -1
	v_cmp_ne_u32_e64 s[24:25], 0, v4
	v_mad_u32_u24 v22, v24, 20, v25
	ds_read_b32 v20, v22 offset:16
	v_xor_b32_e32 v6, s24, v6
	v_xor_b32_e32 v4, s25, v7
	v_and_b32_e32 v28, exec_lo, v6
	v_lshlrev_b32_e32 v7, 30, v24
	v_mov_b32_e32 v6, v5
	v_cmp_gt_i64_e64 s[24:25], 0, v[6:7]
	v_not_b32_e32 v6, v7
	v_ashrrev_i32_e32 v6, 31, v6
	v_and_b32_e32 v4, exec_hi, v4
	v_xor_b32_e32 v7, s25, v6
	v_xor_b32_e32 v6, s24, v6
	v_and_b32_e32 v4, v4, v7
	v_and_b32_e32 v28, v28, v6
	v_lshlrev_b32_e32 v7, 29, v24
	v_mov_b32_e32 v6, v5
	v_cmp_gt_i64_e64 s[24:25], 0, v[6:7]
	v_not_b32_e32 v6, v7
	v_ashrrev_i32_e32 v6, 31, v6
	v_xor_b32_e32 v7, s25, v6
	v_xor_b32_e32 v6, s24, v6
	v_and_b32_e32 v4, v4, v7
	v_and_b32_e32 v28, v28, v6
	v_lshlrev_b32_e32 v7, 28, v24
	v_mov_b32_e32 v6, v5
	v_cmp_gt_i64_e64 s[24:25], 0, v[6:7]
	v_not_b32_e32 v6, v7
	v_ashrrev_i32_e32 v6, 31, v6
	v_xor_b32_e32 v7, s25, v6
	v_xor_b32_e32 v6, s24, v6
	v_and_b32_e32 v4, v4, v7
	v_and_b32_e32 v28, v28, v6
	v_lshlrev_b32_e32 v7, 27, v24
	v_mov_b32_e32 v6, v5
	v_cmp_gt_i64_e64 s[24:25], 0, v[6:7]
	v_not_b32_e32 v6, v7
	v_ashrrev_i32_e32 v6, 31, v6
	v_xor_b32_e32 v7, s25, v6
	v_xor_b32_e32 v6, s24, v6
	v_and_b32_e32 v4, v4, v7
	v_and_b32_e32 v28, v28, v6
	v_lshlrev_b32_e32 v7, 26, v24
	v_mov_b32_e32 v6, v5
	v_cmp_gt_i64_e64 s[24:25], 0, v[6:7]
	v_not_b32_e32 v6, v7
	v_ashrrev_i32_e32 v6, 31, v6
	v_xor_b32_e32 v7, s25, v6
	v_xor_b32_e32 v6, s24, v6
	v_and_b32_e32 v4, v4, v7
	v_and_b32_e32 v28, v28, v6
	v_lshlrev_b32_e32 v7, 25, v24
	v_mov_b32_e32 v6, v5
	v_cmp_gt_i64_e64 s[24:25], 0, v[6:7]
	v_not_b32_e32 v6, v7
	v_ashrrev_i32_e32 v6, 31, v6
	v_xor_b32_e32 v7, s25, v6
	v_xor_b32_e32 v6, s24, v6
	v_and_b32_e32 v4, v4, v7
	v_and_b32_e32 v28, v28, v6
	v_lshlrev_b32_e32 v7, 24, v24
	v_mov_b32_e32 v6, v5
	v_cmp_gt_i64_e64 s[24:25], 0, v[6:7]
	v_not_b32_e32 v6, v7
	v_ashrrev_i32_e32 v6, 31, v6
	v_xor_b32_e32 v7, s25, v6
	v_xor_b32_e32 v6, s24, v6
	v_and_b32_e32 v6, v28, v6
	v_and_b32_e32 v7, v4, v7
	v_mbcnt_lo_u32_b32 v4, v6, 0
	v_mbcnt_hi_u32_b32 v24, v7, v4
	v_cmp_eq_u32_e64 s[24:25], 0, v24
	v_cmp_ne_u64_e64 s[26:27], 0, v[6:7]
	s_and_b64 s[26:27], s[26:27], s[24:25]
	; wave barrier
	s_and_saveexec_b64 s[24:25], s[26:27]
	s_cbranch_execz .LBB192_31
; %bb.30:
	v_bcnt_u32_b32 v4, v6, 0
	v_bcnt_u32_b32 v4, v7, v4
	s_waitcnt lgkmcnt(0)
	v_add_u32_e32 v4, v20, v4
	ds_write_b32 v22, v4 offset:16
.LBB192_31:
	s_or_b64 exec, exec, s[24:25]
	v_cmp_gt_i16_e64 s[24:25], 0, v23
	; wave barrier
	s_nop 1
	v_cndmask_b32_e64 v4, v27, 0, s[24:25]
	v_xor_b32_e32 v23, v4, v23
	v_cmp_ne_u16_e64 s[24:25], s28, v23
	s_nop 1
	v_cndmask_b32_e64 v4, v27, v23, s[24:25]
	v_lshrrev_b32_sdwa v4, s68, v4 dst_sel:DWORD dst_unused:UNUSED_PAD src0_sel:DWORD src1_sel:WORD_0
	v_and_b32_e32 v30, s74, v4
	v_and_b32_e32 v4, 1, v30
	v_lshl_add_u64 v[6:7], v[4:5], 0, -1
	v_cmp_ne_u32_e64 s[24:25], 0, v4
	v_mad_u32_u24 v28, v30, 20, v25
	ds_read_b32 v27, v28 offset:16
	v_xor_b32_e32 v6, s24, v6
	v_xor_b32_e32 v4, s25, v7
	v_and_b32_e32 v32, exec_lo, v6
	v_lshlrev_b32_e32 v7, 30, v30
	v_mov_b32_e32 v6, v5
	v_cmp_gt_i64_e64 s[24:25], 0, v[6:7]
	v_not_b32_e32 v6, v7
	v_ashrrev_i32_e32 v6, 31, v6
	v_and_b32_e32 v4, exec_hi, v4
	v_xor_b32_e32 v7, s25, v6
	v_xor_b32_e32 v6, s24, v6
	v_and_b32_e32 v4, v4, v7
	v_and_b32_e32 v32, v32, v6
	v_lshlrev_b32_e32 v7, 29, v30
	v_mov_b32_e32 v6, v5
	v_cmp_gt_i64_e64 s[24:25], 0, v[6:7]
	v_not_b32_e32 v6, v7
	v_ashrrev_i32_e32 v6, 31, v6
	v_xor_b32_e32 v7, s25, v6
	v_xor_b32_e32 v6, s24, v6
	v_and_b32_e32 v4, v4, v7
	v_and_b32_e32 v32, v32, v6
	v_lshlrev_b32_e32 v7, 28, v30
	v_mov_b32_e32 v6, v5
	v_cmp_gt_i64_e64 s[24:25], 0, v[6:7]
	v_not_b32_e32 v6, v7
	v_ashrrev_i32_e32 v6, 31, v6
	;; [unrolled: 9-line block ×5, first 2 shown]
	v_xor_b32_e32 v7, s25, v6
	v_xor_b32_e32 v6, s24, v6
	v_and_b32_e32 v4, v4, v7
	v_lshlrev_b32_e32 v7, 24, v30
	v_and_b32_e32 v32, v32, v6
	v_mov_b32_e32 v6, v5
	v_not_b32_e32 v5, v7
	v_cmp_gt_i64_e64 s[24:25], 0, v[6:7]
	v_ashrrev_i32_e32 v5, 31, v5
	s_nop 0
	v_xor_b32_e32 v6, s25, v5
	v_xor_b32_e32 v7, s24, v5
	v_and_b32_e32 v5, v4, v6
	v_and_b32_e32 v4, v32, v7
	v_mbcnt_lo_u32_b32 v6, v4, 0
	v_mbcnt_hi_u32_b32 v30, v5, v6
	v_cmp_eq_u32_e64 s[24:25], 0, v30
	v_cmp_ne_u64_e64 s[26:27], 0, v[4:5]
	s_and_b64 s[26:27], s[26:27], s[24:25]
	; wave barrier
	s_and_saveexec_b64 s[24:25], s[26:27]
	s_cbranch_execz .LBB192_33
; %bb.32:
	v_bcnt_u32_b32 v4, v4, 0
	v_bcnt_u32_b32 v4, v5, v4
	s_waitcnt lgkmcnt(0)
	v_add_u32_e32 v4, v27, v4
	ds_write_b32 v28, v4 offset:16
.LBB192_33:
	s_or_b64 exec, exec, s[24:25]
	v_mov_b32_e32 v37, 0x7fff
	v_cmp_gt_i16_e64 s[24:25], 0, v29
	v_mov_b32_e32 v5, 0
	s_nop 0
	v_cndmask_b32_e64 v4, v37, 0, s[24:25]
	v_xor_b32_e32 v29, v4, v29
	v_cmp_ne_u16_e64 s[24:25], s28, v29
	; wave barrier
	s_nop 1
	v_cndmask_b32_e64 v4, v37, v29, s[24:25]
	v_lshrrev_b32_sdwa v4, s68, v4 dst_sel:DWORD dst_unused:UNUSED_PAD src0_sel:DWORD src1_sel:WORD_0
	v_and_b32_e32 v36, s74, v4
	v_and_b32_e32 v4, 1, v36
	v_lshl_add_u64 v[6:7], v[4:5], 0, -1
	v_cmp_ne_u32_e64 s[24:25], 0, v4
	v_mad_u32_u24 v33, v36, 20, v25
	ds_read_b32 v32, v33 offset:16
	v_xor_b32_e32 v6, s24, v6
	v_xor_b32_e32 v4, s25, v7
	v_and_b32_e32 v38, exec_lo, v6
	v_lshlrev_b32_e32 v7, 30, v36
	v_mov_b32_e32 v6, v5
	v_cmp_gt_i64_e64 s[24:25], 0, v[6:7]
	v_not_b32_e32 v6, v7
	v_ashrrev_i32_e32 v6, 31, v6
	v_and_b32_e32 v4, exec_hi, v4
	v_xor_b32_e32 v7, s25, v6
	v_xor_b32_e32 v6, s24, v6
	v_and_b32_e32 v4, v4, v7
	v_and_b32_e32 v38, v38, v6
	v_lshlrev_b32_e32 v7, 29, v36
	v_mov_b32_e32 v6, v5
	v_cmp_gt_i64_e64 s[24:25], 0, v[6:7]
	v_not_b32_e32 v6, v7
	v_ashrrev_i32_e32 v6, 31, v6
	v_xor_b32_e32 v7, s25, v6
	v_xor_b32_e32 v6, s24, v6
	v_and_b32_e32 v4, v4, v7
	v_and_b32_e32 v38, v38, v6
	v_lshlrev_b32_e32 v7, 28, v36
	v_mov_b32_e32 v6, v5
	v_cmp_gt_i64_e64 s[24:25], 0, v[6:7]
	v_not_b32_e32 v6, v7
	v_ashrrev_i32_e32 v6, 31, v6
	;; [unrolled: 9-line block ×6, first 2 shown]
	v_xor_b32_e32 v7, s25, v6
	v_xor_b32_e32 v6, s24, v6
	v_and_b32_e32 v6, v38, v6
	v_and_b32_e32 v7, v4, v7
	v_mbcnt_lo_u32_b32 v4, v6, 0
	v_mbcnt_hi_u32_b32 v36, v7, v4
	v_cmp_eq_u32_e64 s[24:25], 0, v36
	v_cmp_ne_u64_e64 s[26:27], 0, v[6:7]
	s_and_b64 s[26:27], s[26:27], s[24:25]
	; wave barrier
	s_and_saveexec_b64 s[24:25], s[26:27]
	s_cbranch_execz .LBB192_35
; %bb.34:
	v_bcnt_u32_b32 v4, v6, 0
	v_bcnt_u32_b32 v4, v7, v4
	s_waitcnt lgkmcnt(0)
	v_add_u32_e32 v4, v32, v4
	ds_write_b32 v33, v4 offset:16
.LBB192_35:
	s_or_b64 exec, exec, s[24:25]
	v_cmp_gt_i16_e64 s[24:25], 0, v35
	; wave barrier
	s_nop 1
	v_cndmask_b32_e64 v4, v37, 0, s[24:25]
	v_xor_b32_e32 v35, v4, v35
	v_cmp_ne_u16_e64 s[24:25], s28, v35
	s_nop 1
	v_cndmask_b32_e64 v4, v37, v35, s[24:25]
	v_lshrrev_b32_sdwa v4, s68, v4 dst_sel:DWORD dst_unused:UNUSED_PAD src0_sel:DWORD src1_sel:WORD_0
	v_and_b32_e32 v40, s74, v4
	v_and_b32_e32 v4, 1, v40
	v_lshl_add_u64 v[6:7], v[4:5], 0, -1
	v_cmp_ne_u32_e64 s[24:25], 0, v4
	v_mad_u32_u24 v38, v40, 20, v25
	ds_read_b32 v37, v38 offset:16
	v_xor_b32_e32 v6, s24, v6
	v_xor_b32_e32 v4, s25, v7
	v_and_b32_e32 v41, exec_lo, v6
	v_lshlrev_b32_e32 v7, 30, v40
	v_mov_b32_e32 v6, v5
	v_cmp_gt_i64_e64 s[24:25], 0, v[6:7]
	v_not_b32_e32 v6, v7
	v_ashrrev_i32_e32 v6, 31, v6
	v_and_b32_e32 v4, exec_hi, v4
	v_xor_b32_e32 v7, s25, v6
	v_xor_b32_e32 v6, s24, v6
	v_and_b32_e32 v4, v4, v7
	v_and_b32_e32 v41, v41, v6
	v_lshlrev_b32_e32 v7, 29, v40
	v_mov_b32_e32 v6, v5
	v_cmp_gt_i64_e64 s[24:25], 0, v[6:7]
	v_not_b32_e32 v6, v7
	v_ashrrev_i32_e32 v6, 31, v6
	v_xor_b32_e32 v7, s25, v6
	v_xor_b32_e32 v6, s24, v6
	v_and_b32_e32 v4, v4, v7
	v_and_b32_e32 v41, v41, v6
	v_lshlrev_b32_e32 v7, 28, v40
	v_mov_b32_e32 v6, v5
	v_cmp_gt_i64_e64 s[24:25], 0, v[6:7]
	v_not_b32_e32 v6, v7
	v_ashrrev_i32_e32 v6, 31, v6
	;; [unrolled: 9-line block ×5, first 2 shown]
	v_xor_b32_e32 v7, s25, v6
	v_xor_b32_e32 v6, s24, v6
	v_and_b32_e32 v4, v4, v7
	v_lshlrev_b32_e32 v7, 24, v40
	v_and_b32_e32 v41, v41, v6
	v_mov_b32_e32 v6, v5
	v_not_b32_e32 v5, v7
	v_cmp_gt_i64_e64 s[24:25], 0, v[6:7]
	v_ashrrev_i32_e32 v5, 31, v5
	s_nop 0
	v_xor_b32_e32 v6, s25, v5
	v_xor_b32_e32 v7, s24, v5
	v_and_b32_e32 v5, v4, v6
	v_and_b32_e32 v4, v41, v7
	v_mbcnt_lo_u32_b32 v6, v4, 0
	v_mbcnt_hi_u32_b32 v40, v5, v6
	v_cmp_eq_u32_e64 s[24:25], 0, v40
	v_cmp_ne_u64_e64 s[26:27], 0, v[4:5]
	s_and_b64 s[26:27], s[26:27], s[24:25]
	; wave barrier
	s_and_saveexec_b64 s[24:25], s[26:27]
	s_cbranch_execz .LBB192_37
; %bb.36:
	v_bcnt_u32_b32 v4, v4, 0
	v_bcnt_u32_b32 v4, v5, v4
	s_waitcnt lgkmcnt(0)
	v_add_u32_e32 v4, v37, v4
	ds_write_b32 v38, v4 offset:16
.LBB192_37:
	s_or_b64 exec, exec, s[24:25]
	v_mov_b32_e32 v44, 0x7fff
	v_cmp_gt_i16_e64 s[24:25], 0, v39
	v_mov_b32_e32 v5, 0
	s_nop 0
	v_cndmask_b32_e64 v4, v44, 0, s[24:25]
	v_xor_b32_e32 v39, v4, v39
	v_cmp_ne_u16_e64 s[24:25], s28, v39
	; wave barrier
	s_nop 1
	v_cndmask_b32_e64 v4, v44, v39, s[24:25]
	v_lshrrev_b32_sdwa v4, s68, v4 dst_sel:DWORD dst_unused:UNUSED_PAD src0_sel:DWORD src1_sel:WORD_0
	v_and_b32_e32 v43, s74, v4
	v_and_b32_e32 v4, 1, v43
	v_lshl_add_u64 v[6:7], v[4:5], 0, -1
	v_cmp_ne_u32_e64 s[24:25], 0, v4
	v_mad_u32_u24 v42, v43, 20, v25
	ds_read_b32 v41, v42 offset:16
	v_xor_b32_e32 v6, s24, v6
	v_xor_b32_e32 v4, s25, v7
	v_and_b32_e32 v45, exec_lo, v6
	v_lshlrev_b32_e32 v7, 30, v43
	v_mov_b32_e32 v6, v5
	v_cmp_gt_i64_e64 s[24:25], 0, v[6:7]
	v_not_b32_e32 v6, v7
	v_ashrrev_i32_e32 v6, 31, v6
	v_and_b32_e32 v4, exec_hi, v4
	v_xor_b32_e32 v7, s25, v6
	v_xor_b32_e32 v6, s24, v6
	v_and_b32_e32 v4, v4, v7
	v_and_b32_e32 v45, v45, v6
	v_lshlrev_b32_e32 v7, 29, v43
	v_mov_b32_e32 v6, v5
	v_cmp_gt_i64_e64 s[24:25], 0, v[6:7]
	v_not_b32_e32 v6, v7
	v_ashrrev_i32_e32 v6, 31, v6
	v_xor_b32_e32 v7, s25, v6
	v_xor_b32_e32 v6, s24, v6
	v_and_b32_e32 v4, v4, v7
	v_and_b32_e32 v45, v45, v6
	v_lshlrev_b32_e32 v7, 28, v43
	v_mov_b32_e32 v6, v5
	v_cmp_gt_i64_e64 s[24:25], 0, v[6:7]
	v_not_b32_e32 v6, v7
	v_ashrrev_i32_e32 v6, 31, v6
	;; [unrolled: 9-line block ×6, first 2 shown]
	v_xor_b32_e32 v7, s25, v6
	v_xor_b32_e32 v6, s24, v6
	v_and_b32_e32 v6, v45, v6
	v_and_b32_e32 v7, v4, v7
	v_mbcnt_lo_u32_b32 v4, v6, 0
	v_mbcnt_hi_u32_b32 v43, v7, v4
	v_cmp_eq_u32_e64 s[24:25], 0, v43
	v_cmp_ne_u64_e64 s[26:27], 0, v[6:7]
	s_and_b64 s[26:27], s[26:27], s[24:25]
	; wave barrier
	s_and_saveexec_b64 s[24:25], s[26:27]
	s_cbranch_execz .LBB192_39
; %bb.38:
	v_bcnt_u32_b32 v4, v6, 0
	v_bcnt_u32_b32 v4, v7, v4
	s_waitcnt lgkmcnt(0)
	v_add_u32_e32 v4, v41, v4
	ds_write_b32 v42, v4 offset:16
.LBB192_39:
	s_or_b64 exec, exec, s[24:25]
	v_cmp_gt_i16_e64 s[24:25], 0, v34
	; wave barrier
	s_nop 1
	v_cndmask_b32_e64 v4, v44, 0, s[24:25]
	v_xor_b32_e32 v34, v4, v34
	v_cmp_ne_u16_e64 s[24:25], s28, v34
	s_nop 1
	v_cndmask_b32_e64 v4, v44, v34, s[24:25]
	v_lshrrev_b32_sdwa v4, s68, v4 dst_sel:DWORD dst_unused:UNUSED_PAD src0_sel:DWORD src1_sel:WORD_0
	v_and_b32_e32 v46, s74, v4
	v_and_b32_e32 v4, 1, v46
	v_lshl_add_u64 v[6:7], v[4:5], 0, -1
	v_cmp_ne_u32_e64 s[24:25], 0, v4
	v_mad_u32_u24 v45, v46, 20, v25
	ds_read_b32 v44, v45 offset:16
	v_xor_b32_e32 v6, s24, v6
	v_xor_b32_e32 v4, s25, v7
	v_and_b32_e32 v47, exec_lo, v6
	v_lshlrev_b32_e32 v7, 30, v46
	v_mov_b32_e32 v6, v5
	v_cmp_gt_i64_e64 s[24:25], 0, v[6:7]
	v_not_b32_e32 v6, v7
	v_ashrrev_i32_e32 v6, 31, v6
	v_and_b32_e32 v4, exec_hi, v4
	v_xor_b32_e32 v7, s25, v6
	v_xor_b32_e32 v6, s24, v6
	v_and_b32_e32 v4, v4, v7
	v_and_b32_e32 v47, v47, v6
	v_lshlrev_b32_e32 v7, 29, v46
	v_mov_b32_e32 v6, v5
	v_cmp_gt_i64_e64 s[24:25], 0, v[6:7]
	v_not_b32_e32 v6, v7
	v_ashrrev_i32_e32 v6, 31, v6
	v_xor_b32_e32 v7, s25, v6
	v_xor_b32_e32 v6, s24, v6
	v_and_b32_e32 v4, v4, v7
	v_and_b32_e32 v47, v47, v6
	v_lshlrev_b32_e32 v7, 28, v46
	v_mov_b32_e32 v6, v5
	v_cmp_gt_i64_e64 s[24:25], 0, v[6:7]
	v_not_b32_e32 v6, v7
	v_ashrrev_i32_e32 v6, 31, v6
	;; [unrolled: 9-line block ×5, first 2 shown]
	v_xor_b32_e32 v7, s25, v6
	v_xor_b32_e32 v6, s24, v6
	v_and_b32_e32 v4, v4, v7
	v_lshlrev_b32_e32 v7, 24, v46
	v_and_b32_e32 v47, v47, v6
	v_mov_b32_e32 v6, v5
	v_not_b32_e32 v5, v7
	v_cmp_gt_i64_e64 s[24:25], 0, v[6:7]
	v_ashrrev_i32_e32 v5, 31, v5
	s_nop 0
	v_xor_b32_e32 v6, s25, v5
	v_xor_b32_e32 v7, s24, v5
	v_and_b32_e32 v5, v4, v6
	v_and_b32_e32 v4, v47, v7
	v_mbcnt_lo_u32_b32 v6, v4, 0
	v_mbcnt_hi_u32_b32 v46, v5, v6
	v_cmp_eq_u32_e64 s[24:25], 0, v46
	v_cmp_ne_u64_e64 s[26:27], 0, v[4:5]
	s_and_b64 s[26:27], s[26:27], s[24:25]
	; wave barrier
	s_and_saveexec_b64 s[24:25], s[26:27]
	s_cbranch_execz .LBB192_41
; %bb.40:
	v_bcnt_u32_b32 v4, v4, 0
	v_bcnt_u32_b32 v4, v5, v4
	s_waitcnt lgkmcnt(0)
	v_add_u32_e32 v4, v44, v4
	ds_write_b32 v45, v4 offset:16
.LBB192_41:
	s_or_b64 exec, exec, s[24:25]
	v_mov_b32_e32 v51, 0x7fff
	v_cmp_gt_i16_e64 s[24:25], 0, v31
	v_mov_b32_e32 v5, 0
	s_nop 0
	v_cndmask_b32_e64 v4, v51, 0, s[24:25]
	v_xor_b32_e32 v31, v4, v31
	v_cmp_ne_u16_e64 s[24:25], s28, v31
	; wave barrier
	s_nop 1
	v_cndmask_b32_e64 v4, v51, v31, s[24:25]
	v_lshrrev_b32_sdwa v4, s68, v4 dst_sel:DWORD dst_unused:UNUSED_PAD src0_sel:DWORD src1_sel:WORD_0
	v_and_b32_e32 v49, s74, v4
	v_and_b32_e32 v4, 1, v49
	v_lshl_add_u64 v[6:7], v[4:5], 0, -1
	v_cmp_ne_u32_e64 s[24:25], 0, v4
	v_mad_u32_u24 v48, v49, 20, v25
	ds_read_b32 v47, v48 offset:16
	v_xor_b32_e32 v6, s24, v6
	v_xor_b32_e32 v4, s25, v7
	v_and_b32_e32 v50, exec_lo, v6
	v_lshlrev_b32_e32 v7, 30, v49
	v_mov_b32_e32 v6, v5
	v_cmp_gt_i64_e64 s[24:25], 0, v[6:7]
	v_not_b32_e32 v6, v7
	v_ashrrev_i32_e32 v6, 31, v6
	v_and_b32_e32 v4, exec_hi, v4
	v_xor_b32_e32 v7, s25, v6
	v_xor_b32_e32 v6, s24, v6
	v_and_b32_e32 v4, v4, v7
	v_and_b32_e32 v50, v50, v6
	v_lshlrev_b32_e32 v7, 29, v49
	v_mov_b32_e32 v6, v5
	v_cmp_gt_i64_e64 s[24:25], 0, v[6:7]
	v_not_b32_e32 v6, v7
	v_ashrrev_i32_e32 v6, 31, v6
	v_xor_b32_e32 v7, s25, v6
	v_xor_b32_e32 v6, s24, v6
	v_and_b32_e32 v4, v4, v7
	v_and_b32_e32 v50, v50, v6
	v_lshlrev_b32_e32 v7, 28, v49
	v_mov_b32_e32 v6, v5
	v_cmp_gt_i64_e64 s[24:25], 0, v[6:7]
	v_not_b32_e32 v6, v7
	v_ashrrev_i32_e32 v6, 31, v6
	;; [unrolled: 9-line block ×6, first 2 shown]
	v_xor_b32_e32 v7, s25, v6
	v_xor_b32_e32 v6, s24, v6
	v_and_b32_e32 v6, v50, v6
	v_and_b32_e32 v7, v4, v7
	v_mbcnt_lo_u32_b32 v4, v6, 0
	v_mbcnt_hi_u32_b32 v50, v7, v4
	v_cmp_eq_u32_e64 s[24:25], 0, v50
	v_cmp_ne_u64_e64 s[26:27], 0, v[6:7]
	s_and_b64 s[26:27], s[26:27], s[24:25]
	; wave barrier
	s_and_saveexec_b64 s[24:25], s[26:27]
	s_cbranch_execz .LBB192_43
; %bb.42:
	v_bcnt_u32_b32 v4, v6, 0
	v_bcnt_u32_b32 v4, v7, v4
	s_waitcnt lgkmcnt(0)
	v_add_u32_e32 v4, v47, v4
	ds_write_b32 v48, v4 offset:16
.LBB192_43:
	s_or_b64 exec, exec, s[24:25]
	v_cmp_gt_i16_e64 s[24:25], 0, v26
	; wave barrier
	s_nop 1
	v_cndmask_b32_e64 v4, v51, 0, s[24:25]
	v_xor_b32_e32 v49, v4, v26
	v_cmp_ne_u16_e64 s[24:25], s28, v49
	s_nop 1
	v_cndmask_b32_e64 v4, v51, v49, s[24:25]
	v_lshrrev_b32_sdwa v4, s68, v4 dst_sel:DWORD dst_unused:UNUSED_PAD src0_sel:DWORD src1_sel:WORD_0
	v_and_b32_e32 v52, s74, v4
	v_and_b32_e32 v4, 1, v52
	v_lshl_add_u64 v[6:7], v[4:5], 0, -1
	v_cmp_ne_u32_e64 s[24:25], 0, v4
	v_mad_u32_u24 v26, v52, 20, v25
	ds_read_b32 v51, v26 offset:16
	v_xor_b32_e32 v6, s24, v6
	v_xor_b32_e32 v4, s25, v7
	v_and_b32_e32 v53, exec_lo, v6
	v_lshlrev_b32_e32 v7, 30, v52
	v_mov_b32_e32 v6, v5
	v_cmp_gt_i64_e64 s[24:25], 0, v[6:7]
	v_not_b32_e32 v6, v7
	v_ashrrev_i32_e32 v6, 31, v6
	v_and_b32_e32 v4, exec_hi, v4
	v_xor_b32_e32 v7, s25, v6
	v_xor_b32_e32 v6, s24, v6
	v_and_b32_e32 v4, v4, v7
	v_and_b32_e32 v53, v53, v6
	v_lshlrev_b32_e32 v7, 29, v52
	v_mov_b32_e32 v6, v5
	v_cmp_gt_i64_e64 s[24:25], 0, v[6:7]
	v_not_b32_e32 v6, v7
	v_ashrrev_i32_e32 v6, 31, v6
	v_xor_b32_e32 v7, s25, v6
	v_xor_b32_e32 v6, s24, v6
	v_and_b32_e32 v4, v4, v7
	v_and_b32_e32 v53, v53, v6
	v_lshlrev_b32_e32 v7, 28, v52
	v_mov_b32_e32 v6, v5
	v_cmp_gt_i64_e64 s[24:25], 0, v[6:7]
	v_not_b32_e32 v6, v7
	v_ashrrev_i32_e32 v6, 31, v6
	v_xor_b32_e32 v7, s25, v6
	v_xor_b32_e32 v6, s24, v6
	v_and_b32_e32 v4, v4, v7
	v_and_b32_e32 v53, v53, v6
	v_lshlrev_b32_e32 v7, 27, v52
	v_mov_b32_e32 v6, v5
	v_cmp_gt_i64_e64 s[24:25], 0, v[6:7]
	v_not_b32_e32 v6, v7
	v_ashrrev_i32_e32 v6, 31, v6
	v_xor_b32_e32 v7, s25, v6
	v_xor_b32_e32 v6, s24, v6
	v_and_b32_e32 v4, v4, v7
	v_and_b32_e32 v53, v53, v6
	v_lshlrev_b32_e32 v7, 26, v52
	v_mov_b32_e32 v6, v5
	v_cmp_gt_i64_e64 s[24:25], 0, v[6:7]
	v_not_b32_e32 v6, v7
	v_ashrrev_i32_e32 v6, 31, v6
	v_xor_b32_e32 v7, s25, v6
	v_xor_b32_e32 v6, s24, v6
	v_and_b32_e32 v4, v4, v7
	v_and_b32_e32 v53, v53, v6
	v_lshlrev_b32_e32 v7, 25, v52
	v_mov_b32_e32 v6, v5
	v_cmp_gt_i64_e64 s[24:25], 0, v[6:7]
	v_not_b32_e32 v6, v7
	v_ashrrev_i32_e32 v6, 31, v6
	v_xor_b32_e32 v7, s25, v6
	v_xor_b32_e32 v6, s24, v6
	v_and_b32_e32 v4, v4, v7
	v_lshlrev_b32_e32 v7, 24, v52
	v_and_b32_e32 v53, v53, v6
	v_mov_b32_e32 v6, v5
	v_not_b32_e32 v5, v7
	v_cmp_gt_i64_e64 s[24:25], 0, v[6:7]
	v_ashrrev_i32_e32 v5, 31, v5
	s_nop 0
	v_xor_b32_e32 v6, s25, v5
	v_xor_b32_e32 v7, s24, v5
	v_and_b32_e32 v5, v4, v6
	v_and_b32_e32 v4, v53, v7
	v_mbcnt_lo_u32_b32 v6, v4, 0
	v_mbcnt_hi_u32_b32 v53, v5, v6
	v_cmp_eq_u32_e64 s[24:25], 0, v53
	v_cmp_ne_u64_e64 s[26:27], 0, v[4:5]
	s_and_b64 s[26:27], s[26:27], s[24:25]
	; wave barrier
	s_and_saveexec_b64 s[24:25], s[26:27]
	s_cbranch_execz .LBB192_45
; %bb.44:
	v_bcnt_u32_b32 v4, v4, 0
	v_bcnt_u32_b32 v4, v5, v4
	s_waitcnt lgkmcnt(0)
	v_add_u32_e32 v4, v51, v4
	ds_write_b32 v26, v4 offset:16
.LBB192_45:
	s_or_b64 exec, exec, s[24:25]
	v_mov_b32_e32 v57, 0x7fff
	v_cmp_gt_i16_e64 s[24:25], 0, v21
	v_mov_b32_e32 v5, 0
	s_nop 0
	v_cndmask_b32_e64 v4, v57, 0, s[24:25]
	v_xor_b32_e32 v52, v4, v21
	v_cmp_ne_u16_e64 s[24:25], s28, v52
	; wave barrier
	s_nop 1
	v_cndmask_b32_e64 v4, v57, v52, s[24:25]
	v_lshrrev_b32_sdwa v4, s68, v4 dst_sel:DWORD dst_unused:UNUSED_PAD src0_sel:DWORD src1_sel:WORD_0
	v_and_b32_e32 v55, s74, v4
	v_and_b32_e32 v4, 1, v55
	v_lshl_add_u64 v[6:7], v[4:5], 0, -1
	v_cmp_ne_u32_e64 s[24:25], 0, v4
	v_mad_u32_u24 v21, v55, 20, v25
	ds_read_b32 v54, v21 offset:16
	v_xor_b32_e32 v6, s24, v6
	v_xor_b32_e32 v4, s25, v7
	v_and_b32_e32 v56, exec_lo, v6
	v_lshlrev_b32_e32 v7, 30, v55
	v_mov_b32_e32 v6, v5
	v_cmp_gt_i64_e64 s[24:25], 0, v[6:7]
	v_not_b32_e32 v6, v7
	v_ashrrev_i32_e32 v6, 31, v6
	v_and_b32_e32 v4, exec_hi, v4
	v_xor_b32_e32 v7, s25, v6
	v_xor_b32_e32 v6, s24, v6
	v_and_b32_e32 v4, v4, v7
	v_and_b32_e32 v56, v56, v6
	v_lshlrev_b32_e32 v7, 29, v55
	v_mov_b32_e32 v6, v5
	v_cmp_gt_i64_e64 s[24:25], 0, v[6:7]
	v_not_b32_e32 v6, v7
	v_ashrrev_i32_e32 v6, 31, v6
	v_xor_b32_e32 v7, s25, v6
	v_xor_b32_e32 v6, s24, v6
	v_and_b32_e32 v4, v4, v7
	v_and_b32_e32 v56, v56, v6
	v_lshlrev_b32_e32 v7, 28, v55
	v_mov_b32_e32 v6, v5
	v_cmp_gt_i64_e64 s[24:25], 0, v[6:7]
	v_not_b32_e32 v6, v7
	v_ashrrev_i32_e32 v6, 31, v6
	;; [unrolled: 9-line block ×6, first 2 shown]
	v_xor_b32_e32 v7, s25, v6
	v_xor_b32_e32 v6, s24, v6
	v_and_b32_e32 v6, v56, v6
	v_and_b32_e32 v7, v4, v7
	v_mbcnt_lo_u32_b32 v4, v6, 0
	v_mbcnt_hi_u32_b32 v56, v7, v4
	v_cmp_eq_u32_e64 s[24:25], 0, v56
	v_cmp_ne_u64_e64 s[26:27], 0, v[6:7]
	s_and_b64 s[26:27], s[26:27], s[24:25]
	; wave barrier
	s_and_saveexec_b64 s[24:25], s[26:27]
	s_cbranch_execz .LBB192_47
; %bb.46:
	v_bcnt_u32_b32 v4, v6, 0
	v_bcnt_u32_b32 v4, v7, v4
	s_waitcnt lgkmcnt(0)
	v_add_u32_e32 v4, v54, v4
	ds_write_b32 v21, v4 offset:16
.LBB192_47:
	s_or_b64 exec, exec, s[24:25]
	v_cmp_gt_i16_e64 s[24:25], 0, v16
	; wave barrier
	s_nop 1
	v_cndmask_b32_e64 v4, v57, 0, s[24:25]
	v_xor_b32_e32 v55, v4, v16
	v_cmp_ne_u16_e64 s[24:25], s28, v55
	s_nop 1
	v_cndmask_b32_e64 v4, v57, v55, s[24:25]
	v_lshrrev_b32_sdwa v4, s68, v4 dst_sel:DWORD dst_unused:UNUSED_PAD src0_sel:DWORD src1_sel:WORD_0
	v_and_b32_e32 v58, s74, v4
	v_and_b32_e32 v4, 1, v58
	v_lshl_add_u64 v[6:7], v[4:5], 0, -1
	v_cmp_ne_u32_e64 s[24:25], 0, v4
	v_mad_u32_u24 v16, v58, 20, v25
	ds_read_b32 v57, v16 offset:16
	v_xor_b32_e32 v6, s24, v6
	v_xor_b32_e32 v4, s25, v7
	v_and_b32_e32 v25, exec_lo, v6
	v_lshlrev_b32_e32 v7, 30, v58
	v_mov_b32_e32 v6, v5
	v_cmp_gt_i64_e64 s[24:25], 0, v[6:7]
	v_not_b32_e32 v6, v7
	v_ashrrev_i32_e32 v6, 31, v6
	v_and_b32_e32 v4, exec_hi, v4
	v_xor_b32_e32 v7, s25, v6
	v_xor_b32_e32 v6, s24, v6
	v_and_b32_e32 v4, v4, v7
	v_and_b32_e32 v25, v25, v6
	v_lshlrev_b32_e32 v7, 29, v58
	v_mov_b32_e32 v6, v5
	v_cmp_gt_i64_e64 s[24:25], 0, v[6:7]
	v_not_b32_e32 v6, v7
	v_ashrrev_i32_e32 v6, 31, v6
	v_xor_b32_e32 v7, s25, v6
	v_xor_b32_e32 v6, s24, v6
	v_and_b32_e32 v4, v4, v7
	v_and_b32_e32 v25, v25, v6
	v_lshlrev_b32_e32 v7, 28, v58
	v_mov_b32_e32 v6, v5
	v_cmp_gt_i64_e64 s[24:25], 0, v[6:7]
	v_not_b32_e32 v6, v7
	v_ashrrev_i32_e32 v6, 31, v6
	;; [unrolled: 9-line block ×5, first 2 shown]
	v_xor_b32_e32 v7, s25, v6
	v_xor_b32_e32 v6, s24, v6
	v_and_b32_e32 v4, v4, v7
	v_lshlrev_b32_e32 v7, 24, v58
	v_and_b32_e32 v25, v25, v6
	v_mov_b32_e32 v6, v5
	v_not_b32_e32 v5, v7
	v_cmp_gt_i64_e64 s[24:25], 0, v[6:7]
	v_ashrrev_i32_e32 v5, 31, v5
	s_nop 0
	v_xor_b32_e32 v6, s25, v5
	v_xor_b32_e32 v7, s24, v5
	v_and_b32_e32 v5, v4, v6
	v_and_b32_e32 v4, v25, v7
	v_mbcnt_lo_u32_b32 v6, v4, 0
	v_mbcnt_hi_u32_b32 v58, v5, v6
	v_cmp_eq_u32_e64 s[24:25], 0, v58
	v_cmp_ne_u64_e64 s[26:27], 0, v[4:5]
	s_and_b64 s[26:27], s[26:27], s[24:25]
	; wave barrier
	s_and_saveexec_b64 s[24:25], s[26:27]
	s_cbranch_execz .LBB192_49
; %bb.48:
	v_bcnt_u32_b32 v4, v4, 0
	v_bcnt_u32_b32 v4, v5, v4
	s_waitcnt lgkmcnt(0)
	v_add_u32_e32 v4, v57, v4
	ds_write_b32 v16, v4 offset:16
.LBB192_49:
	s_or_b64 exec, exec, s[24:25]
	; wave barrier
	s_waitcnt lgkmcnt(0)
	s_barrier
	ds_read2_b32 v[6:7], v9 offset0:4 offset1:5
	ds_read2_b32 v[4:5], v9 offset0:6 offset1:7
	ds_read_b32 v25, v9 offset:32
	v_min_u32_e32 v8, 0xc0, v8
	v_or_b32_e32 v8, 63, v8
	s_waitcnt lgkmcnt(1)
	v_add3_u32 v59, v7, v6, v4
	s_waitcnt lgkmcnt(0)
	v_add3_u32 v25, v59, v5, v25
	v_and_b32_e32 v59, 15, v3
	v_cmp_ne_u32_e64 s[24:25], 0, v59
	v_mov_b32_dpp v60, v25 row_shr:1 row_mask:0xf bank_mask:0xf
	s_nop 0
	v_cndmask_b32_e64 v60, 0, v60, s[24:25]
	v_add_u32_e32 v25, v60, v25
	v_cmp_lt_u32_e64 s[24:25], 1, v59
	s_nop 0
	v_mov_b32_dpp v60, v25 row_shr:2 row_mask:0xf bank_mask:0xf
	v_cndmask_b32_e64 v60, 0, v60, s[24:25]
	v_add_u32_e32 v25, v25, v60
	v_cmp_lt_u32_e64 s[24:25], 3, v59
	s_nop 0
	v_mov_b32_dpp v60, v25 row_shr:4 row_mask:0xf bank_mask:0xf
	;; [unrolled: 5-line block ×3, first 2 shown]
	v_cndmask_b32_e64 v59, 0, v60, s[24:25]
	v_add_u32_e32 v25, v25, v59
	v_bfe_i32 v60, v3, 4, 1
	v_cmp_lt_u32_e64 s[24:25], 31, v3
	v_mov_b32_dpp v59, v25 row_bcast:15 row_mask:0xf bank_mask:0xf
	v_and_b32_e32 v59, v60, v59
	v_add_u32_e32 v25, v25, v59
	s_nop 1
	v_mov_b32_dpp v59, v25 row_bcast:31 row_mask:0xf bank_mask:0xf
	v_cndmask_b32_e64 v59, 0, v59, s[24:25]
	v_add_u32_e32 v25, v25, v59
	v_lshrrev_b32_e32 v59, 6, v2
	v_cmp_eq_u32_e64 s[24:25], v2, v8
	s_and_saveexec_b64 s[26:27], s[24:25]
; %bb.50:
	v_lshlrev_b32_e32 v8, 2, v59
	ds_write_b32 v8, v25
; %bb.51:
	s_or_b64 exec, exec, s[26:27]
	v_cmp_gt_u32_e64 s[24:25], 4, v2
	s_waitcnt lgkmcnt(0)
	s_barrier
	s_and_saveexec_b64 s[26:27], s[24:25]
	s_cbranch_execz .LBB192_53
; %bb.52:
	v_lshlrev_b32_e32 v8, 2, v2
	ds_read_b32 v60, v8
	v_and_b32_e32 v61, 3, v3
	v_cmp_ne_u32_e64 s[24:25], 0, v61
	s_waitcnt lgkmcnt(0)
	v_mov_b32_dpp v62, v60 row_shr:1 row_mask:0xf bank_mask:0xf
	v_cndmask_b32_e64 v62, 0, v62, s[24:25]
	v_add_u32_e32 v60, v62, v60
	v_cmp_lt_u32_e64 s[24:25], 1, v61
	s_nop 0
	v_mov_b32_dpp v62, v60 row_shr:2 row_mask:0xf bank_mask:0xf
	v_cndmask_b32_e64 v61, 0, v62, s[24:25]
	v_add_u32_e32 v60, v60, v61
	ds_write_b32 v8, v60
.LBB192_53:
	s_or_b64 exec, exec, s[26:27]
	v_cmp_lt_u32_e64 s[24:25], 63, v2
	v_mov_b32_e32 v8, 0
	s_waitcnt lgkmcnt(0)
	s_barrier
	s_and_saveexec_b64 s[26:27], s[24:25]
; %bb.54:
	v_lshl_add_u32 v8, v59, 2, -4
	ds_read_b32 v8, v8
; %bb.55:
	s_or_b64 exec, exec, s[26:27]
	v_add_u32_e32 v59, -1, v3
	v_and_b32_e32 v60, 64, v3
	v_cmp_lt_i32_e64 s[24:25], v59, v60
	s_waitcnt lgkmcnt(0)
	v_add_u32_e32 v25, v8, v25
	v_cndmask_b32_e64 v59, v59, v3, s[24:25]
	v_lshlrev_b32_e32 v59, 2, v59
	ds_bpermute_b32 v25, v59, v25
	v_cmp_eq_u32_e64 s[24:25], 0, v3
	s_waitcnt lgkmcnt(0)
	s_nop 0
	v_cndmask_b32_e64 v8, v25, v8, s[24:25]
	v_cmp_ne_u32_e64 s[24:25], 0, v2
	s_nop 1
	v_cndmask_b32_e64 v8, 0, v8, s[24:25]
	v_add_u32_e32 v6, v8, v6
	v_add_u32_e32 v7, v6, v7
	;; [unrolled: 1-line block ×4, first 2 shown]
	ds_write2_b32 v9, v8, v6 offset0:4 offset1:5
	ds_write2_b32 v9, v7, v4 offset0:6 offset1:7
	ds_write_b32 v9, v5 offset:32
	s_waitcnt lgkmcnt(0)
	s_barrier
	ds_read_b32 v6, v45 offset:16
	ds_read_b32 v7, v48 offset:16
	;; [unrolled: 1-line block ×13, first 2 shown]
	v_add_u32_e32 v9, 1, v2
	s_movk_i32 s24, 0x100
	v_cmp_ne_u32_e64 s[24:25], s24, v9
	v_mov_b32_e32 v5, 0xc00
	s_and_saveexec_b64 s[26:27], s[24:25]
; %bb.56:
	v_mul_u32_u24_e32 v5, 20, v9
	ds_read_b32 v5, v5 offset:16
; %bb.57:
	s_or_b64 exec, exec, s[26:27]
	s_waitcnt lgkmcnt(7)
	v_add_u32_e32 v28, v13, v12
	s_waitcnt lgkmcnt(6)
	v_add3_u32 v26, v18, v15, v16
	v_add3_u32 v18, v46, v44, v6
	v_lshlrev_b32_e32 v6, 1, v28
	s_waitcnt lgkmcnt(5)
	v_add3_u32 v25, v24, v20, v17
	s_waitcnt lgkmcnt(0)
	s_barrier
	ds_write_b16 v6, v10 offset:2048
	v_lshlrev_b32_e32 v6, 1, v26
	v_add3_u32 v24, v30, v27, v21
	ds_write_b16 v6, v11 offset:2048
	v_lshlrev_b32_e32 v6, 1, v25
	v_add3_u32 v22, v36, v32, v22
	;; [unrolled: 3-line block ×4, first 2 shown]
	ds_write_b16 v6, v29 offset:2048
	v_lshlrev_b32_e32 v6, 1, v21
	ds_write_b16 v6, v35 offset:2048
	v_lshlrev_b32_e32 v6, 1, v20
	v_add3_u32 v17, v50, v47, v7
	ds_write_b16 v6, v39 offset:2048
	v_lshlrev_b32_e32 v6, 1, v18
	v_add3_u32 v16, v53, v51, v8
	;; [unrolled: 3-line block ×4, first 2 shown]
	ds_write_b16 v6, v49 offset:2048
	v_lshlrev_b32_e32 v6, 1, v15
	ds_write_b16 v6, v52 offset:2048
	v_lshlrev_b32_e32 v6, 1, v7
	ds_write_b16 v6, v55 offset:2048
	v_sub_u32_e32 v6, v5, v4
	v_lshl_add_u32 v8, s2, 8, v2
	v_mov_b32_e32 v9, 0
	v_lshl_add_u64 v[10:11], v[8:9], 2, s[72:73]
	v_or_b32_e32 v5, 2.0, v6
	s_mov_b64 s[26:27], 0
	s_brev_b32 s34, -4
	s_mov_b32 s35, s3
	v_mov_b32_e32 v19, 0
	s_waitcnt lgkmcnt(0)
	s_barrier
	global_store_dword v[10:11], v5, off sc1
                                        ; implicit-def: $sgpr24_sgpr25
	s_branch .LBB192_60
.LBB192_58:                             ;   in Loop: Header=BB192_60 Depth=1
	s_or_b64 exec, exec, s[30:31]
.LBB192_59:                             ;   in Loop: Header=BB192_60 Depth=1
	s_or_b64 exec, exec, s[28:29]
	v_and_b32_e32 v8, 0x3fffffff, v5
	v_add_u32_e32 v19, v8, v19
	v_cmp_gt_i32_e64 s[24:25], -2.0, v5
	s_and_b64 s[28:29], exec, s[24:25]
	s_or_b64 s[26:27], s[28:29], s[26:27]
	s_andn2_b64 exec, exec, s[26:27]
	s_cbranch_execz .LBB192_65
.LBB192_60:                             ; =>This Loop Header: Depth=1
                                        ;     Child Loop BB192_63 Depth 2
	s_or_b64 s[24:25], s[24:25], exec
	s_cmp_eq_u32 s35, 0
	s_cbranch_scc1 .LBB192_64
; %bb.61:                               ;   in Loop: Header=BB192_60 Depth=1
	s_add_i32 s35, s35, -1
	v_lshl_add_u32 v8, s35, 8, v2
	v_lshl_add_u64 v[12:13], v[8:9], 2, s[72:73]
	global_load_dword v5, v[12:13], off sc1
	s_waitcnt vmcnt(0)
	v_cmp_gt_u32_e64 s[24:25], 2.0, v5
	s_and_saveexec_b64 s[28:29], s[24:25]
	s_cbranch_execz .LBB192_59
; %bb.62:                               ;   in Loop: Header=BB192_60 Depth=1
	s_mov_b64 s[30:31], 0
.LBB192_63:                             ;   Parent Loop BB192_60 Depth=1
                                        ; =>  This Inner Loop Header: Depth=2
	global_load_dword v5, v[12:13], off sc1
	s_waitcnt vmcnt(0)
	v_cmp_lt_u32_e64 s[24:25], s34, v5
	s_or_b64 s[30:31], s[24:25], s[30:31]
	s_andn2_b64 exec, exec, s[30:31]
	s_cbranch_execnz .LBB192_63
	s_branch .LBB192_58
.LBB192_64:                             ;   in Loop: Header=BB192_60 Depth=1
                                        ; implicit-def: $sgpr35
	s_and_b64 s[28:29], exec, s[24:25]
	s_or_b64 s[26:27], s[28:29], s[26:27]
	s_andn2_b64 exec, exec, s[26:27]
	s_cbranch_execnz .LBB192_60
.LBB192_65:
	s_or_b64 exec, exec, s[26:27]
	v_add_u32_e32 v5, v19, v6
	v_or_b32_e32 v5, 0x80000000, v5
	v_lshlrev_b32_e32 v8, 3, v2
	global_store_dword v[10:11], v5, off sc1
	global_load_dwordx2 v[10:11], v8, s[64:65]
	v_sub_co_u32_e64 v12, s[24:25], v19, v4
	v_mov_b32_e32 v5, 0
	s_nop 0
	v_subb_co_u32_e64 v13, s[24:25], 0, 0, s[24:25]
	v_cmp_gt_u32_e64 s[24:25], s70, v2
	s_waitcnt vmcnt(0)
	v_lshl_add_u64 v[10:11], v[12:13], 0, v[10:11]
	ds_write_b64 v8, v[10:11]
	s_waitcnt lgkmcnt(0)
	s_barrier
	s_and_saveexec_b64 s[28:29], s[24:25]
	s_cbranch_execz .LBB192_67
; %bb.66:
	v_mad_i32_i24 v9, v2, -6, v8
	ds_read_u16 v9, v9 offset:2048
	s_movk_i32 s26, 0x8000
	v_mov_b32_e32 v13, 0x7fff
	v_lshlrev_b32_e32 v12, 1, v2
	s_waitcnt lgkmcnt(0)
	v_cmp_ne_u16_e64 s[26:27], s26, v9
	s_nop 1
	v_cndmask_b32_e64 v10, v13, v9, s[26:27]
	v_lshrrev_b32_sdwa v10, s68, v10 dst_sel:DWORD dst_unused:UNUSED_PAD src0_sel:DWORD src1_sel:WORD_0
	v_and_b32_e32 v10, s74, v10
	v_lshlrev_b32_e32 v10, 3, v10
	ds_read_b64 v[10:11], v10
	v_cmp_gt_i16_e64 s[26:27], 0, v9
	s_waitcnt lgkmcnt(0)
	v_lshl_add_u64 v[10:11], v[10:11], 1, s[58:59]
	v_cndmask_b32_e64 v13, v13, 0, s[26:27]
	v_xor_b32_e32 v9, v13, v9
	v_mov_b32_e32 v13, v5
	v_lshl_add_u64 v[10:11], v[10:11], 0, v[12:13]
	global_store_short v[10:11], v9, off
.LBB192_67:
	s_or_b64 exec, exec, s[28:29]
	v_add_u32_e32 v9, 0x100, v2
	v_cmp_gt_u32_e64 s[26:27], s70, v9
	s_and_saveexec_b64 s[30:31], s[26:27]
	s_cbranch_execz .LBB192_69
; %bb.68:
	v_mad_i32_i24 v9, v2, -6, v8
	ds_read_u16 v9, v9 offset:2560
	s_movk_i32 s28, 0x8000
	v_mov_b32_e32 v13, 0x7fff
	v_lshlrev_b32_e32 v12, 1, v2
	s_waitcnt lgkmcnt(0)
	v_cmp_ne_u16_e64 s[28:29], s28, v9
	s_nop 1
	v_cndmask_b32_e64 v10, v13, v9, s[28:29]
	v_lshrrev_b32_sdwa v10, s68, v10 dst_sel:DWORD dst_unused:UNUSED_PAD src0_sel:DWORD src1_sel:WORD_0
	v_and_b32_e32 v10, s74, v10
	v_lshlrev_b32_e32 v10, 3, v10
	ds_read_b64 v[10:11], v10
	v_cmp_gt_i16_e64 s[28:29], 0, v9
	s_waitcnt lgkmcnt(0)
	v_lshl_add_u64 v[10:11], v[10:11], 1, s[58:59]
	v_cndmask_b32_e64 v13, v13, 0, s[28:29]
	v_xor_b32_e32 v9, v13, v9
	v_mov_b32_e32 v13, 0
	v_lshl_add_u64 v[10:11], v[10:11], 0, v[12:13]
	global_store_short v[10:11], v9, off offset:512
.LBB192_69:
	s_or_b64 exec, exec, s[30:31]
	v_add_u32_e32 v12, 0x200, v2
	v_cmp_gt_u32_e64 s[28:29], s70, v12
	s_and_saveexec_b64 s[34:35], s[28:29]
	s_cbranch_execz .LBB192_71
; %bb.70:
	v_mad_i32_i24 v9, v2, -6, v8
	ds_read_u16 v9, v9 offset:3072
	s_movk_i32 s30, 0x8000
	v_mov_b32_e32 v13, 0x7fff
	v_lshlrev_b32_e32 v30, 1, v2
	v_mov_b32_e32 v31, 0
	s_waitcnt lgkmcnt(0)
	v_cmp_ne_u16_e64 s[30:31], s30, v9
	s_nop 1
	v_cndmask_b32_e64 v10, v13, v9, s[30:31]
	v_lshrrev_b32_sdwa v10, s68, v10 dst_sel:DWORD dst_unused:UNUSED_PAD src0_sel:DWORD src1_sel:WORD_0
	v_and_b32_e32 v10, s74, v10
	v_lshlrev_b32_e32 v10, 3, v10
	ds_read_b64 v[10:11], v10
	v_cmp_gt_i16_e64 s[30:31], 0, v9
	s_waitcnt lgkmcnt(0)
	v_lshl_add_u64 v[10:11], v[10:11], 1, s[58:59]
	v_cndmask_b32_e64 v13, v13, 0, s[30:31]
	v_xor_b32_e32 v9, v13, v9
	v_lshl_add_u64 v[10:11], v[10:11], 0, v[30:31]
	global_store_short v[10:11], v9, off offset:1024
.LBB192_71:
	s_or_b64 exec, exec, s[34:35]
	v_add_u32_e32 v13, 0x300, v2
	v_cmp_gt_u32_e64 s[30:31], s70, v13
	s_and_saveexec_b64 s[36:37], s[30:31]
	s_cbranch_execz .LBB192_73
; %bb.72:
	v_mad_i32_i24 v9, v2, -6, v8
	ds_read_u16 v9, v9 offset:3584
	s_movk_i32 s34, 0x8000
	v_mov_b32_e32 v19, 0x7fff
	v_lshlrev_b32_e32 v30, 1, v2
	v_mov_b32_e32 v31, 0
	s_waitcnt lgkmcnt(0)
	v_cmp_ne_u16_e64 s[34:35], s34, v9
	s_nop 1
	v_cndmask_b32_e64 v10, v19, v9, s[34:35]
	v_lshrrev_b32_sdwa v10, s68, v10 dst_sel:DWORD dst_unused:UNUSED_PAD src0_sel:DWORD src1_sel:WORD_0
	v_and_b32_e32 v10, s74, v10
	v_lshlrev_b32_e32 v10, 3, v10
	ds_read_b64 v[10:11], v10
	v_cmp_gt_i16_e64 s[34:35], 0, v9
	s_waitcnt lgkmcnt(0)
	v_lshl_add_u64 v[10:11], v[10:11], 1, s[58:59]
	v_cndmask_b32_e64 v19, v19, 0, s[34:35]
	v_xor_b32_e32 v9, v19, v9
	v_lshl_add_u64 v[10:11], v[10:11], 0, v[30:31]
	global_store_short v[10:11], v9, off offset:1536
.LBB192_73:
	s_or_b64 exec, exec, s[36:37]
	v_or_b32_e32 v19, 0x400, v2
	v_cmp_gt_u32_e64 s[34:35], s70, v19
	s_and_saveexec_b64 s[38:39], s[34:35]
	s_cbranch_execz .LBB192_75
; %bb.74:
	v_mad_i32_i24 v9, v2, -6, v8
	ds_read_u16 v9, v9 offset:4096
	s_movk_i32 s36, 0x8000
	v_mov_b32_e32 v23, 0x7fff
	v_lshlrev_b32_e32 v30, 1, v2
	v_mov_b32_e32 v31, 0
	s_waitcnt lgkmcnt(0)
	v_cmp_ne_u16_e64 s[36:37], s36, v9
	s_nop 1
	v_cndmask_b32_e64 v10, v23, v9, s[36:37]
	v_lshrrev_b32_sdwa v10, s68, v10 dst_sel:DWORD dst_unused:UNUSED_PAD src0_sel:DWORD src1_sel:WORD_0
	v_and_b32_e32 v10, s74, v10
	v_lshlrev_b32_e32 v10, 3, v10
	ds_read_b64 v[10:11], v10
	v_cmp_gt_i16_e64 s[36:37], 0, v9
	s_waitcnt lgkmcnt(0)
	v_lshl_add_u64 v[10:11], v[10:11], 1, s[58:59]
	v_cndmask_b32_e64 v23, v23, 0, s[36:37]
	v_xor_b32_e32 v9, v23, v9
	v_lshl_add_u64 v[10:11], v[10:11], 0, v[30:31]
	global_store_short v[10:11], v9, off offset:2048
.LBB192_75:
	s_or_b64 exec, exec, s[38:39]
	v_add_u32_e32 v23, 0x500, v2
	v_cmp_gt_u32_e64 s[36:37], s70, v23
	s_and_saveexec_b64 s[40:41], s[36:37]
	s_cbranch_execz .LBB192_77
; %bb.76:
	v_mad_i32_i24 v9, v2, -6, v8
	ds_read_u16 v9, v9 offset:4608
	s_movk_i32 s38, 0x8000
	v_mov_b32_e32 v27, 0x7fff
	v_lshlrev_b32_e32 v30, 1, v2
	v_mov_b32_e32 v31, 0
	s_waitcnt lgkmcnt(0)
	v_cmp_ne_u16_e64 s[38:39], s38, v9
	s_nop 1
	v_cndmask_b32_e64 v10, v27, v9, s[38:39]
	v_lshrrev_b32_sdwa v10, s68, v10 dst_sel:DWORD dst_unused:UNUSED_PAD src0_sel:DWORD src1_sel:WORD_0
	v_and_b32_e32 v10, s74, v10
	v_lshlrev_b32_e32 v10, 3, v10
	ds_read_b64 v[10:11], v10
	v_cmp_gt_i16_e64 s[38:39], 0, v9
	s_waitcnt lgkmcnt(0)
	v_lshl_add_u64 v[10:11], v[10:11], 1, s[58:59]
	v_cndmask_b32_e64 v27, v27, 0, s[38:39]
	v_xor_b32_e32 v9, v27, v9
	v_lshl_add_u64 v[10:11], v[10:11], 0, v[30:31]
	global_store_short v[10:11], v9, off offset:2560
.LBB192_77:
	s_or_b64 exec, exec, s[40:41]
	v_add_u32_e32 v27, 0x600, v2
	;; [unrolled: 28-line block ×3, first 2 shown]
	v_cmp_gt_u32_e64 s[40:41], s70, v29
	s_and_saveexec_b64 s[44:45], s[40:41]
	s_cbranch_execz .LBB192_81
; %bb.80:
	v_lshlrev_b32_e32 v10, 1, v2
	ds_read_u16 v9, v10 offset:5632
	s_movk_i32 s42, 0x8000
	v_mov_b32_e32 v11, 0x7fff
	s_waitcnt lgkmcnt(0)
	v_cmp_ne_u16_e64 s[42:43], s42, v9
	s_nop 1
	v_cndmask_b32_e64 v30, v11, v9, s[42:43]
	v_lshrrev_b32_sdwa v30, s68, v30 dst_sel:DWORD dst_unused:UNUSED_PAD src0_sel:DWORD src1_sel:WORD_0
	v_and_b32_e32 v30, s74, v30
	v_lshlrev_b32_e32 v30, 3, v30
	ds_read_b64 v[30:31], v30
	v_cmp_gt_i16_e64 s[42:43], 0, v9
	s_waitcnt lgkmcnt(0)
	v_lshl_add_u64 v[30:31], v[30:31], 1, s[58:59]
	v_cndmask_b32_e64 v11, v11, 0, s[42:43]
	v_xor_b32_e32 v9, v11, v9
	v_mov_b32_e32 v11, 0
	v_lshl_add_u64 v[10:11], v[30:31], 0, v[10:11]
	global_store_short v[10:11], v9, off offset:3584
.LBB192_81:
	s_or_b64 exec, exec, s[44:45]
	v_or_b32_e32 v30, 0x800, v2
	v_cmp_gt_u32_e64 s[42:43], s70, v30
	s_and_saveexec_b64 s[46:47], s[42:43]
	s_cbranch_execz .LBB192_83
; %bb.82:
	v_lshlrev_b32_e32 v9, 1, v2
	ds_read_u16 v9, v9 offset:6144
	s_movk_i32 s44, 0x8000
	v_mov_b32_e32 v31, 0x7fff
	v_lshlrev_b32_e32 v32, 1, v30
	v_mov_b32_e32 v33, 0
	s_waitcnt lgkmcnt(0)
	v_cmp_ne_u16_e64 s[44:45], s44, v9
	s_nop 1
	v_cndmask_b32_e64 v10, v31, v9, s[44:45]
	v_lshrrev_b32_sdwa v10, s68, v10 dst_sel:DWORD dst_unused:UNUSED_PAD src0_sel:DWORD src1_sel:WORD_0
	v_and_b32_e32 v10, s74, v10
	v_lshlrev_b32_e32 v10, 3, v10
	ds_read_b64 v[10:11], v10
	v_cmp_gt_i16_e64 s[44:45], 0, v9
	s_waitcnt lgkmcnt(0)
	v_lshl_add_u64 v[10:11], v[10:11], 1, s[58:59]
	v_cndmask_b32_e64 v31, v31, 0, s[44:45]
	v_xor_b32_e32 v9, v31, v9
	v_lshl_add_u64 v[10:11], v[10:11], 0, v[32:33]
	global_store_short v[10:11], v9, off
.LBB192_83:
	s_or_b64 exec, exec, s[46:47]
	v_add_u32_e32 v31, 0x900, v2
	v_cmp_gt_u32_e64 s[44:45], s70, v31
	s_and_saveexec_b64 s[48:49], s[44:45]
	s_cbranch_execz .LBB192_85
; %bb.84:
	v_lshlrev_b32_e32 v9, 1, v2
	ds_read_u16 v9, v9 offset:6656
	s_movk_i32 s46, 0x8000
	v_mov_b32_e32 v33, 0x7fff
	v_lshlrev_b32_e32 v32, 1, v31
	s_waitcnt lgkmcnt(0)
	v_cmp_ne_u16_e64 s[46:47], s46, v9
	s_nop 1
	v_cndmask_b32_e64 v10, v33, v9, s[46:47]
	v_lshrrev_b32_sdwa v10, s68, v10 dst_sel:DWORD dst_unused:UNUSED_PAD src0_sel:DWORD src1_sel:WORD_0
	v_and_b32_e32 v10, s74, v10
	v_lshlrev_b32_e32 v10, 3, v10
	ds_read_b64 v[10:11], v10
	v_cmp_gt_i16_e64 s[46:47], 0, v9
	s_waitcnt lgkmcnt(0)
	v_lshl_add_u64 v[10:11], v[10:11], 1, s[58:59]
	v_cndmask_b32_e64 v33, v33, 0, s[46:47]
	v_xor_b32_e32 v9, v33, v9
	v_mov_b32_e32 v33, 0
	v_lshl_add_u64 v[10:11], v[10:11], 0, v[32:33]
	global_store_short v[10:11], v9, off
.LBB192_85:
	s_or_b64 exec, exec, s[48:49]
	v_add_u32_e32 v32, 0xa00, v2
	v_cmp_gt_u32_e64 s[46:47], s70, v32
	s_and_saveexec_b64 s[52:53], s[46:47]
	s_cbranch_execz .LBB192_87
; %bb.86:
	v_lshlrev_b32_e32 v9, 1, v2
	ds_read_u16 v9, v9 offset:7168
	s_movk_i32 s48, 0x8000
	v_mov_b32_e32 v33, 0x7fff
	v_lshlrev_b32_e32 v34, 1, v32
	v_mov_b32_e32 v35, 0
	s_waitcnt lgkmcnt(0)
	v_cmp_ne_u16_e64 s[48:49], s48, v9
	s_nop 1
	v_cndmask_b32_e64 v10, v33, v9, s[48:49]
	v_lshrrev_b32_sdwa v10, s68, v10 dst_sel:DWORD dst_unused:UNUSED_PAD src0_sel:DWORD src1_sel:WORD_0
	v_and_b32_e32 v10, s74, v10
	v_lshlrev_b32_e32 v10, 3, v10
	ds_read_b64 v[10:11], v10
	v_cmp_gt_i16_e64 s[48:49], 0, v9
	s_waitcnt lgkmcnt(0)
	v_lshl_add_u64 v[10:11], v[10:11], 1, s[58:59]
	v_cndmask_b32_e64 v33, v33, 0, s[48:49]
	v_xor_b32_e32 v9, v33, v9
	v_lshl_add_u64 v[10:11], v[10:11], 0, v[34:35]
	global_store_short v[10:11], v9, off
.LBB192_87:
	s_or_b64 exec, exec, s[52:53]
	v_add_u32_e32 v33, 0xb00, v2
	v_cmp_gt_u32_e64 s[48:49], s70, v33
	s_and_saveexec_b64 s[70:71], s[48:49]
	s_cbranch_execz .LBB192_89
; %bb.88:
	v_lshlrev_b32_e32 v9, 1, v2
	ds_read_u16 v9, v9 offset:7680
	s_movk_i32 s52, 0x8000
	v_mov_b32_e32 v35, 0x7fff
	v_lshlrev_b32_e32 v34, 1, v33
	s_waitcnt lgkmcnt(0)
	v_cmp_ne_u16_e64 s[52:53], s52, v9
	s_nop 1
	v_cndmask_b32_e64 v10, v35, v9, s[52:53]
	v_lshrrev_b32_sdwa v10, s68, v10 dst_sel:DWORD dst_unused:UNUSED_PAD src0_sel:DWORD src1_sel:WORD_0
	v_and_b32_e32 v10, s74, v10
	v_lshlrev_b32_e32 v10, 3, v10
	ds_read_b64 v[10:11], v10
	v_cmp_gt_i16_e64 s[52:53], 0, v9
	s_waitcnt lgkmcnt(0)
	v_lshl_add_u64 v[10:11], v[10:11], 1, s[58:59]
	v_cndmask_b32_e64 v35, v35, 0, s[52:53]
	v_xor_b32_e32 v9, v35, v9
	v_mov_b32_e32 v35, 0
	v_lshl_add_u64 v[10:11], v[10:11], 0, v[34:35]
	global_store_short v[10:11], v9, off
.LBB192_89:
	s_or_b64 exec, exec, s[70:71]
	s_lshl_b64 s[52:53], s[54:55], 3
	s_add_u32 s52, s60, s52
	s_addc_u32 s53, s61, s53
	v_lshlrev_b32_e32 v10, 3, v3
	v_mov_b32_e32 v11, 0
	v_lshl_add_u64 v[34:35], s[52:53], 0, v[10:11]
	v_lshlrev_b32_e32 v10, 3, v14
	v_lshl_add_u64 v[10:11], v[34:35], 0, v[10:11]
                                        ; implicit-def: $vgpr42_vgpr43
	s_and_saveexec_b64 s[52:53], vcc
	s_xor_b64 s[52:53], exec, s[52:53]
	s_cbranch_execz .LBB192_101
; %bb.90:
	global_load_dwordx2 v[42:43], v[10:11], off
	s_or_b64 exec, exec, s[52:53]
                                        ; implicit-def: $vgpr44_vgpr45
	s_and_saveexec_b64 s[52:53], s[50:51]
	s_cbranch_execnz .LBB192_102
.LBB192_91:
	s_or_b64 exec, exec, s[52:53]
                                        ; implicit-def: $vgpr46_vgpr47
	s_and_saveexec_b64 s[50:51], s[4:5]
	s_cbranch_execz .LBB192_103
.LBB192_92:
	global_load_dwordx2 v[46:47], v[10:11], off offset:1024
	s_or_b64 exec, exec, s[50:51]
                                        ; implicit-def: $vgpr48_vgpr49
	s_and_saveexec_b64 s[4:5], s[6:7]
	s_cbranch_execnz .LBB192_104
.LBB192_93:
	s_or_b64 exec, exec, s[4:5]
                                        ; implicit-def: $vgpr50_vgpr51
	s_and_saveexec_b64 s[4:5], s[8:9]
	s_cbranch_execz .LBB192_105
.LBB192_94:
	global_load_dwordx2 v[50:51], v[10:11], off offset:2048
	s_or_b64 exec, exec, s[4:5]
                                        ; implicit-def: $vgpr52_vgpr53
	s_and_saveexec_b64 s[4:5], s[12:13]
	s_cbranch_execnz .LBB192_106
.LBB192_95:
	s_or_b64 exec, exec, s[4:5]
                                        ; implicit-def: $vgpr54_vgpr55
	s_and_saveexec_b64 s[4:5], s[16:17]
	s_cbranch_execz .LBB192_107
.LBB192_96:
	global_load_dwordx2 v[54:55], v[10:11], off offset:3072
	s_or_b64 exec, exec, s[4:5]
                                        ; implicit-def: $vgpr56_vgpr57
	s_and_saveexec_b64 s[4:5], s[20:21]
	s_cbranch_execnz .LBB192_108
.LBB192_97:
	s_or_b64 exec, exec, s[4:5]
                                        ; implicit-def: $vgpr58_vgpr59
	s_and_saveexec_b64 s[4:5], s[22:23]
	s_cbranch_execz .LBB192_109
.LBB192_98:
	v_add_co_u32_e32 v34, vcc, 0x1000, v10
	s_nop 1
	v_addc_co_u32_e32 v35, vcc, 0, v11, vcc
	global_load_dwordx2 v[58:59], v[34:35], off
	s_or_b64 exec, exec, s[4:5]
                                        ; implicit-def: $vgpr60_vgpr61
	s_and_saveexec_b64 s[4:5], s[18:19]
	s_cbranch_execnz .LBB192_110
.LBB192_99:
	s_or_b64 exec, exec, s[4:5]
                                        ; implicit-def: $vgpr62_vgpr63
	s_and_saveexec_b64 s[4:5], s[14:15]
	s_cbranch_execz .LBB192_111
.LBB192_100:
	v_add_co_u32_e32 v34, vcc, 0x1000, v10
	s_nop 1
	v_addc_co_u32_e32 v35, vcc, 0, v11, vcc
	global_load_dwordx2 v[62:63], v[34:35], off offset:1024
	s_or_b64 exec, exec, s[4:5]
                                        ; implicit-def: $vgpr64_vgpr65
	s_and_saveexec_b64 s[4:5], s[10:11]
	s_cbranch_execnz .LBB192_112
	s_branch .LBB192_113
.LBB192_101:
	s_or_b64 exec, exec, s[52:53]
                                        ; implicit-def: $vgpr44_vgpr45
	s_and_saveexec_b64 s[52:53], s[50:51]
	s_cbranch_execz .LBB192_91
.LBB192_102:
	global_load_dwordx2 v[44:45], v[10:11], off offset:512
	s_or_b64 exec, exec, s[52:53]
                                        ; implicit-def: $vgpr46_vgpr47
	s_and_saveexec_b64 s[50:51], s[4:5]
	s_cbranch_execnz .LBB192_92
.LBB192_103:
	s_or_b64 exec, exec, s[50:51]
                                        ; implicit-def: $vgpr48_vgpr49
	s_and_saveexec_b64 s[4:5], s[6:7]
	s_cbranch_execz .LBB192_93
.LBB192_104:
	global_load_dwordx2 v[48:49], v[10:11], off offset:1536
	s_or_b64 exec, exec, s[4:5]
                                        ; implicit-def: $vgpr50_vgpr51
	s_and_saveexec_b64 s[4:5], s[8:9]
	s_cbranch_execnz .LBB192_94
.LBB192_105:
	s_or_b64 exec, exec, s[4:5]
                                        ; implicit-def: $vgpr52_vgpr53
	s_and_saveexec_b64 s[4:5], s[12:13]
	s_cbranch_execz .LBB192_95
.LBB192_106:
	global_load_dwordx2 v[52:53], v[10:11], off offset:2560
	s_or_b64 exec, exec, s[4:5]
                                        ; implicit-def: $vgpr54_vgpr55
	s_and_saveexec_b64 s[4:5], s[16:17]
	s_cbranch_execnz .LBB192_96
.LBB192_107:
	s_or_b64 exec, exec, s[4:5]
                                        ; implicit-def: $vgpr56_vgpr57
	s_and_saveexec_b64 s[4:5], s[20:21]
	s_cbranch_execz .LBB192_97
.LBB192_108:
	global_load_dwordx2 v[56:57], v[10:11], off offset:3584
	s_or_b64 exec, exec, s[4:5]
                                        ; implicit-def: $vgpr58_vgpr59
	s_and_saveexec_b64 s[4:5], s[22:23]
	s_cbranch_execnz .LBB192_98
.LBB192_109:
	s_or_b64 exec, exec, s[4:5]
                                        ; implicit-def: $vgpr60_vgpr61
	s_and_saveexec_b64 s[4:5], s[18:19]
	s_cbranch_execz .LBB192_99
.LBB192_110:
	v_add_co_u32_e32 v34, vcc, 0x1000, v10
	s_nop 1
	v_addc_co_u32_e32 v35, vcc, 0, v11, vcc
	global_load_dwordx2 v[60:61], v[34:35], off offset:512
	s_or_b64 exec, exec, s[4:5]
                                        ; implicit-def: $vgpr62_vgpr63
	s_and_saveexec_b64 s[4:5], s[14:15]
	s_cbranch_execnz .LBB192_100
.LBB192_111:
	s_or_b64 exec, exec, s[4:5]
                                        ; implicit-def: $vgpr64_vgpr65
	s_and_saveexec_b64 s[4:5], s[10:11]
	s_cbranch_execz .LBB192_113
.LBB192_112:
	v_add_co_u32_e32 v10, vcc, 0x1000, v10
	s_nop 1
	v_addc_co_u32_e32 v11, vcc, 0, v11, vcc
	global_load_dwordx2 v[64:65], v[10:11], off offset:1536
.LBB192_113:
	s_or_b64 exec, exec, s[4:5]
	v_mov_b32_e32 v3, 0
	v_mov_b32_e32 v9, 0
	s_and_saveexec_b64 s[4:5], s[24:25]
	s_cbranch_execz .LBB192_115
; %bb.114:
	v_lshlrev_b32_e32 v9, 1, v2
	ds_read_u16 v9, v9 offset:2048
	s_movk_i32 s6, 0x8000
	v_mov_b32_e32 v10, 0x7fff
	s_waitcnt lgkmcnt(0)
	v_cmp_ne_u16_e32 vcc, s6, v9
	s_nop 1
	v_cndmask_b32_e32 v9, v10, v9, vcc
	v_lshrrev_b32_sdwa v9, s68, v9 dst_sel:DWORD dst_unused:UNUSED_PAD src0_sel:DWORD src1_sel:WORD_0
	v_and_b32_e32 v9, s74, v9
.LBB192_115:
	s_or_b64 exec, exec, s[4:5]
	s_and_saveexec_b64 s[4:5], s[26:27]
	s_cbranch_execz .LBB192_117
; %bb.116:
	v_lshlrev_b32_e32 v3, 1, v2
	ds_read_u16 v3, v3 offset:2560
	s_movk_i32 s6, 0x8000
	v_mov_b32_e32 v10, 0x7fff
	s_waitcnt lgkmcnt(0)
	v_cmp_ne_u16_e32 vcc, s6, v3
	s_nop 1
	v_cndmask_b32_e32 v3, v10, v3, vcc
	v_lshrrev_b32_sdwa v3, s68, v3 dst_sel:DWORD dst_unused:UNUSED_PAD src0_sel:DWORD src1_sel:WORD_0
	v_and_b32_e32 v3, s74, v3
.LBB192_117:
	s_or_b64 exec, exec, s[4:5]
	v_mov_b32_e32 v10, 0
	v_mov_b32_e32 v36, 0
	s_and_saveexec_b64 s[4:5], s[28:29]
	s_cbranch_execz .LBB192_119
; %bb.118:
	v_lshlrev_b32_e32 v11, 1, v2
	ds_read_u16 v11, v11 offset:3072
	s_movk_i32 s6, 0x8000
	v_mov_b32_e32 v14, 0x7fff
	s_waitcnt lgkmcnt(0)
	v_cmp_ne_u16_e32 vcc, s6, v11
	s_nop 1
	v_cndmask_b32_e32 v11, v14, v11, vcc
	v_lshrrev_b32_sdwa v11, s68, v11 dst_sel:DWORD dst_unused:UNUSED_PAD src0_sel:DWORD src1_sel:WORD_0
	v_and_b32_e32 v36, s74, v11
.LBB192_119:
	s_or_b64 exec, exec, s[4:5]
	s_and_saveexec_b64 s[4:5], s[30:31]
	s_cbranch_execz .LBB192_121
; %bb.120:
	v_lshlrev_b32_e32 v10, 1, v2
	ds_read_u16 v10, v10 offset:3584
	s_movk_i32 s6, 0x8000
	v_mov_b32_e32 v11, 0x7fff
	s_waitcnt lgkmcnt(0)
	v_cmp_ne_u16_e32 vcc, s6, v10
	s_nop 1
	v_cndmask_b32_e32 v10, v11, v10, vcc
	v_lshrrev_b32_sdwa v10, s68, v10 dst_sel:DWORD dst_unused:UNUSED_PAD src0_sel:DWORD src1_sel:WORD_0
	v_and_b32_e32 v10, s74, v10
.LBB192_121:
	;; [unrolled: 32-line block ×6, first 2 shown]
	s_or_b64 exec, exec, s[4:5]
	v_lshlrev_b32_e32 v2, 3, v28
	s_barrier
	s_waitcnt vmcnt(0)
	ds_write_b64 v2, v[42:43] offset:2048
	v_lshlrev_b32_e32 v2, 3, v26
	ds_write_b64 v2, v[44:45] offset:2048
	v_lshlrev_b32_e32 v2, 3, v25
	;; [unrolled: 2-line block ×11, first 2 shown]
	ds_write_b64 v2, v[64:65] offset:2048
	s_waitcnt lgkmcnt(0)
	s_barrier
	s_and_saveexec_b64 s[4:5], s[24:25]
	s_cbranch_execz .LBB192_196
; %bb.138:
	v_lshlrev_b32_e32 v2, 3, v9
	ds_read_b64 v[16:17], v2
	ds_read_b64 v[20:21], v8 offset:2048
	v_mov_b32_e32 v9, 0
	s_waitcnt lgkmcnt(1)
	v_lshl_add_u64 v[16:17], v[16:17], 3, s[62:63]
	v_lshl_add_u64 v[16:17], v[16:17], 0, v[8:9]
	s_waitcnt lgkmcnt(0)
	global_store_dwordx2 v[16:17], v[20:21], off
	s_or_b64 exec, exec, s[4:5]
	s_and_saveexec_b64 s[4:5], s[26:27]
	s_cbranch_execnz .LBB192_197
.LBB192_139:
	s_or_b64 exec, exec, s[4:5]
	s_and_saveexec_b64 s[4:5], s[28:29]
	s_cbranch_execz .LBB192_198
.LBB192_140:
	v_lshlrev_b32_e32 v2, 3, v36
	ds_read_b64 v[2:3], v2
	ds_read_b64 v[16:17], v8 offset:6144
	v_lshlrev_b32_e32 v20, 3, v12
	v_mov_b32_e32 v21, 0
	s_waitcnt lgkmcnt(1)
	v_lshl_add_u64 v[2:3], v[2:3], 3, s[62:63]
	v_lshl_add_u64 v[2:3], v[2:3], 0, v[20:21]
	s_waitcnt lgkmcnt(0)
	global_store_dwordx2 v[2:3], v[16:17], off
	s_or_b64 exec, exec, s[4:5]
	s_and_saveexec_b64 s[4:5], s[30:31]
	s_cbranch_execnz .LBB192_199
.LBB192_141:
	s_or_b64 exec, exec, s[4:5]
	s_and_saveexec_b64 s[4:5], s[34:35]
	s_cbranch_execz .LBB192_200
.LBB192_142:
	v_lshlrev_b32_e32 v2, 3, v37
	ds_read_b64 v[2:3], v2
	ds_read_b64 v[12:13], v8 offset:10240
	v_lshlrev_b32_e32 v16, 3, v19
	v_mov_b32_e32 v17, 0
	s_waitcnt lgkmcnt(1)
	v_lshl_add_u64 v[2:3], v[2:3], 3, s[62:63]
	v_lshl_add_u64 v[2:3], v[2:3], 0, v[16:17]
	s_waitcnt lgkmcnt(0)
	global_store_dwordx2 v[2:3], v[12:13], off
	s_or_b64 exec, exec, s[4:5]
	s_and_saveexec_b64 s[4:5], s[36:37]
	s_cbranch_execnz .LBB192_201
.LBB192_143:
	s_or_b64 exec, exec, s[4:5]
	s_and_saveexec_b64 s[4:5], s[38:39]
	s_cbranch_execz .LBB192_202
.LBB192_144:
	v_lshlrev_b32_e32 v2, 3, v38
	ds_read_b64 v[2:3], v2
	ds_read_b64 v[10:11], v8 offset:14336
	v_lshlrev_b32_e32 v12, 3, v27
	v_mov_b32_e32 v13, 0
	s_waitcnt lgkmcnt(1)
	v_lshl_add_u64 v[2:3], v[2:3], 3, s[62:63]
	v_lshl_add_u64 v[2:3], v[2:3], 0, v[12:13]
	s_waitcnt lgkmcnt(0)
	global_store_dwordx2 v[2:3], v[10:11], off
	s_or_b64 exec, exec, s[4:5]
	s_and_saveexec_b64 s[4:5], s[40:41]
	s_cbranch_execnz .LBB192_203
.LBB192_145:
	s_or_b64 exec, exec, s[4:5]
	s_and_saveexec_b64 s[4:5], s[42:43]
	s_cbranch_execz .LBB192_204
.LBB192_146:
	v_lshlrev_b32_e32 v2, 3, v39
	ds_read_b64 v[2:3], v2
	ds_read_b64 v[10:11], v8 offset:18432
	v_lshlrev_b32_e32 v12, 3, v30
	v_mov_b32_e32 v13, 0
	s_waitcnt lgkmcnt(1)
	v_lshl_add_u64 v[2:3], v[2:3], 3, s[62:63]
	v_lshl_add_u64 v[2:3], v[2:3], 0, v[12:13]
	s_waitcnt lgkmcnt(0)
	global_store_dwordx2 v[2:3], v[10:11], off
	s_or_b64 exec, exec, s[4:5]
	s_and_saveexec_b64 s[4:5], s[44:45]
	s_cbranch_execnz .LBB192_205
.LBB192_147:
	s_or_b64 exec, exec, s[4:5]
	s_and_saveexec_b64 s[4:5], s[46:47]
	s_cbranch_execz .LBB192_206
.LBB192_148:
	v_lshlrev_b32_e32 v2, 3, v40
	ds_read_b64 v[2:3], v2
	ds_read_b64 v[10:11], v8 offset:22528
	v_lshlrev_b32_e32 v12, 3, v32
	v_mov_b32_e32 v13, 0
	s_waitcnt lgkmcnt(1)
	v_lshl_add_u64 v[2:3], v[2:3], 3, s[62:63]
	v_lshl_add_u64 v[2:3], v[2:3], 0, v[12:13]
	s_waitcnt lgkmcnt(0)
	global_store_dwordx2 v[2:3], v[10:11], off
	s_or_b64 exec, exec, s[4:5]
	s_and_saveexec_b64 s[4:5], s[48:49]
	s_cbranch_execnz .LBB192_207
.LBB192_149:
	s_or_b64 exec, exec, s[4:5]
	s_add_i32 s33, s33, -1
	s_cmp_eq_u32 s2, s33
	s_cbranch_scc0 .LBB192_151
.LBB192_150:
	ds_read_b64 v[2:3], v8
	v_mov_b32_e32 v7, 0
	v_lshl_add_u64 v[4:5], v[6:7], 0, v[4:5]
	s_waitcnt lgkmcnt(0)
	v_lshl_add_u64 v[2:3], v[4:5], 0, v[2:3]
	global_store_dwordx2 v8, v[2:3], s[66:67]
.LBB192_151:
	s_mov_b64 s[4:5], 0
.LBB192_152:
	s_and_b64 vcc, exec, s[4:5]
	s_cbranch_vccz .LBB192_195
; %bb.153:
	s_mov_b32 s55, 0
	s_lshl_b64 s[4:5], s[54:55], 1
	s_add_u32 s4, s56, s4
	v_mbcnt_hi_u32_b32 v12, -1, v1
	s_addc_u32 s5, s57, s5
	v_and_b32_e32 v7, 0xc0, v0
	v_mov_b32_e32 v5, 0
	v_lshlrev_b32_e32 v4, 1, v12
	v_mul_u32_u24_e32 v3, 12, v7
	v_lshl_add_u64 v[8:9], s[4:5], 0, v[4:5]
	s_load_dword s10, s[0:1], 0x50
	s_load_dword s4, s[0:1], 0x5c
	v_lshlrev_b32_e32 v4, 1, v3
	v_lshl_add_u64 v[8:9], v[8:9], 0, v[4:5]
	global_load_ushort v1, v[8:9], off
	s_add_u32 s0, s0, 0x50
	s_addc_u32 s1, s1, 0
	s_waitcnt lgkmcnt(0)
	s_lshr_b32 s4, s4, 16
	s_cmp_lt_u32 s2, s10
	s_cselect_b32 s5, 12, 18
	s_add_u32 s0, s0, s5
	s_addc_u32 s1, s1, 0
	global_load_ushort v4, v5, s[0:1]
	v_and_b32_e32 v2, 0x3ff, v0
	v_mul_u32_u24_e32 v6, 20, v2
	ds_write2_b32 v6, v5, v5 offset0:4 offset1:5
	ds_write2_b32 v6, v5, v5 offset0:6 offset1:7
	ds_write_b32 v6, v5 offset:32
	global_load_ushort v11, v[8:9], off offset:128
	global_load_ushort v16, v[8:9], off offset:256
	;; [unrolled: 1-line block ×11, first 2 shown]
	v_mov_b32_e32 v13, 0x7fff
	s_movk_i32 s12, 0x8000
	v_bfe_u32 v10, v0, 10, 10
	v_bfe_u32 v15, v0, 20, 10
	v_mad_u32_u24 v9, v15, s4, v10
	s_lshl_b32 s4, -1, s69
	v_mov_b32_e32 v0, v5
	v_mov_b32_e32 v14, v5
	s_not_b32 s11, s4
	v_mov_b32_e32 v22, v5
	v_mov_b32_e32 v28, v5
	s_waitcnt lgkmcnt(0)
	s_barrier
	s_waitcnt vmcnt(12)
	; wave barrier
	v_cmp_gt_i16_e32 vcc, 0, v1
	s_nop 1
	v_cndmask_b32_e64 v8, v13, 0, vcc
	v_xor_b32_e32 v8, v8, v1
	v_cmp_ne_u16_e32 vcc, s12, v8
	s_waitcnt vmcnt(11)
	v_mad_u64_u32 v[32:33], s[0:1], v9, v4, v[2:3]
	v_cndmask_b32_e32 v1, v13, v8, vcc
	v_lshrrev_b32_sdwa v1, s68, v1 dst_sel:DWORD dst_unused:UNUSED_PAD src0_sel:DWORD src1_sel:WORD_0
	v_bitop3_b32 v10, v1, s4, v1 bitop3:0x30
	v_and_b32_e32 v4, 1, v10
	v_lshlrev_b32_e32 v1, 30, v10
	v_lshrrev_b32_e32 v9, 6, v32
	v_lshlrev_b32_e32 v15, 29, v10
	v_lshl_add_u64 v[32:33], v[4:5], 0, -1
	v_cmp_ne_u32_e32 vcc, 0, v4
	v_cmp_gt_i64_e64 s[0:1], 0, v[0:1]
	v_not_b32_e32 v0, v1
	v_lshlrev_b32_e32 v23, 28, v10
	v_cmp_gt_i64_e64 s[4:5], 0, v[14:15]
	v_not_b32_e32 v1, v15
	v_xor_b32_e32 v15, vcc_lo, v32
	v_ashrrev_i32_e32 v0, 31, v0
	v_not_b32_e32 v4, v23
	v_ashrrev_i32_e32 v1, 31, v1
	v_and_b32_e32 v15, exec_lo, v15
	v_xor_b32_e32 v17, s1, v0
	v_xor_b32_e32 v0, s0, v0
	v_cmp_gt_i64_e64 s[6:7], 0, v[22:23]
	v_xor_b32_e32 v14, vcc_hi, v33
	v_ashrrev_i32_e32 v4, 31, v4
	v_xor_b32_e32 v18, s5, v1
	v_xor_b32_e32 v1, s4, v1
	v_and_b32_e32 v0, v15, v0
	v_lshlrev_b32_e32 v29, 27, v10
	v_and_b32_e32 v14, exec_hi, v14
	v_xor_b32_e32 v22, s7, v4
	v_xor_b32_e32 v4, s6, v4
	v_and_b32_e32 v0, v0, v1
	v_and_b32_e32 v14, v14, v17
	;; [unrolled: 1-line block ×3, first 2 shown]
	v_not_b32_e32 v4, v29
	v_cmp_gt_i64_e64 s[8:9], 0, v[28:29]
	v_and_b32_e32 v14, v14, v18
	v_ashrrev_i32_e32 v4, 31, v4
	v_and_b32_e32 v1, v14, v22
	v_xor_b32_e32 v14, s9, v4
	v_xor_b32_e32 v4, s8, v4
	v_and_b32_e32 v14, v1, v14
	v_and_b32_e32 v4, v0, v4
	v_lshlrev_b32_e32 v1, 26, v10
	v_mov_b32_e32 v0, v5
	v_cmp_gt_i64_e32 vcc, 0, v[0:1]
	v_not_b32_e32 v0, v1
	v_ashrrev_i32_e32 v0, 31, v0
	v_xor_b32_e32 v1, vcc_hi, v0
	v_xor_b32_e32 v0, vcc_lo, v0
	v_and_b32_e32 v14, v14, v1
	v_and_b32_e32 v4, v4, v0
	v_lshlrev_b32_e32 v1, 25, v10
	v_mov_b32_e32 v0, v5
	v_cmp_gt_i64_e32 vcc, 0, v[0:1]
	v_not_b32_e32 v0, v1
	v_ashrrev_i32_e32 v0, 31, v0
	v_xor_b32_e32 v1, vcc_hi, v0
	v_xor_b32_e32 v0, vcc_lo, v0
	v_and_b32_e32 v14, v14, v1
	v_and_b32_e32 v4, v4, v0
	v_lshlrev_b32_e32 v1, 24, v10
	v_mov_b32_e32 v0, v5
	v_cmp_gt_i64_e32 vcc, 0, v[0:1]
	v_not_b32_e32 v0, v1
	v_ashrrev_i32_e32 v0, 31, v0
	v_xor_b32_e32 v1, vcc_hi, v0
	v_xor_b32_e32 v0, vcc_lo, v0
	v_and_b32_e32 v0, v4, v0
	v_lshlrev_b32_e32 v20, 2, v9
	v_and_b32_e32 v1, v14, v1
	v_mbcnt_lo_u32_b32 v4, v0, 0
	v_mad_u32_u24 v9, v10, 20, v20
	v_mbcnt_hi_u32_b32 v10, v1, v4
	v_cmp_eq_u32_e32 vcc, 0, v10
	v_cmp_ne_u64_e64 s[0:1], 0, v[0:1]
	s_and_b64 s[4:5], s[0:1], vcc
	s_and_saveexec_b64 s[0:1], s[4:5]
; %bb.154:
	v_bcnt_u32_b32 v0, v0, 0
	v_bcnt_u32_b32 v0, v1, v0
	ds_write_b32 v9, v0 offset:16
; %bb.155:
	s_or_b64 exec, exec, s[0:1]
	s_waitcnt vmcnt(10)
	v_cmp_gt_i16_e32 vcc, 0, v11
	; wave barrier
	s_nop 1
	v_cndmask_b32_e64 v0, v13, 0, vcc
	v_xor_b32_e32 v11, v0, v11
	v_cmp_ne_u16_e32 vcc, s12, v11
	s_nop 1
	v_cndmask_b32_e32 v0, v13, v11, vcc
	v_lshrrev_b32_sdwa v0, s68, v0 dst_sel:DWORD dst_unused:UNUSED_PAD src0_sel:DWORD src1_sel:WORD_0
	v_and_b32_e32 v15, s11, v0
	v_and_b32_e32 v4, 1, v15
	v_lshl_add_u64 v[0:1], v[4:5], 0, -1
	v_cmp_ne_u32_e32 vcc, 0, v4
	v_mad_u32_u24 v14, v15, 20, v20
	ds_read_b32 v13, v14 offset:16
	v_xor_b32_e32 v1, vcc_hi, v1
	v_xor_b32_e32 v0, vcc_lo, v0
	v_and_b32_e32 v4, exec_hi, v1
	v_and_b32_e32 v17, exec_lo, v0
	v_lshlrev_b32_e32 v1, 30, v15
	v_mov_b32_e32 v0, v5
	v_cmp_gt_i64_e32 vcc, 0, v[0:1]
	v_not_b32_e32 v0, v1
	v_ashrrev_i32_e32 v0, 31, v0
	v_xor_b32_e32 v1, vcc_hi, v0
	v_xor_b32_e32 v0, vcc_lo, v0
	v_and_b32_e32 v4, v4, v1
	v_and_b32_e32 v17, v17, v0
	v_lshlrev_b32_e32 v1, 29, v15
	v_mov_b32_e32 v0, v5
	v_cmp_gt_i64_e32 vcc, 0, v[0:1]
	v_not_b32_e32 v0, v1
	v_ashrrev_i32_e32 v0, 31, v0
	v_xor_b32_e32 v1, vcc_hi, v0
	v_xor_b32_e32 v0, vcc_lo, v0
	v_and_b32_e32 v4, v4, v1
	v_and_b32_e32 v17, v17, v0
	;; [unrolled: 9-line block ×7, first 2 shown]
	v_mbcnt_lo_u32_b32 v4, v0, 0
	v_mbcnt_hi_u32_b32 v15, v1, v4
	v_cmp_eq_u32_e32 vcc, 0, v15
	v_cmp_ne_u64_e64 s[0:1], 0, v[0:1]
	s_and_b64 s[4:5], s[0:1], vcc
	; wave barrier
	s_and_saveexec_b64 s[0:1], s[4:5]
	s_cbranch_execz .LBB192_157
; %bb.156:
	v_bcnt_u32_b32 v0, v0, 0
	v_bcnt_u32_b32 v0, v1, v0
	s_waitcnt lgkmcnt(0)
	v_add_u32_e32 v0, v13, v0
	ds_write_b32 v14, v0 offset:16
.LBB192_157:
	s_or_b64 exec, exec, s[0:1]
	v_mov_b32_e32 v23, 0x7fff
	s_waitcnt vmcnt(9)
	v_cmp_gt_i16_e32 vcc, 0, v16
	s_movk_i32 s4, 0x8000
	v_mov_b32_e32 v1, 0
	v_cndmask_b32_e64 v0, v23, 0, vcc
	v_xor_b32_e32 v16, v0, v16
	v_cmp_ne_u16_e32 vcc, s4, v16
	; wave barrier
	s_nop 1
	v_cndmask_b32_e32 v0, v23, v16, vcc
	v_lshrrev_b32_sdwa v0, s68, v0 dst_sel:DWORD dst_unused:UNUSED_PAD src0_sel:DWORD src1_sel:WORD_0
	v_and_b32_e32 v22, s11, v0
	v_and_b32_e32 v0, 1, v22
	v_lshl_add_u64 v[4:5], v[0:1], 0, -1
	v_cmp_ne_u32_e32 vcc, 0, v0
	v_mad_u32_u24 v18, v22, 20, v20
	ds_read_b32 v17, v18 offset:16
	v_xor_b32_e32 v4, vcc_lo, v4
	v_xor_b32_e32 v0, vcc_hi, v5
	v_and_b32_e32 v24, exec_lo, v4
	v_lshlrev_b32_e32 v5, 30, v22
	v_mov_b32_e32 v4, v1
	v_cmp_gt_i64_e32 vcc, 0, v[4:5]
	v_not_b32_e32 v4, v5
	v_ashrrev_i32_e32 v4, 31, v4
	v_and_b32_e32 v0, exec_hi, v0
	v_xor_b32_e32 v5, vcc_hi, v4
	v_xor_b32_e32 v4, vcc_lo, v4
	v_and_b32_e32 v0, v0, v5
	v_and_b32_e32 v24, v24, v4
	v_lshlrev_b32_e32 v5, 29, v22
	v_mov_b32_e32 v4, v1
	v_cmp_gt_i64_e32 vcc, 0, v[4:5]
	v_not_b32_e32 v4, v5
	v_ashrrev_i32_e32 v4, 31, v4
	v_xor_b32_e32 v5, vcc_hi, v4
	v_xor_b32_e32 v4, vcc_lo, v4
	v_and_b32_e32 v0, v0, v5
	v_and_b32_e32 v24, v24, v4
	v_lshlrev_b32_e32 v5, 28, v22
	v_mov_b32_e32 v4, v1
	v_cmp_gt_i64_e32 vcc, 0, v[4:5]
	v_not_b32_e32 v4, v5
	v_ashrrev_i32_e32 v4, 31, v4
	;; [unrolled: 9-line block ×6, first 2 shown]
	v_xor_b32_e32 v5, vcc_hi, v4
	v_xor_b32_e32 v4, vcc_lo, v4
	v_and_b32_e32 v4, v24, v4
	v_and_b32_e32 v5, v0, v5
	v_mbcnt_lo_u32_b32 v0, v4, 0
	v_mbcnt_hi_u32_b32 v22, v5, v0
	v_cmp_eq_u32_e32 vcc, 0, v22
	v_cmp_ne_u64_e64 s[0:1], 0, v[4:5]
	s_and_b64 s[6:7], s[0:1], vcc
	; wave barrier
	s_and_saveexec_b64 s[0:1], s[6:7]
	s_cbranch_execz .LBB192_159
; %bb.158:
	v_bcnt_u32_b32 v0, v4, 0
	v_bcnt_u32_b32 v0, v5, v0
	s_waitcnt lgkmcnt(0)
	v_add_u32_e32 v0, v17, v0
	ds_write_b32 v18, v0 offset:16
.LBB192_159:
	s_or_b64 exec, exec, s[0:1]
	s_waitcnt vmcnt(8)
	v_cmp_gt_i16_e32 vcc, 0, v21
	; wave barrier
	s_nop 1
	v_cndmask_b32_e64 v0, v23, 0, vcc
	v_xor_b32_e32 v21, v0, v21
	v_cmp_ne_u16_e32 vcc, s4, v21
	s_nop 1
	v_cndmask_b32_e32 v0, v23, v21, vcc
	v_lshrrev_b32_sdwa v0, s68, v0 dst_sel:DWORD dst_unused:UNUSED_PAD src0_sel:DWORD src1_sel:WORD_0
	v_and_b32_e32 v27, s11, v0
	v_and_b32_e32 v0, 1, v27
	v_lshl_add_u64 v[4:5], v[0:1], 0, -1
	v_cmp_ne_u32_e32 vcc, 0, v0
	v_mad_u32_u24 v24, v27, 20, v20
	ds_read_b32 v23, v24 offset:16
	v_xor_b32_e32 v4, vcc_lo, v4
	v_xor_b32_e32 v0, vcc_hi, v5
	v_and_b32_e32 v28, exec_lo, v4
	v_lshlrev_b32_e32 v5, 30, v27
	v_mov_b32_e32 v4, v1
	v_cmp_gt_i64_e32 vcc, 0, v[4:5]
	v_not_b32_e32 v4, v5
	v_ashrrev_i32_e32 v4, 31, v4
	v_and_b32_e32 v0, exec_hi, v0
	v_xor_b32_e32 v5, vcc_hi, v4
	v_xor_b32_e32 v4, vcc_lo, v4
	v_and_b32_e32 v0, v0, v5
	v_and_b32_e32 v28, v28, v4
	v_lshlrev_b32_e32 v5, 29, v27
	v_mov_b32_e32 v4, v1
	v_cmp_gt_i64_e32 vcc, 0, v[4:5]
	v_not_b32_e32 v4, v5
	v_ashrrev_i32_e32 v4, 31, v4
	v_xor_b32_e32 v5, vcc_hi, v4
	v_xor_b32_e32 v4, vcc_lo, v4
	v_and_b32_e32 v0, v0, v5
	v_and_b32_e32 v28, v28, v4
	v_lshlrev_b32_e32 v5, 28, v27
	v_mov_b32_e32 v4, v1
	v_cmp_gt_i64_e32 vcc, 0, v[4:5]
	v_not_b32_e32 v4, v5
	v_ashrrev_i32_e32 v4, 31, v4
	;; [unrolled: 9-line block ×5, first 2 shown]
	v_xor_b32_e32 v5, vcc_hi, v4
	v_xor_b32_e32 v4, vcc_lo, v4
	v_and_b32_e32 v0, v0, v5
	v_lshlrev_b32_e32 v5, 24, v27
	v_and_b32_e32 v28, v28, v4
	v_mov_b32_e32 v4, v1
	v_not_b32_e32 v1, v5
	v_cmp_gt_i64_e32 vcc, 0, v[4:5]
	v_ashrrev_i32_e32 v1, 31, v1
	s_nop 0
	v_xor_b32_e32 v4, vcc_hi, v1
	v_xor_b32_e32 v5, vcc_lo, v1
	v_and_b32_e32 v1, v0, v4
	v_and_b32_e32 v0, v28, v5
	v_mbcnt_lo_u32_b32 v4, v0, 0
	v_mbcnt_hi_u32_b32 v27, v1, v4
	v_cmp_eq_u32_e32 vcc, 0, v27
	v_cmp_ne_u64_e64 s[0:1], 0, v[0:1]
	s_and_b64 s[4:5], s[0:1], vcc
	; wave barrier
	s_and_saveexec_b64 s[0:1], s[4:5]
	s_cbranch_execz .LBB192_161
; %bb.160:
	v_bcnt_u32_b32 v0, v0, 0
	v_bcnt_u32_b32 v0, v1, v0
	s_waitcnt lgkmcnt(0)
	v_add_u32_e32 v0, v23, v0
	ds_write_b32 v24, v0 offset:16
.LBB192_161:
	s_or_b64 exec, exec, s[0:1]
	v_mov_b32_e32 v33, 0x7fff
	s_waitcnt vmcnt(7)
	v_cmp_gt_i16_e32 vcc, 0, v26
	s_movk_i32 s4, 0x8000
	v_mov_b32_e32 v1, 0
	v_cndmask_b32_e64 v0, v33, 0, vcc
	v_xor_b32_e32 v26, v0, v26
	v_cmp_ne_u16_e32 vcc, s4, v26
	; wave barrier
	s_nop 1
	v_cndmask_b32_e32 v0, v33, v26, vcc
	v_lshrrev_b32_sdwa v0, s68, v0 dst_sel:DWORD dst_unused:UNUSED_PAD src0_sel:DWORD src1_sel:WORD_0
	v_and_b32_e32 v32, s11, v0
	v_and_b32_e32 v0, 1, v32
	v_lshl_add_u64 v[4:5], v[0:1], 0, -1
	v_cmp_ne_u32_e32 vcc, 0, v0
	v_mad_u32_u24 v29, v32, 20, v20
	ds_read_b32 v28, v29 offset:16
	v_xor_b32_e32 v4, vcc_lo, v4
	v_xor_b32_e32 v0, vcc_hi, v5
	v_and_b32_e32 v34, exec_lo, v4
	v_lshlrev_b32_e32 v5, 30, v32
	v_mov_b32_e32 v4, v1
	v_cmp_gt_i64_e32 vcc, 0, v[4:5]
	v_not_b32_e32 v4, v5
	v_ashrrev_i32_e32 v4, 31, v4
	v_and_b32_e32 v0, exec_hi, v0
	v_xor_b32_e32 v5, vcc_hi, v4
	v_xor_b32_e32 v4, vcc_lo, v4
	v_and_b32_e32 v0, v0, v5
	v_and_b32_e32 v34, v34, v4
	v_lshlrev_b32_e32 v5, 29, v32
	v_mov_b32_e32 v4, v1
	v_cmp_gt_i64_e32 vcc, 0, v[4:5]
	v_not_b32_e32 v4, v5
	v_ashrrev_i32_e32 v4, 31, v4
	v_xor_b32_e32 v5, vcc_hi, v4
	v_xor_b32_e32 v4, vcc_lo, v4
	v_and_b32_e32 v0, v0, v5
	v_and_b32_e32 v34, v34, v4
	v_lshlrev_b32_e32 v5, 28, v32
	v_mov_b32_e32 v4, v1
	v_cmp_gt_i64_e32 vcc, 0, v[4:5]
	v_not_b32_e32 v4, v5
	v_ashrrev_i32_e32 v4, 31, v4
	;; [unrolled: 9-line block ×6, first 2 shown]
	v_xor_b32_e32 v5, vcc_hi, v4
	v_xor_b32_e32 v4, vcc_lo, v4
	v_and_b32_e32 v4, v34, v4
	v_and_b32_e32 v5, v0, v5
	v_mbcnt_lo_u32_b32 v0, v4, 0
	v_mbcnt_hi_u32_b32 v32, v5, v0
	v_cmp_eq_u32_e32 vcc, 0, v32
	v_cmp_ne_u64_e64 s[0:1], 0, v[4:5]
	s_and_b64 s[6:7], s[0:1], vcc
	; wave barrier
	s_and_saveexec_b64 s[0:1], s[6:7]
	s_cbranch_execz .LBB192_163
; %bb.162:
	v_bcnt_u32_b32 v0, v4, 0
	v_bcnt_u32_b32 v0, v5, v0
	s_waitcnt lgkmcnt(0)
	v_add_u32_e32 v0, v28, v0
	ds_write_b32 v29, v0 offset:16
.LBB192_163:
	s_or_b64 exec, exec, s[0:1]
	s_waitcnt vmcnt(6)
	v_cmp_gt_i16_e32 vcc, 0, v31
	; wave barrier
	s_nop 1
	v_cndmask_b32_e64 v0, v33, 0, vcc
	v_xor_b32_e32 v31, v0, v31
	v_cmp_ne_u16_e32 vcc, s4, v31
	s_nop 1
	v_cndmask_b32_e32 v0, v33, v31, vcc
	v_lshrrev_b32_sdwa v0, s68, v0 dst_sel:DWORD dst_unused:UNUSED_PAD src0_sel:DWORD src1_sel:WORD_0
	v_and_b32_e32 v37, s11, v0
	v_and_b32_e32 v0, 1, v37
	v_lshl_add_u64 v[4:5], v[0:1], 0, -1
	v_cmp_ne_u32_e32 vcc, 0, v0
	v_mad_u32_u24 v34, v37, 20, v20
	ds_read_b32 v33, v34 offset:16
	v_xor_b32_e32 v4, vcc_lo, v4
	v_xor_b32_e32 v0, vcc_hi, v5
	v_and_b32_e32 v38, exec_lo, v4
	v_lshlrev_b32_e32 v5, 30, v37
	v_mov_b32_e32 v4, v1
	v_cmp_gt_i64_e32 vcc, 0, v[4:5]
	v_not_b32_e32 v4, v5
	v_ashrrev_i32_e32 v4, 31, v4
	v_and_b32_e32 v0, exec_hi, v0
	v_xor_b32_e32 v5, vcc_hi, v4
	v_xor_b32_e32 v4, vcc_lo, v4
	v_and_b32_e32 v0, v0, v5
	v_and_b32_e32 v38, v38, v4
	v_lshlrev_b32_e32 v5, 29, v37
	v_mov_b32_e32 v4, v1
	v_cmp_gt_i64_e32 vcc, 0, v[4:5]
	v_not_b32_e32 v4, v5
	v_ashrrev_i32_e32 v4, 31, v4
	v_xor_b32_e32 v5, vcc_hi, v4
	v_xor_b32_e32 v4, vcc_lo, v4
	v_and_b32_e32 v0, v0, v5
	v_and_b32_e32 v38, v38, v4
	v_lshlrev_b32_e32 v5, 28, v37
	v_mov_b32_e32 v4, v1
	v_cmp_gt_i64_e32 vcc, 0, v[4:5]
	v_not_b32_e32 v4, v5
	v_ashrrev_i32_e32 v4, 31, v4
	;; [unrolled: 9-line block ×5, first 2 shown]
	v_xor_b32_e32 v5, vcc_hi, v4
	v_xor_b32_e32 v4, vcc_lo, v4
	v_and_b32_e32 v0, v0, v5
	v_lshlrev_b32_e32 v5, 24, v37
	v_and_b32_e32 v38, v38, v4
	v_mov_b32_e32 v4, v1
	v_not_b32_e32 v1, v5
	v_cmp_gt_i64_e32 vcc, 0, v[4:5]
	v_ashrrev_i32_e32 v1, 31, v1
	s_nop 0
	v_xor_b32_e32 v4, vcc_hi, v1
	v_xor_b32_e32 v5, vcc_lo, v1
	v_and_b32_e32 v1, v0, v4
	v_and_b32_e32 v0, v38, v5
	v_mbcnt_lo_u32_b32 v4, v0, 0
	v_mbcnt_hi_u32_b32 v37, v1, v4
	v_cmp_eq_u32_e32 vcc, 0, v37
	v_cmp_ne_u64_e64 s[0:1], 0, v[0:1]
	s_and_b64 s[4:5], s[0:1], vcc
	; wave barrier
	s_and_saveexec_b64 s[0:1], s[4:5]
	s_cbranch_execz .LBB192_165
; %bb.164:
	v_bcnt_u32_b32 v0, v0, 0
	v_bcnt_u32_b32 v0, v1, v0
	s_waitcnt lgkmcnt(0)
	v_add_u32_e32 v0, v33, v0
	ds_write_b32 v34, v0 offset:16
.LBB192_165:
	s_or_b64 exec, exec, s[0:1]
	v_mov_b32_e32 v42, 0x7fff
	s_waitcnt vmcnt(5)
	v_cmp_gt_i16_e32 vcc, 0, v36
	s_movk_i32 s4, 0x8000
	v_mov_b32_e32 v1, 0
	v_cndmask_b32_e64 v0, v42, 0, vcc
	v_xor_b32_e32 v36, v0, v36
	v_cmp_ne_u16_e32 vcc, s4, v36
	; wave barrier
	s_nop 1
	v_cndmask_b32_e32 v0, v42, v36, vcc
	v_lshrrev_b32_sdwa v0, s68, v0 dst_sel:DWORD dst_unused:UNUSED_PAD src0_sel:DWORD src1_sel:WORD_0
	v_and_b32_e32 v41, s11, v0
	v_and_b32_e32 v0, 1, v41
	v_lshl_add_u64 v[4:5], v[0:1], 0, -1
	v_cmp_ne_u32_e32 vcc, 0, v0
	v_mad_u32_u24 v39, v41, 20, v20
	ds_read_b32 v38, v39 offset:16
	v_xor_b32_e32 v4, vcc_lo, v4
	v_xor_b32_e32 v0, vcc_hi, v5
	v_and_b32_e32 v43, exec_lo, v4
	v_lshlrev_b32_e32 v5, 30, v41
	v_mov_b32_e32 v4, v1
	v_cmp_gt_i64_e32 vcc, 0, v[4:5]
	v_not_b32_e32 v4, v5
	v_ashrrev_i32_e32 v4, 31, v4
	v_and_b32_e32 v0, exec_hi, v0
	v_xor_b32_e32 v5, vcc_hi, v4
	v_xor_b32_e32 v4, vcc_lo, v4
	v_and_b32_e32 v0, v0, v5
	v_and_b32_e32 v43, v43, v4
	v_lshlrev_b32_e32 v5, 29, v41
	v_mov_b32_e32 v4, v1
	v_cmp_gt_i64_e32 vcc, 0, v[4:5]
	v_not_b32_e32 v4, v5
	v_ashrrev_i32_e32 v4, 31, v4
	v_xor_b32_e32 v5, vcc_hi, v4
	v_xor_b32_e32 v4, vcc_lo, v4
	v_and_b32_e32 v0, v0, v5
	v_and_b32_e32 v43, v43, v4
	v_lshlrev_b32_e32 v5, 28, v41
	v_mov_b32_e32 v4, v1
	v_cmp_gt_i64_e32 vcc, 0, v[4:5]
	v_not_b32_e32 v4, v5
	v_ashrrev_i32_e32 v4, 31, v4
	v_xor_b32_e32 v5, vcc_hi, v4
	v_xor_b32_e32 v4, vcc_lo, v4
	v_and_b32_e32 v0, v0, v5
	v_and_b32_e32 v43, v43, v4
	v_lshlrev_b32_e32 v5, 27, v41
	v_mov_b32_e32 v4, v1
	v_cmp_gt_i64_e32 vcc, 0, v[4:5]
	v_not_b32_e32 v4, v5
	v_ashrrev_i32_e32 v4, 31, v4
	v_xor_b32_e32 v5, vcc_hi, v4
	v_xor_b32_e32 v4, vcc_lo, v4
	v_and_b32_e32 v0, v0, v5
	v_and_b32_e32 v43, v43, v4
	v_lshlrev_b32_e32 v5, 26, v41
	v_mov_b32_e32 v4, v1
	v_cmp_gt_i64_e32 vcc, 0, v[4:5]
	v_not_b32_e32 v4, v5
	v_ashrrev_i32_e32 v4, 31, v4
	v_xor_b32_e32 v5, vcc_hi, v4
	v_xor_b32_e32 v4, vcc_lo, v4
	v_and_b32_e32 v0, v0, v5
	v_and_b32_e32 v43, v43, v4
	v_lshlrev_b32_e32 v5, 25, v41
	v_mov_b32_e32 v4, v1
	v_cmp_gt_i64_e32 vcc, 0, v[4:5]
	v_not_b32_e32 v4, v5
	v_ashrrev_i32_e32 v4, 31, v4
	v_xor_b32_e32 v5, vcc_hi, v4
	v_xor_b32_e32 v4, vcc_lo, v4
	v_and_b32_e32 v0, v0, v5
	v_and_b32_e32 v43, v43, v4
	v_lshlrev_b32_e32 v5, 24, v41
	v_mov_b32_e32 v4, v1
	v_cmp_gt_i64_e32 vcc, 0, v[4:5]
	v_not_b32_e32 v4, v5
	v_ashrrev_i32_e32 v4, 31, v4
	v_xor_b32_e32 v5, vcc_hi, v4
	v_xor_b32_e32 v4, vcc_lo, v4
	v_and_b32_e32 v4, v43, v4
	v_and_b32_e32 v5, v0, v5
	v_mbcnt_lo_u32_b32 v0, v4, 0
	v_mbcnt_hi_u32_b32 v41, v5, v0
	v_cmp_eq_u32_e32 vcc, 0, v41
	v_cmp_ne_u64_e64 s[0:1], 0, v[4:5]
	s_and_b64 s[6:7], s[0:1], vcc
	; wave barrier
	s_and_saveexec_b64 s[0:1], s[6:7]
	s_cbranch_execz .LBB192_167
; %bb.166:
	v_bcnt_u32_b32 v0, v4, 0
	v_bcnt_u32_b32 v0, v5, v0
	s_waitcnt lgkmcnt(0)
	v_add_u32_e32 v0, v38, v0
	ds_write_b32 v39, v0 offset:16
.LBB192_167:
	s_or_b64 exec, exec, s[0:1]
	s_waitcnt vmcnt(4)
	v_cmp_gt_i16_e32 vcc, 0, v40
	; wave barrier
	s_nop 1
	v_cndmask_b32_e64 v0, v42, 0, vcc
	v_xor_b32_e32 v40, v0, v40
	v_cmp_ne_u16_e32 vcc, s4, v40
	s_nop 1
	v_cndmask_b32_e32 v0, v42, v40, vcc
	v_lshrrev_b32_sdwa v0, s68, v0 dst_sel:DWORD dst_unused:UNUSED_PAD src0_sel:DWORD src1_sel:WORD_0
	v_and_b32_e32 v44, s11, v0
	v_and_b32_e32 v0, 1, v44
	v_lshl_add_u64 v[4:5], v[0:1], 0, -1
	v_cmp_ne_u32_e32 vcc, 0, v0
	v_mad_u32_u24 v43, v44, 20, v20
	ds_read_b32 v42, v43 offset:16
	v_xor_b32_e32 v4, vcc_lo, v4
	v_xor_b32_e32 v0, vcc_hi, v5
	v_and_b32_e32 v45, exec_lo, v4
	v_lshlrev_b32_e32 v5, 30, v44
	v_mov_b32_e32 v4, v1
	v_cmp_gt_i64_e32 vcc, 0, v[4:5]
	v_not_b32_e32 v4, v5
	v_ashrrev_i32_e32 v4, 31, v4
	v_and_b32_e32 v0, exec_hi, v0
	v_xor_b32_e32 v5, vcc_hi, v4
	v_xor_b32_e32 v4, vcc_lo, v4
	v_and_b32_e32 v0, v0, v5
	v_and_b32_e32 v45, v45, v4
	v_lshlrev_b32_e32 v5, 29, v44
	v_mov_b32_e32 v4, v1
	v_cmp_gt_i64_e32 vcc, 0, v[4:5]
	v_not_b32_e32 v4, v5
	v_ashrrev_i32_e32 v4, 31, v4
	v_xor_b32_e32 v5, vcc_hi, v4
	v_xor_b32_e32 v4, vcc_lo, v4
	v_and_b32_e32 v0, v0, v5
	v_and_b32_e32 v45, v45, v4
	v_lshlrev_b32_e32 v5, 28, v44
	v_mov_b32_e32 v4, v1
	v_cmp_gt_i64_e32 vcc, 0, v[4:5]
	v_not_b32_e32 v4, v5
	v_ashrrev_i32_e32 v4, 31, v4
	;; [unrolled: 9-line block ×5, first 2 shown]
	v_xor_b32_e32 v5, vcc_hi, v4
	v_xor_b32_e32 v4, vcc_lo, v4
	v_and_b32_e32 v0, v0, v5
	v_lshlrev_b32_e32 v5, 24, v44
	v_and_b32_e32 v45, v45, v4
	v_mov_b32_e32 v4, v1
	v_not_b32_e32 v1, v5
	v_cmp_gt_i64_e32 vcc, 0, v[4:5]
	v_ashrrev_i32_e32 v1, 31, v1
	s_nop 0
	v_xor_b32_e32 v4, vcc_hi, v1
	v_xor_b32_e32 v5, vcc_lo, v1
	v_and_b32_e32 v1, v0, v4
	v_and_b32_e32 v0, v45, v5
	v_mbcnt_lo_u32_b32 v4, v0, 0
	v_mbcnt_hi_u32_b32 v44, v1, v4
	v_cmp_eq_u32_e32 vcc, 0, v44
	v_cmp_ne_u64_e64 s[0:1], 0, v[0:1]
	s_and_b64 s[4:5], s[0:1], vcc
	; wave barrier
	s_and_saveexec_b64 s[0:1], s[4:5]
	s_cbranch_execz .LBB192_169
; %bb.168:
	v_bcnt_u32_b32 v0, v0, 0
	v_bcnt_u32_b32 v0, v1, v0
	s_waitcnt lgkmcnt(0)
	v_add_u32_e32 v0, v42, v0
	ds_write_b32 v43, v0 offset:16
.LBB192_169:
	s_or_b64 exec, exec, s[0:1]
	v_mov_b32_e32 v48, 0x7fff
	s_waitcnt vmcnt(3)
	v_cmp_gt_i16_e32 vcc, 0, v35
	s_movk_i32 s4, 0x8000
	v_mov_b32_e32 v1, 0
	v_cndmask_b32_e64 v0, v48, 0, vcc
	v_xor_b32_e32 v35, v0, v35
	v_cmp_ne_u16_e32 vcc, s4, v35
	; wave barrier
	s_nop 1
	v_cndmask_b32_e32 v0, v48, v35, vcc
	v_lshrrev_b32_sdwa v0, s68, v0 dst_sel:DWORD dst_unused:UNUSED_PAD src0_sel:DWORD src1_sel:WORD_0
	v_and_b32_e32 v47, s11, v0
	v_and_b32_e32 v0, 1, v47
	v_lshl_add_u64 v[4:5], v[0:1], 0, -1
	v_cmp_ne_u32_e32 vcc, 0, v0
	v_mad_u32_u24 v46, v47, 20, v20
	ds_read_b32 v45, v46 offset:16
	v_xor_b32_e32 v4, vcc_lo, v4
	v_xor_b32_e32 v0, vcc_hi, v5
	v_and_b32_e32 v49, exec_lo, v4
	v_lshlrev_b32_e32 v5, 30, v47
	v_mov_b32_e32 v4, v1
	v_cmp_gt_i64_e32 vcc, 0, v[4:5]
	v_not_b32_e32 v4, v5
	v_ashrrev_i32_e32 v4, 31, v4
	v_and_b32_e32 v0, exec_hi, v0
	v_xor_b32_e32 v5, vcc_hi, v4
	v_xor_b32_e32 v4, vcc_lo, v4
	v_and_b32_e32 v0, v0, v5
	v_and_b32_e32 v49, v49, v4
	v_lshlrev_b32_e32 v5, 29, v47
	v_mov_b32_e32 v4, v1
	v_cmp_gt_i64_e32 vcc, 0, v[4:5]
	v_not_b32_e32 v4, v5
	v_ashrrev_i32_e32 v4, 31, v4
	v_xor_b32_e32 v5, vcc_hi, v4
	v_xor_b32_e32 v4, vcc_lo, v4
	v_and_b32_e32 v0, v0, v5
	v_and_b32_e32 v49, v49, v4
	v_lshlrev_b32_e32 v5, 28, v47
	v_mov_b32_e32 v4, v1
	v_cmp_gt_i64_e32 vcc, 0, v[4:5]
	v_not_b32_e32 v4, v5
	v_ashrrev_i32_e32 v4, 31, v4
	;; [unrolled: 9-line block ×6, first 2 shown]
	v_xor_b32_e32 v5, vcc_hi, v4
	v_xor_b32_e32 v4, vcc_lo, v4
	v_and_b32_e32 v4, v49, v4
	v_and_b32_e32 v5, v0, v5
	v_mbcnt_lo_u32_b32 v0, v4, 0
	v_mbcnt_hi_u32_b32 v47, v5, v0
	v_cmp_eq_u32_e32 vcc, 0, v47
	v_cmp_ne_u64_e64 s[0:1], 0, v[4:5]
	s_and_b64 s[6:7], s[0:1], vcc
	; wave barrier
	s_and_saveexec_b64 s[0:1], s[6:7]
	s_cbranch_execz .LBB192_171
; %bb.170:
	v_bcnt_u32_b32 v0, v4, 0
	v_bcnt_u32_b32 v0, v5, v0
	s_waitcnt lgkmcnt(0)
	v_add_u32_e32 v0, v45, v0
	ds_write_b32 v46, v0 offset:16
.LBB192_171:
	s_or_b64 exec, exec, s[0:1]
	s_waitcnt vmcnt(2)
	v_cmp_gt_i16_e32 vcc, 0, v30
	; wave barrier
	s_nop 1
	v_cndmask_b32_e64 v0, v48, 0, vcc
	v_xor_b32_e32 v30, v0, v30
	v_cmp_ne_u16_e32 vcc, s4, v30
	s_nop 1
	v_cndmask_b32_e32 v0, v48, v30, vcc
	v_lshrrev_b32_sdwa v0, s68, v0 dst_sel:DWORD dst_unused:UNUSED_PAD src0_sel:DWORD src1_sel:WORD_0
	v_and_b32_e32 v50, s11, v0
	v_and_b32_e32 v0, 1, v50
	v_lshl_add_u64 v[4:5], v[0:1], 0, -1
	v_cmp_ne_u32_e32 vcc, 0, v0
	v_mad_u32_u24 v49, v50, 20, v20
	ds_read_b32 v48, v49 offset:16
	v_xor_b32_e32 v4, vcc_lo, v4
	v_xor_b32_e32 v0, vcc_hi, v5
	v_and_b32_e32 v51, exec_lo, v4
	v_lshlrev_b32_e32 v5, 30, v50
	v_mov_b32_e32 v4, v1
	v_cmp_gt_i64_e32 vcc, 0, v[4:5]
	v_not_b32_e32 v4, v5
	v_ashrrev_i32_e32 v4, 31, v4
	v_and_b32_e32 v0, exec_hi, v0
	v_xor_b32_e32 v5, vcc_hi, v4
	v_xor_b32_e32 v4, vcc_lo, v4
	v_and_b32_e32 v0, v0, v5
	v_and_b32_e32 v51, v51, v4
	v_lshlrev_b32_e32 v5, 29, v50
	v_mov_b32_e32 v4, v1
	v_cmp_gt_i64_e32 vcc, 0, v[4:5]
	v_not_b32_e32 v4, v5
	v_ashrrev_i32_e32 v4, 31, v4
	v_xor_b32_e32 v5, vcc_hi, v4
	v_xor_b32_e32 v4, vcc_lo, v4
	v_and_b32_e32 v0, v0, v5
	v_and_b32_e32 v51, v51, v4
	v_lshlrev_b32_e32 v5, 28, v50
	v_mov_b32_e32 v4, v1
	v_cmp_gt_i64_e32 vcc, 0, v[4:5]
	v_not_b32_e32 v4, v5
	v_ashrrev_i32_e32 v4, 31, v4
	;; [unrolled: 9-line block ×5, first 2 shown]
	v_xor_b32_e32 v5, vcc_hi, v4
	v_xor_b32_e32 v4, vcc_lo, v4
	v_and_b32_e32 v0, v0, v5
	v_lshlrev_b32_e32 v5, 24, v50
	v_and_b32_e32 v51, v51, v4
	v_mov_b32_e32 v4, v1
	v_not_b32_e32 v1, v5
	v_cmp_gt_i64_e32 vcc, 0, v[4:5]
	v_ashrrev_i32_e32 v1, 31, v1
	s_nop 0
	v_xor_b32_e32 v4, vcc_hi, v1
	v_xor_b32_e32 v5, vcc_lo, v1
	v_and_b32_e32 v1, v0, v4
	v_and_b32_e32 v0, v51, v5
	v_mbcnt_lo_u32_b32 v4, v0, 0
	v_mbcnt_hi_u32_b32 v51, v1, v4
	v_cmp_eq_u32_e32 vcc, 0, v51
	v_cmp_ne_u64_e64 s[0:1], 0, v[0:1]
	s_and_b64 s[4:5], s[0:1], vcc
	; wave barrier
	s_and_saveexec_b64 s[0:1], s[4:5]
	s_cbranch_execz .LBB192_173
; %bb.172:
	v_bcnt_u32_b32 v0, v0, 0
	v_bcnt_u32_b32 v0, v1, v0
	s_waitcnt lgkmcnt(0)
	v_add_u32_e32 v0, v48, v0
	ds_write_b32 v49, v0 offset:16
.LBB192_173:
	s_or_b64 exec, exec, s[0:1]
	v_mov_b32_e32 v55, 0x7fff
	s_waitcnt vmcnt(1)
	v_cmp_gt_i16_e32 vcc, 0, v25
	s_movk_i32 s4, 0x8000
	v_mov_b32_e32 v1, 0
	v_cndmask_b32_e64 v0, v55, 0, vcc
	v_xor_b32_e32 v50, v0, v25
	v_cmp_ne_u16_e32 vcc, s4, v50
	; wave barrier
	s_nop 1
	v_cndmask_b32_e32 v0, v55, v50, vcc
	v_lshrrev_b32_sdwa v0, s68, v0 dst_sel:DWORD dst_unused:UNUSED_PAD src0_sel:DWORD src1_sel:WORD_0
	v_and_b32_e32 v53, s11, v0
	v_and_b32_e32 v0, 1, v53
	v_lshl_add_u64 v[4:5], v[0:1], 0, -1
	v_cmp_ne_u32_e32 vcc, 0, v0
	v_mad_u32_u24 v25, v53, 20, v20
	ds_read_b32 v52, v25 offset:16
	v_xor_b32_e32 v4, vcc_lo, v4
	v_xor_b32_e32 v0, vcc_hi, v5
	v_and_b32_e32 v54, exec_lo, v4
	v_lshlrev_b32_e32 v5, 30, v53
	v_mov_b32_e32 v4, v1
	v_cmp_gt_i64_e32 vcc, 0, v[4:5]
	v_not_b32_e32 v4, v5
	v_ashrrev_i32_e32 v4, 31, v4
	v_and_b32_e32 v0, exec_hi, v0
	v_xor_b32_e32 v5, vcc_hi, v4
	v_xor_b32_e32 v4, vcc_lo, v4
	v_and_b32_e32 v0, v0, v5
	v_and_b32_e32 v54, v54, v4
	v_lshlrev_b32_e32 v5, 29, v53
	v_mov_b32_e32 v4, v1
	v_cmp_gt_i64_e32 vcc, 0, v[4:5]
	v_not_b32_e32 v4, v5
	v_ashrrev_i32_e32 v4, 31, v4
	v_xor_b32_e32 v5, vcc_hi, v4
	v_xor_b32_e32 v4, vcc_lo, v4
	v_and_b32_e32 v0, v0, v5
	v_and_b32_e32 v54, v54, v4
	v_lshlrev_b32_e32 v5, 28, v53
	v_mov_b32_e32 v4, v1
	v_cmp_gt_i64_e32 vcc, 0, v[4:5]
	v_not_b32_e32 v4, v5
	v_ashrrev_i32_e32 v4, 31, v4
	;; [unrolled: 9-line block ×6, first 2 shown]
	v_xor_b32_e32 v5, vcc_hi, v4
	v_xor_b32_e32 v4, vcc_lo, v4
	v_and_b32_e32 v4, v54, v4
	v_and_b32_e32 v5, v0, v5
	v_mbcnt_lo_u32_b32 v0, v4, 0
	v_mbcnt_hi_u32_b32 v54, v5, v0
	v_cmp_eq_u32_e32 vcc, 0, v54
	v_cmp_ne_u64_e64 s[0:1], 0, v[4:5]
	s_and_b64 s[6:7], s[0:1], vcc
	; wave barrier
	s_and_saveexec_b64 s[0:1], s[6:7]
	s_cbranch_execz .LBB192_175
; %bb.174:
	v_bcnt_u32_b32 v0, v4, 0
	v_bcnt_u32_b32 v0, v5, v0
	s_waitcnt lgkmcnt(0)
	v_add_u32_e32 v0, v52, v0
	ds_write_b32 v25, v0 offset:16
.LBB192_175:
	s_or_b64 exec, exec, s[0:1]
	s_waitcnt vmcnt(0)
	v_cmp_gt_i16_e32 vcc, 0, v19
	; wave barrier
	s_nop 1
	v_cndmask_b32_e64 v0, v55, 0, vcc
	v_xor_b32_e32 v53, v0, v19
	v_cmp_ne_u16_e32 vcc, s4, v53
	s_nop 1
	v_cndmask_b32_e32 v0, v55, v53, vcc
	v_lshrrev_b32_sdwa v0, s68, v0 dst_sel:DWORD dst_unused:UNUSED_PAD src0_sel:DWORD src1_sel:WORD_0
	v_and_b32_e32 v56, s11, v0
	v_and_b32_e32 v0, 1, v56
	v_lshl_add_u64 v[4:5], v[0:1], 0, -1
	v_cmp_ne_u32_e32 vcc, 0, v0
	v_mad_u32_u24 v19, v56, 20, v20
	ds_read_b32 v55, v19 offset:16
	v_xor_b32_e32 v4, vcc_lo, v4
	v_xor_b32_e32 v0, vcc_hi, v5
	v_and_b32_e32 v20, exec_lo, v4
	v_lshlrev_b32_e32 v5, 30, v56
	v_mov_b32_e32 v4, v1
	v_cmp_gt_i64_e32 vcc, 0, v[4:5]
	v_not_b32_e32 v4, v5
	v_ashrrev_i32_e32 v4, 31, v4
	v_and_b32_e32 v0, exec_hi, v0
	v_xor_b32_e32 v5, vcc_hi, v4
	v_xor_b32_e32 v4, vcc_lo, v4
	v_and_b32_e32 v0, v0, v5
	v_and_b32_e32 v20, v20, v4
	v_lshlrev_b32_e32 v5, 29, v56
	v_mov_b32_e32 v4, v1
	v_cmp_gt_i64_e32 vcc, 0, v[4:5]
	v_not_b32_e32 v4, v5
	v_ashrrev_i32_e32 v4, 31, v4
	v_xor_b32_e32 v5, vcc_hi, v4
	v_xor_b32_e32 v4, vcc_lo, v4
	v_and_b32_e32 v0, v0, v5
	v_and_b32_e32 v20, v20, v4
	v_lshlrev_b32_e32 v5, 28, v56
	v_mov_b32_e32 v4, v1
	v_cmp_gt_i64_e32 vcc, 0, v[4:5]
	v_not_b32_e32 v4, v5
	v_ashrrev_i32_e32 v4, 31, v4
	;; [unrolled: 9-line block ×5, first 2 shown]
	v_xor_b32_e32 v5, vcc_hi, v4
	v_xor_b32_e32 v4, vcc_lo, v4
	v_and_b32_e32 v0, v0, v5
	v_lshlrev_b32_e32 v5, 24, v56
	v_and_b32_e32 v20, v20, v4
	v_mov_b32_e32 v4, v1
	v_not_b32_e32 v1, v5
	v_cmp_gt_i64_e32 vcc, 0, v[4:5]
	v_ashrrev_i32_e32 v1, 31, v1
	s_nop 0
	v_xor_b32_e32 v4, vcc_hi, v1
	v_xor_b32_e32 v5, vcc_lo, v1
	v_and_b32_e32 v1, v0, v4
	v_and_b32_e32 v0, v20, v5
	v_mbcnt_lo_u32_b32 v4, v0, 0
	v_mbcnt_hi_u32_b32 v56, v1, v4
	v_cmp_eq_u32_e32 vcc, 0, v56
	v_cmp_ne_u64_e64 s[0:1], 0, v[0:1]
	s_and_b64 s[4:5], s[0:1], vcc
	; wave barrier
	s_and_saveexec_b64 s[0:1], s[4:5]
	s_cbranch_execz .LBB192_177
; %bb.176:
	v_bcnt_u32_b32 v0, v0, 0
	v_bcnt_u32_b32 v0, v1, v0
	s_waitcnt lgkmcnt(0)
	v_add_u32_e32 v0, v55, v0
	ds_write_b32 v19, v0 offset:16
.LBB192_177:
	s_or_b64 exec, exec, s[0:1]
	; wave barrier
	s_waitcnt lgkmcnt(0)
	s_barrier
	ds_read2_b32 v[4:5], v6 offset0:4 offset1:5
	ds_read2_b32 v[0:1], v6 offset0:6 offset1:7
	ds_read_b32 v20, v6 offset:32
	v_min_u32_e32 v7, 0xc0, v7
	v_or_b32_e32 v7, 63, v7
	s_waitcnt lgkmcnt(1)
	v_add3_u32 v57, v5, v4, v0
	s_waitcnt lgkmcnt(0)
	v_add3_u32 v20, v57, v1, v20
	v_and_b32_e32 v57, 15, v12
	v_cmp_ne_u32_e32 vcc, 0, v57
	v_mov_b32_dpp v58, v20 row_shr:1 row_mask:0xf bank_mask:0xf
	s_nop 0
	v_cndmask_b32_e32 v58, 0, v58, vcc
	v_add_u32_e32 v20, v58, v20
	v_cmp_lt_u32_e32 vcc, 1, v57
	s_nop 0
	v_mov_b32_dpp v58, v20 row_shr:2 row_mask:0xf bank_mask:0xf
	v_cndmask_b32_e32 v58, 0, v58, vcc
	v_add_u32_e32 v20, v20, v58
	v_cmp_lt_u32_e32 vcc, 3, v57
	s_nop 0
	v_mov_b32_dpp v58, v20 row_shr:4 row_mask:0xf bank_mask:0xf
	;; [unrolled: 5-line block ×3, first 2 shown]
	v_cndmask_b32_e32 v57, 0, v58, vcc
	v_add_u32_e32 v20, v20, v57
	v_bfe_i32 v58, v12, 4, 1
	v_cmp_lt_u32_e32 vcc, 31, v12
	v_mov_b32_dpp v57, v20 row_bcast:15 row_mask:0xf bank_mask:0xf
	v_and_b32_e32 v57, v58, v57
	v_add_u32_e32 v20, v20, v57
	s_nop 1
	v_mov_b32_dpp v57, v20 row_bcast:31 row_mask:0xf bank_mask:0xf
	v_cndmask_b32_e32 v57, 0, v57, vcc
	v_add_u32_e32 v20, v20, v57
	v_lshrrev_b32_e32 v57, 6, v2
	v_cmp_eq_u32_e32 vcc, v2, v7
	s_and_saveexec_b64 s[0:1], vcc
; %bb.178:
	v_lshlrev_b32_e32 v7, 2, v57
	ds_write_b32 v7, v20
; %bb.179:
	s_or_b64 exec, exec, s[0:1]
	v_cmp_gt_u32_e32 vcc, 4, v2
	s_waitcnt lgkmcnt(0)
	s_barrier
	s_and_saveexec_b64 s[0:1], vcc
	s_cbranch_execz .LBB192_181
; %bb.180:
	v_lshlrev_b32_e32 v7, 2, v2
	ds_read_b32 v58, v7
	v_and_b32_e32 v59, 3, v12
	v_cmp_ne_u32_e32 vcc, 0, v59
	s_waitcnt lgkmcnt(0)
	v_mov_b32_dpp v60, v58 row_shr:1 row_mask:0xf bank_mask:0xf
	v_cndmask_b32_e32 v60, 0, v60, vcc
	v_add_u32_e32 v58, v60, v58
	v_cmp_lt_u32_e32 vcc, 1, v59
	s_nop 0
	v_mov_b32_dpp v60, v58 row_shr:2 row_mask:0xf bank_mask:0xf
	v_cndmask_b32_e32 v59, 0, v60, vcc
	v_add_u32_e32 v58, v58, v59
	ds_write_b32 v7, v58
.LBB192_181:
	s_or_b64 exec, exec, s[0:1]
	v_cmp_lt_u32_e32 vcc, 63, v2
	v_mov_b32_e32 v7, 0
	s_waitcnt lgkmcnt(0)
	s_barrier
	s_and_saveexec_b64 s[0:1], vcc
; %bb.182:
	v_lshl_add_u32 v7, v57, 2, -4
	ds_read_b32 v7, v7
; %bb.183:
	s_or_b64 exec, exec, s[0:1]
	v_add_u32_e32 v57, -1, v12
	v_and_b32_e32 v58, 64, v12
	v_cmp_lt_i32_e32 vcc, v57, v58
	s_waitcnt lgkmcnt(0)
	v_add_u32_e32 v20, v7, v20
	s_movk_i32 s0, 0x100
	v_cndmask_b32_e32 v57, v57, v12, vcc
	v_lshlrev_b32_e32 v57, 2, v57
	ds_bpermute_b32 v20, v57, v20
	v_cmp_eq_u32_e32 vcc, 0, v12
	s_waitcnt lgkmcnt(0)
	s_nop 0
	v_cndmask_b32_e32 v7, v20, v7, vcc
	v_cmp_ne_u32_e32 vcc, 0, v2
	s_nop 1
	v_cndmask_b32_e32 v7, 0, v7, vcc
	v_add_u32_e32 v4, v7, v4
	v_add_u32_e32 v5, v4, v5
	;; [unrolled: 1-line block ×4, first 2 shown]
	ds_write2_b32 v6, v7, v4 offset0:4 offset1:5
	ds_write2_b32 v6, v5, v0 offset0:6 offset1:7
	ds_write_b32 v6, v1 offset:32
	s_waitcnt lgkmcnt(0)
	s_barrier
	ds_read_b32 v4, v43 offset:16
	ds_read_b32 v5, v46 offset:16
	;; [unrolled: 1-line block ×13, first 2 shown]
	v_add_u32_e32 v6, 1, v2
	v_cmp_ne_u32_e32 vcc, s0, v6
	v_mov_b32_e32 v1, 0xc00
	s_and_saveexec_b64 s[0:1], vcc
; %bb.184:
	v_mul_u32_u24_e32 v1, 20, v6
	ds_read_b32 v1, v1 offset:16
; %bb.185:
	s_or_b64 exec, exec, s[0:1]
	s_waitcnt lgkmcnt(7)
	v_add_u32_e32 v29, v9, v10
	s_waitcnt lgkmcnt(6)
	v_add3_u32 v25, v15, v13, v14
	s_waitcnt lgkmcnt(5)
	v_add3_u32 v24, v22, v17, v18
	v_add3_u32 v17, v44, v42, v4
	v_lshlrev_b32_e32 v4, 1, v29
	s_waitcnt lgkmcnt(0)
	s_barrier
	ds_write_b16 v4, v8 offset:2048
	v_lshlrev_b32_e32 v4, 1, v25
	v_add3_u32 v22, v27, v23, v19
	ds_write_b16 v4, v11 offset:2048
	v_lshlrev_b32_e32 v4, 1, v24
	v_add3_u32 v20, v32, v28, v20
	;; [unrolled: 3-line block ×4, first 2 shown]
	ds_write_b16 v4, v26 offset:2048
	v_lshlrev_b32_e32 v4, 1, v19
	ds_write_b16 v4, v31 offset:2048
	v_lshlrev_b32_e32 v4, 1, v18
	v_add3_u32 v15, v47, v45, v5
	ds_write_b16 v4, v36 offset:2048
	v_lshlrev_b32_e32 v4, 1, v17
	v_add3_u32 v14, v51, v48, v7
	;; [unrolled: 3-line block ×4, first 2 shown]
	ds_write_b16 v4, v30 offset:2048
	v_lshlrev_b32_e32 v4, 1, v13
	ds_write_b16 v4, v50 offset:2048
	v_lshlrev_b32_e32 v4, 1, v5
	ds_write_b16 v4, v53 offset:2048
	v_sub_u32_e32 v4, v1, v0
	v_lshl_add_u32 v6, s2, 8, v2
	v_mov_b32_e32 v7, 0
	v_lshl_add_u64 v[8:9], v[6:7], 2, s[72:73]
	v_or_b32_e32 v1, 2.0, v4
	s_mov_b64 s[0:1], 0
	s_brev_b32 s8, -4
	v_mov_b32_e32 v16, 0
	s_waitcnt lgkmcnt(0)
	s_barrier
	global_store_dword v[8:9], v1, off sc1
                                        ; implicit-def: $sgpr4_sgpr5
	s_branch .LBB192_188
.LBB192_186:                            ;   in Loop: Header=BB192_188 Depth=1
	s_or_b64 exec, exec, s[6:7]
.LBB192_187:                            ;   in Loop: Header=BB192_188 Depth=1
	s_or_b64 exec, exec, s[4:5]
	v_and_b32_e32 v6, 0x3fffffff, v1
	v_add_u32_e32 v16, v6, v16
	v_cmp_gt_i32_e64 s[4:5], -2.0, v1
	s_and_b64 s[6:7], exec, s[4:5]
	s_or_b64 s[0:1], s[6:7], s[0:1]
	s_andn2_b64 exec, exec, s[0:1]
	s_cbranch_execz .LBB192_193
.LBB192_188:                            ; =>This Loop Header: Depth=1
                                        ;     Child Loop BB192_191 Depth 2
	s_or_b64 s[4:5], s[4:5], exec
	s_cmp_eq_u32 s3, 0
	s_cbranch_scc1 .LBB192_192
; %bb.189:                              ;   in Loop: Header=BB192_188 Depth=1
	s_add_i32 s3, s3, -1
	v_lshl_add_u32 v6, s3, 8, v2
	v_lshl_add_u64 v[10:11], v[6:7], 2, s[72:73]
	global_load_dword v1, v[10:11], off sc1
	s_waitcnt vmcnt(0)
	v_cmp_gt_u32_e32 vcc, 2.0, v1
	s_and_saveexec_b64 s[4:5], vcc
	s_cbranch_execz .LBB192_187
; %bb.190:                              ;   in Loop: Header=BB192_188 Depth=1
	s_mov_b64 s[6:7], 0
.LBB192_191:                            ;   Parent Loop BB192_188 Depth=1
                                        ; =>  This Inner Loop Header: Depth=2
	global_load_dword v1, v[10:11], off sc1
	s_waitcnt vmcnt(0)
	v_cmp_lt_u32_e32 vcc, s8, v1
	s_or_b64 s[6:7], vcc, s[6:7]
	s_andn2_b64 exec, exec, s[6:7]
	s_cbranch_execnz .LBB192_191
	s_branch .LBB192_186
.LBB192_192:                            ;   in Loop: Header=BB192_188 Depth=1
                                        ; implicit-def: $sgpr3
	s_and_b64 s[6:7], exec, s[4:5]
	s_or_b64 s[0:1], s[6:7], s[0:1]
	s_andn2_b64 exec, exec, s[0:1]
	s_cbranch_execnz .LBB192_188
.LBB192_193:
	s_or_b64 exec, exec, s[0:1]
	v_add_u32_e32 v1, v16, v4
	v_or_b32_e32 v1, 0x80000000, v1
	v_lshlrev_b32_e32 v6, 3, v2
	global_store_dword v[8:9], v1, off sc1
	global_load_dwordx2 v[8:9], v6, s[64:65]
	v_sub_co_u32_e32 v10, vcc, v16, v0
	v_mad_i32_i24 v16, v2, -6, v6
	s_nop 0
	v_subb_co_u32_e64 v11, s[0:1], 0, 0, vcc
	s_movk_i32 s0, 0x8000
	v_mov_b32_e32 v7, 0x7fff
	v_mov_b32_e32 v1, 0
	v_lshlrev_b32_e32 v26, 1, v2
	v_mov_b32_e32 v27, v1
	v_add_u32_e32 v61, 0xa00, v2
	v_add_u32_e32 v62, 0xb00, v2
	s_waitcnt vmcnt(0)
	v_lshl_add_u64 v[8:9], v[10:11], 0, v[8:9]
	ds_write_b64 v6, v[8:9]
	s_waitcnt lgkmcnt(0)
	s_barrier
	ds_read_u16 v8, v16 offset:2048
	ds_read_u16 v9, v16 offset:2560
	;; [unrolled: 1-line block ×8, first 2 shown]
	s_waitcnt lgkmcnt(7)
	v_cmp_ne_u16_e32 vcc, s0, v8
	s_nop 1
	v_cndmask_b32_e32 v30, v7, v8, vcc
	v_cmp_gt_i16_e32 vcc, 0, v8
	v_lshrrev_b32_sdwa v30, s68, v30 dst_sel:DWORD dst_unused:UNUSED_PAD src0_sel:DWORD src1_sel:WORD_0
	v_and_b32_e32 v30, s11, v30
	v_cndmask_b32_e64 v31, v7, 0, vcc
	s_waitcnt lgkmcnt(6)
	v_cmp_ne_u16_e32 vcc, s0, v9
	v_xor_b32_e32 v43, v31, v8
	v_lshlrev_b32_e32 v50, 3, v30
	v_cndmask_b32_e32 v32, v7, v9, vcc
	v_cmp_gt_i16_e32 vcc, 0, v9
	v_lshrrev_b32_sdwa v8, s68, v32 dst_sel:DWORD dst_unused:UNUSED_PAD src0_sel:DWORD src1_sel:WORD_0
	v_and_b32_e32 v8, s11, v8
	v_cndmask_b32_e64 v33, v7, 0, vcc
	s_waitcnt lgkmcnt(5)
	v_cmp_ne_u16_e32 vcc, s0, v10
	v_xor_b32_e32 v44, v33, v9
	v_lshlrev_b32_e32 v51, 3, v8
	;; [unrolled: 9-line block ×5, first 2 shown]
	v_cndmask_b32_e32 v41, v7, v23, vcc
	v_cmp_gt_i16_e32 vcc, 0, v23
	v_lshrrev_b32_sdwa v31, s68, v41 dst_sel:DWORD dst_unused:UNUSED_PAD src0_sel:DWORD src1_sel:WORD_0
	v_and_b32_e32 v31, s11, v31
	v_cndmask_b32_e64 v42, v7, 0, vcc
	v_xor_b32_e32 v23, v42, v23
	v_lshlrev_b32_e32 v55, 3, v31
	ds_read_b64 v[8:9], v51
	ds_read_b64 v[10:11], v52
	;; [unrolled: 1-line block ×6, first 2 shown]
	ds_read_u16 v39, v16 offset:6144
	ds_read_u16 v40, v16 offset:6656
	;; [unrolled: 1-line block ×4, first 2 shown]
	s_waitcnt lgkmcnt(4)
	v_lshl_add_u64 v[36:37], v[36:37], 1, s[58:59]
	v_lshl_add_u64 v[8:9], v[8:9], 1, s[58:59]
	;; [unrolled: 1-line block ×7, first 2 shown]
	v_cmp_ne_u16_e32 vcc, s0, v28
	v_lshl_add_u64 v[10:11], v[10:11], 0, v[26:27]
	v_lshl_add_u64 v[30:31], v[30:31], 0, v[26:27]
	;; [unrolled: 1-line block ×3, first 2 shown]
	global_store_short v[36:37], v43, off
	global_store_short v[8:9], v44, off offset:512
	global_store_short v[10:11], v45, off offset:1024
	;; [unrolled: 1-line block ×4, first 2 shown]
	v_cndmask_b32_e32 v8, v7, v28, vcc
	v_lshrrev_b32_sdwa v8, s68, v8 dst_sel:DWORD dst_unused:UNUSED_PAD src0_sel:DWORD src1_sel:WORD_0
	v_and_b32_e32 v8, s11, v8
	v_cmp_ne_u16_e32 vcc, s0, v38
	v_lshlrev_b32_e32 v21, 3, v8
	v_lshl_add_u64 v[32:33], v[34:35], 1, s[58:59]
	v_cndmask_b32_e32 v8, v7, v38, vcc
	v_lshrrev_b32_sdwa v8, s68, v8 dst_sel:DWORD dst_unused:UNUSED_PAD src0_sel:DWORD src1_sel:WORD_0
	v_and_b32_e32 v8, s11, v8
	s_waitcnt lgkmcnt(3)
	v_cmp_ne_u16_e32 vcc, s0, v39
	v_lshlrev_b32_e32 v56, 3, v8
	v_lshl_add_u64 v[32:33], v[32:33], 0, v[26:27]
	v_cndmask_b32_e32 v8, v7, v39, vcc
	v_lshrrev_b32_sdwa v8, s68, v8 dst_sel:DWORD dst_unused:UNUSED_PAD src0_sel:DWORD src1_sel:WORD_0
	v_and_b32_e32 v8, s11, v8
	v_lshlrev_b32_e32 v57, 3, v8
	ds_read_b64 v[8:9], v21
	ds_read_b64 v[10:11], v56
	;; [unrolled: 1-line block ×3, first 2 shown]
	v_cmp_gt_i16_e32 vcc, 0, v28
	global_store_short v[32:33], v23, off offset:2560
	s_waitcnt lgkmcnt(2)
	v_lshl_add_u64 v[8:9], v[8:9], 1, s[58:59]
	v_cndmask_b32_e64 v23, v7, 0, vcc
	v_xor_b32_e32 v23, v23, v28
	v_lshl_add_u64 v[8:9], v[8:9], 0, v[26:27]
	v_cmp_gt_i16_e32 vcc, 0, v38
	global_store_short v[8:9], v23, off offset:3072
	v_add_u32_e32 v28, 0x900, v2
	v_cndmask_b32_e64 v8, v7, 0, vcc
	v_xor_b32_e32 v23, v8, v38
	s_waitcnt lgkmcnt(1)
	v_lshl_add_u64 v[8:9], v[10:11], 1, s[58:59]
	v_lshl_add_u64 v[8:9], v[8:9], 0, v[26:27]
	v_cmp_gt_i16_e32 vcc, 0, v39
	global_store_short v[8:9], v23, off offset:3584
	v_or_b32_e32 v23, 0x800, v2
	v_cndmask_b32_e64 v8, v7, 0, vcc
	v_xor_b32_e32 v26, v8, v39
	s_waitcnt lgkmcnt(0)
	v_lshl_add_u64 v[8:9], v[30:31], 1, s[58:59]
	v_lshlrev_b32_e32 v10, 1, v23
	v_mov_b32_e32 v11, v1
	v_lshl_add_u64 v[8:9], v[8:9], 0, v[10:11]
	v_cmp_ne_u16_e32 vcc, s0, v40
	global_store_short v[8:9], v26, off
	v_lshlrev_b32_e32 v30, 1, v28
	v_cndmask_b32_e32 v8, v7, v40, vcc
	v_cmp_gt_i16_e32 vcc, 0, v40
	v_lshrrev_b32_sdwa v8, s68, v8 dst_sel:DWORD dst_unused:UNUSED_PAD src0_sel:DWORD src1_sel:WORD_0
	v_and_b32_e32 v8, s11, v8
	v_cndmask_b32_e64 v9, v7, 0, vcc
	v_cmp_ne_u16_e32 vcc, s0, v41
	v_lshlrev_b32_e32 v58, 3, v8
	v_xor_b32_e32 v32, v9, v40
	v_cndmask_b32_e32 v10, v7, v41, vcc
	v_lshrrev_b32_sdwa v10, s68, v10 dst_sel:DWORD dst_unused:UNUSED_PAD src0_sel:DWORD src1_sel:WORD_0
	ds_read_b64 v[8:9], v58
	v_and_b32_e32 v10, s11, v10
	v_cmp_ne_u16_e32 vcc, s0, v42
	v_lshlrev_b32_e32 v59, 3, v10
	v_mov_b32_e32 v31, v1
	v_cndmask_b32_e32 v10, v7, v42, vcc
	v_lshrrev_b32_sdwa v10, s68, v10 dst_sel:DWORD dst_unused:UNUSED_PAD src0_sel:DWORD src1_sel:WORD_0
	v_and_b32_e32 v10, s11, v10
	v_lshlrev_b32_e32 v60, 3, v10
	ds_read_b64 v[10:11], v59
	ds_read_b64 v[26:27], v60
	s_waitcnt lgkmcnt(2)
	v_lshl_add_u64 v[8:9], v[8:9], 1, s[58:59]
	v_lshl_add_u64 v[8:9], v[8:9], 0, v[30:31]
	v_cmp_gt_i16_e32 vcc, 0, v41
	global_store_short v[8:9], v32, off
	s_lshl_b64 s[0:1], s[54:55], 3
	v_cndmask_b32_e64 v8, v7, 0, vcc
	v_xor_b32_e32 v30, v8, v41
	s_waitcnt lgkmcnt(1)
	v_lshl_add_u64 v[8:9], v[10:11], 1, s[58:59]
	v_lshlrev_b32_e32 v10, 1, v61
	v_mov_b32_e32 v11, v1
	v_lshl_add_u64 v[8:9], v[8:9], 0, v[10:11]
	v_cmp_gt_i16_e32 vcc, 0, v42
	global_store_short v[8:9], v30, off
	s_waitcnt lgkmcnt(0)
	v_lshl_add_u64 v[8:9], v[26:27], 1, s[58:59]
	v_cndmask_b32_e64 v7, v7, 0, vcc
	v_lshlrev_b32_e32 v10, 1, v62
	v_xor_b32_e32 v7, v7, v42
	v_lshl_add_u64 v[8:9], v[8:9], 0, v[10:11]
	s_add_u32 s0, s60, s0
	global_store_short v[8:9], v7, off
	s_addc_u32 s1, s61, s1
	v_lshlrev_b32_e32 v8, 3, v12
	v_mov_b32_e32 v9, v1
	v_lshl_add_u64 v[8:9], s[0:1], 0, v[8:9]
	v_lshlrev_b32_e32 v10, 3, v3
	v_lshl_add_u64 v[8:9], v[8:9], 0, v[10:11]
	global_load_dwordx2 v[10:11], v[8:9], off
	global_load_dwordx2 v[26:27], v[8:9], off offset:512
	global_load_dwordx2 v[30:31], v[8:9], off offset:1024
	;; [unrolled: 1-line block ×7, first 2 shown]
	s_movk_i32 s0, 0x1000
	v_add_co_u32_e32 v8, vcc, s0, v8
	v_lshlrev_b32_e32 v3, 3, v29
	s_nop 0
	v_addc_co_u32_e32 v9, vcc, 0, v9, vcc
	global_load_dwordx2 v[42:43], v[8:9], off
	global_load_dwordx2 v[44:45], v[8:9], off offset:512
	global_load_dwordx2 v[46:47], v[8:9], off offset:1024
	;; [unrolled: 1-line block ×3, first 2 shown]
	s_barrier
	v_mov_b32_e32 v7, v1
	s_add_i32 s10, s10, -1
	s_cmp_lg_u32 s2, s10
	s_waitcnt vmcnt(11)
	ds_write_b64 v3, v[10:11] offset:2048
	v_lshlrev_b32_e32 v3, 3, v25
	s_waitcnt vmcnt(10)
	ds_write_b64 v3, v[26:27] offset:2048
	v_lshlrev_b32_e32 v3, 3, v24
	;; [unrolled: 3-line block ×11, first 2 shown]
	s_waitcnt vmcnt(0)
	ds_write_b64 v3, v[48:49] offset:2048
	s_waitcnt lgkmcnt(0)
	s_barrier
	v_mad_u32_u24 v5, v2, 6, v16
	ds_read_b64 v[2:3], v50
	ds_read2st64_b64 v[8:11], v5 offset0:4 offset1:8
	ds_read_b64 v[12:13], v51
	ds_read_b64 v[14:15], v52
	;; [unrolled: 1-line block ×3, first 2 shown]
	s_waitcnt lgkmcnt(4)
	v_lshl_add_u64 v[2:3], v[2:3], 3, s[62:63]
	v_lshl_add_u64 v[2:3], v[2:3], 0, v[6:7]
	s_waitcnt lgkmcnt(3)
	global_store_dwordx2 v[2:3], v[8:9], off
	s_waitcnt lgkmcnt(2)
	v_lshl_add_u64 v[2:3], v[12:13], 3, s[62:63]
	v_lshl_add_u64 v[2:3], v[2:3], 0, v[6:7]
	global_store_dwordx2 v[2:3], v[10:11], off offset:2048
	ds_read2st64_b64 v[8:11], v5 offset0:12 offset1:16
	s_waitcnt lgkmcnt(2)
	v_lshl_add_u64 v[2:3], v[14:15], 3, s[62:63]
	v_add_u32_e32 v12, 0x1000, v6
	v_mov_b32_e32 v13, v1
	v_lshl_add_u64 v[2:3], v[2:3], 0, v[12:13]
	s_waitcnt lgkmcnt(0)
	global_store_dwordx2 v[2:3], v[8:9], off
	v_lshl_add_u64 v[2:3], v[16:17], 3, s[62:63]
	v_add_u32_e32 v8, 0x1800, v6
	v_mov_b32_e32 v9, v1
	v_lshl_add_u64 v[2:3], v[2:3], 0, v[8:9]
	global_store_dwordx2 v[2:3], v[10:11], off
	ds_read_b64 v[2:3], v54
	ds_read2st64_b64 v[8:11], v5 offset0:20 offset1:24
	ds_read_b64 v[12:13], v55
	ds_read_b64 v[14:15], v21
	ds_read_b64 v[16:17], v56
	s_waitcnt lgkmcnt(4)
	v_lshl_add_u64 v[2:3], v[2:3], 3, s[62:63]
	v_or_b32_e32 v18, 0x2000, v6
	v_mov_b32_e32 v19, v1
	v_lshl_add_u64 v[2:3], v[2:3], 0, v[18:19]
	s_waitcnt lgkmcnt(3)
	global_store_dwordx2 v[2:3], v[8:9], off
	s_waitcnt lgkmcnt(2)
	v_lshl_add_u64 v[2:3], v[12:13], 3, s[62:63]
	v_add_u32_e32 v8, 0x2800, v6
	v_mov_b32_e32 v9, v1
	v_lshl_add_u64 v[2:3], v[2:3], 0, v[8:9]
	global_store_dwordx2 v[2:3], v[10:11], off
	ds_read2st64_b64 v[8:11], v5 offset0:28 offset1:32
	s_waitcnt lgkmcnt(2)
	v_lshl_add_u64 v[2:3], v[14:15], 3, s[62:63]
	v_add_u32_e32 v12, 0x3000, v6
	v_mov_b32_e32 v13, v1
	v_lshl_add_u64 v[2:3], v[2:3], 0, v[12:13]
	s_waitcnt lgkmcnt(0)
	global_store_dwordx2 v[2:3], v[8:9], off
	v_lshl_add_u64 v[2:3], v[16:17], 3, s[62:63]
	v_add_u32_e32 v8, 0x3800, v6
	v_mov_b32_e32 v9, v1
	v_lshl_add_u64 v[2:3], v[2:3], 0, v[8:9]
	global_store_dwordx2 v[2:3], v[10:11], off
	ds_read_b64 v[2:3], v57
	ds_read2st64_b64 v[8:11], v5 offset0:36 offset1:40
	ds_read_b64 v[12:13], v58
	ds_read_b64 v[14:15], v59
	;; [unrolled: 1-line block ×3, first 2 shown]
	s_waitcnt lgkmcnt(4)
	v_lshl_add_u64 v[2:3], v[2:3], 3, s[62:63]
	v_lshlrev_b32_e32 v18, 3, v23
	v_lshl_add_u64 v[2:3], v[2:3], 0, v[18:19]
	s_waitcnt lgkmcnt(3)
	global_store_dwordx2 v[2:3], v[8:9], off
	s_waitcnt lgkmcnt(2)
	v_lshl_add_u64 v[2:3], v[12:13], 3, s[62:63]
	v_lshlrev_b32_e32 v8, 3, v28
	v_mov_b32_e32 v9, v1
	v_lshl_add_u64 v[2:3], v[2:3], 0, v[8:9]
	global_store_dwordx2 v[2:3], v[10:11], off
	ds_read2st64_b64 v[8:11], v5 offset0:44 offset1:48
	s_waitcnt lgkmcnt(2)
	v_lshl_add_u64 v[2:3], v[14:15], 3, s[62:63]
	v_lshlrev_b32_e32 v12, 3, v61
	v_mov_b32_e32 v13, v1
	v_lshl_add_u64 v[2:3], v[2:3], 0, v[12:13]
	s_waitcnt lgkmcnt(0)
	global_store_dwordx2 v[2:3], v[8:9], off
	v_lshl_add_u64 v[2:3], v[16:17], 3, s[62:63]
	v_lshlrev_b32_e32 v8, 3, v62
	v_mov_b32_e32 v9, v1
	v_lshl_add_u64 v[2:3], v[2:3], 0, v[8:9]
	global_store_dwordx2 v[2:3], v[10:11], off
	s_cbranch_scc1 .LBB192_195
; %bb.194:
	ds_read_b64 v[2:3], v6
	v_mov_b32_e32 v5, v1
	v_lshl_add_u64 v[0:1], v[4:5], 0, v[0:1]
	s_waitcnt lgkmcnt(0)
	v_lshl_add_u64 v[0:1], v[0:1], 0, v[2:3]
	global_store_dwordx2 v6, v[0:1], s[66:67]
.LBB192_195:
	s_endpgm
.LBB192_196:
	s_or_b64 exec, exec, s[4:5]
	s_and_saveexec_b64 s[4:5], s[26:27]
	s_cbranch_execz .LBB192_139
.LBB192_197:
	v_lshlrev_b32_e32 v2, 3, v3
	ds_read_b64 v[2:3], v2
	ds_read_b64 v[16:17], v8 offset:4096
	v_mov_b32_e32 v9, 0
	s_waitcnt lgkmcnt(1)
	v_lshl_add_u64 v[2:3], v[2:3], 3, s[62:63]
	v_lshl_add_u64 v[2:3], v[2:3], 0, v[8:9]
	s_waitcnt lgkmcnt(0)
	global_store_dwordx2 v[2:3], v[16:17], off offset:2048
	s_or_b64 exec, exec, s[4:5]
	s_and_saveexec_b64 s[4:5], s[28:29]
	s_cbranch_execnz .LBB192_140
.LBB192_198:
	s_or_b64 exec, exec, s[4:5]
	s_and_saveexec_b64 s[4:5], s[30:31]
	s_cbranch_execz .LBB192_141
.LBB192_199:
	v_lshlrev_b32_e32 v2, 3, v10
	ds_read_b64 v[2:3], v2
	ds_read_b64 v[16:17], v8 offset:8192
	v_lshlrev_b32_e32 v12, 3, v13
	v_mov_b32_e32 v13, 0
	s_waitcnt lgkmcnt(1)
	v_lshl_add_u64 v[2:3], v[2:3], 3, s[62:63]
	v_lshl_add_u64 v[2:3], v[2:3], 0, v[12:13]
	s_waitcnt lgkmcnt(0)
	global_store_dwordx2 v[2:3], v[16:17], off
	s_or_b64 exec, exec, s[4:5]
	s_and_saveexec_b64 s[4:5], s[34:35]
	s_cbranch_execnz .LBB192_142
.LBB192_200:
	s_or_b64 exec, exec, s[4:5]
	s_and_saveexec_b64 s[4:5], s[36:37]
	s_cbranch_execz .LBB192_143
.LBB192_201:
	v_lshlrev_b32_e32 v2, 3, v11
	ds_read_b64 v[2:3], v2
	ds_read_b64 v[10:11], v8 offset:12288
	v_lshlrev_b32_e32 v12, 3, v23
	v_mov_b32_e32 v13, 0
	s_waitcnt lgkmcnt(1)
	v_lshl_add_u64 v[2:3], v[2:3], 3, s[62:63]
	v_lshl_add_u64 v[2:3], v[2:3], 0, v[12:13]
	s_waitcnt lgkmcnt(0)
	global_store_dwordx2 v[2:3], v[10:11], off
	s_or_b64 exec, exec, s[4:5]
	s_and_saveexec_b64 s[4:5], s[38:39]
	s_cbranch_execnz .LBB192_144
.LBB192_202:
	s_or_b64 exec, exec, s[4:5]
	s_and_saveexec_b64 s[4:5], s[40:41]
	s_cbranch_execz .LBB192_145
.LBB192_203:
	v_lshlrev_b32_e32 v2, 3, v14
	ds_read_b64 v[2:3], v2
	ds_read_b64 v[10:11], v8 offset:16384
	v_lshlrev_b32_e32 v12, 3, v29
	v_mov_b32_e32 v13, 0
	s_waitcnt lgkmcnt(1)
	v_lshl_add_u64 v[2:3], v[2:3], 3, s[62:63]
	v_lshl_add_u64 v[2:3], v[2:3], 0, v[12:13]
	s_waitcnt lgkmcnt(0)
	global_store_dwordx2 v[2:3], v[10:11], off
	s_or_b64 exec, exec, s[4:5]
	s_and_saveexec_b64 s[4:5], s[42:43]
	s_cbranch_execnz .LBB192_146
.LBB192_204:
	s_or_b64 exec, exec, s[4:5]
	s_and_saveexec_b64 s[4:5], s[44:45]
	s_cbranch_execz .LBB192_147
.LBB192_205:
	v_lshlrev_b32_e32 v2, 3, v34
	ds_read_b64 v[2:3], v2
	ds_read_b64 v[10:11], v8 offset:20480
	v_lshlrev_b32_e32 v12, 3, v31
	v_mov_b32_e32 v13, 0
	s_waitcnt lgkmcnt(1)
	v_lshl_add_u64 v[2:3], v[2:3], 3, s[62:63]
	v_lshl_add_u64 v[2:3], v[2:3], 0, v[12:13]
	s_waitcnt lgkmcnt(0)
	global_store_dwordx2 v[2:3], v[10:11], off
	s_or_b64 exec, exec, s[4:5]
	s_and_saveexec_b64 s[4:5], s[46:47]
	s_cbranch_execnz .LBB192_148
.LBB192_206:
	s_or_b64 exec, exec, s[4:5]
	s_and_saveexec_b64 s[4:5], s[48:49]
	s_cbranch_execz .LBB192_149
.LBB192_207:
	v_lshlrev_b32_e32 v2, 3, v35
	ds_read_b64 v[2:3], v2
	ds_read_b64 v[10:11], v8 offset:24576
	v_lshlrev_b32_e32 v12, 3, v33
	v_mov_b32_e32 v13, 0
	s_waitcnt lgkmcnt(1)
	v_lshl_add_u64 v[2:3], v[2:3], 3, s[62:63]
	v_lshl_add_u64 v[2:3], v[2:3], 0, v[12:13]
	s_waitcnt lgkmcnt(0)
	global_store_dwordx2 v[2:3], v[10:11], off
	s_or_b64 exec, exec, s[4:5]
	s_add_i32 s33, s33, -1
	s_cmp_eq_u32 s2, s33
	s_cbranch_scc1 .LBB192_150
	s_branch .LBB192_151
	.section	.rodata,"a",@progbits
	.p2align	6, 0x0
	.amdhsa_kernel _ZN7rocprim17ROCPRIM_304000_NS6detail25onesweep_iteration_kernelINS1_34wrapped_radix_sort_onesweep_configINS0_14default_configE6__halfN2at4cuda3cub6detail10OpaqueTypeILi8EEEEELb1EPS5_SD_PSB_SE_mNS0_19identity_decomposerEEEvT1_T2_T3_T4_jPT5_SL_PNS1_23onesweep_lookback_stateET6_jjj
		.amdhsa_group_segment_fixed_size 26624
		.amdhsa_private_segment_fixed_size 0
		.amdhsa_kernarg_size 336
		.amdhsa_user_sgpr_count 2
		.amdhsa_user_sgpr_dispatch_ptr 0
		.amdhsa_user_sgpr_queue_ptr 0
		.amdhsa_user_sgpr_kernarg_segment_ptr 1
		.amdhsa_user_sgpr_dispatch_id 0
		.amdhsa_user_sgpr_kernarg_preload_length 0
		.amdhsa_user_sgpr_kernarg_preload_offset 0
		.amdhsa_user_sgpr_private_segment_size 0
		.amdhsa_uses_dynamic_stack 0
		.amdhsa_enable_private_segment 0
		.amdhsa_system_sgpr_workgroup_id_x 1
		.amdhsa_system_sgpr_workgroup_id_y 0
		.amdhsa_system_sgpr_workgroup_id_z 0
		.amdhsa_system_sgpr_workgroup_info 0
		.amdhsa_system_vgpr_workitem_id 2
		.amdhsa_next_free_vgpr 73
		.amdhsa_next_free_sgpr 91
		.amdhsa_accum_offset 68
		.amdhsa_reserve_vcc 1
		.amdhsa_float_round_mode_32 0
		.amdhsa_float_round_mode_16_64 0
		.amdhsa_float_denorm_mode_32 3
		.amdhsa_float_denorm_mode_16_64 3
		.amdhsa_dx10_clamp 1
		.amdhsa_ieee_mode 1
		.amdhsa_fp16_overflow 0
		.amdhsa_tg_split 0
		.amdhsa_exception_fp_ieee_invalid_op 0
		.amdhsa_exception_fp_denorm_src 0
		.amdhsa_exception_fp_ieee_div_zero 0
		.amdhsa_exception_fp_ieee_overflow 0
		.amdhsa_exception_fp_ieee_underflow 0
		.amdhsa_exception_fp_ieee_inexact 0
		.amdhsa_exception_int_div_zero 0
	.end_amdhsa_kernel
	.section	.text._ZN7rocprim17ROCPRIM_304000_NS6detail25onesweep_iteration_kernelINS1_34wrapped_radix_sort_onesweep_configINS0_14default_configE6__halfN2at4cuda3cub6detail10OpaqueTypeILi8EEEEELb1EPS5_SD_PSB_SE_mNS0_19identity_decomposerEEEvT1_T2_T3_T4_jPT5_SL_PNS1_23onesweep_lookback_stateET6_jjj,"axG",@progbits,_ZN7rocprim17ROCPRIM_304000_NS6detail25onesweep_iteration_kernelINS1_34wrapped_radix_sort_onesweep_configINS0_14default_configE6__halfN2at4cuda3cub6detail10OpaqueTypeILi8EEEEELb1EPS5_SD_PSB_SE_mNS0_19identity_decomposerEEEvT1_T2_T3_T4_jPT5_SL_PNS1_23onesweep_lookback_stateET6_jjj,comdat
.Lfunc_end192:
	.size	_ZN7rocprim17ROCPRIM_304000_NS6detail25onesweep_iteration_kernelINS1_34wrapped_radix_sort_onesweep_configINS0_14default_configE6__halfN2at4cuda3cub6detail10OpaqueTypeILi8EEEEELb1EPS5_SD_PSB_SE_mNS0_19identity_decomposerEEEvT1_T2_T3_T4_jPT5_SL_PNS1_23onesweep_lookback_stateET6_jjj, .Lfunc_end192-_ZN7rocprim17ROCPRIM_304000_NS6detail25onesweep_iteration_kernelINS1_34wrapped_radix_sort_onesweep_configINS0_14default_configE6__halfN2at4cuda3cub6detail10OpaqueTypeILi8EEEEELb1EPS5_SD_PSB_SE_mNS0_19identity_decomposerEEEvT1_T2_T3_T4_jPT5_SL_PNS1_23onesweep_lookback_stateET6_jjj
                                        ; -- End function
	.set _ZN7rocprim17ROCPRIM_304000_NS6detail25onesweep_iteration_kernelINS1_34wrapped_radix_sort_onesweep_configINS0_14default_configE6__halfN2at4cuda3cub6detail10OpaqueTypeILi8EEEEELb1EPS5_SD_PSB_SE_mNS0_19identity_decomposerEEEvT1_T2_T3_T4_jPT5_SL_PNS1_23onesweep_lookback_stateET6_jjj.num_vgpr, 66
	.set _ZN7rocprim17ROCPRIM_304000_NS6detail25onesweep_iteration_kernelINS1_34wrapped_radix_sort_onesweep_configINS0_14default_configE6__halfN2at4cuda3cub6detail10OpaqueTypeILi8EEEEELb1EPS5_SD_PSB_SE_mNS0_19identity_decomposerEEEvT1_T2_T3_T4_jPT5_SL_PNS1_23onesweep_lookback_stateET6_jjj.num_agpr, 0
	.set _ZN7rocprim17ROCPRIM_304000_NS6detail25onesweep_iteration_kernelINS1_34wrapped_radix_sort_onesweep_configINS0_14default_configE6__halfN2at4cuda3cub6detail10OpaqueTypeILi8EEEEELb1EPS5_SD_PSB_SE_mNS0_19identity_decomposerEEEvT1_T2_T3_T4_jPT5_SL_PNS1_23onesweep_lookback_stateET6_jjj.numbered_sgpr, 75
	.set _ZN7rocprim17ROCPRIM_304000_NS6detail25onesweep_iteration_kernelINS1_34wrapped_radix_sort_onesweep_configINS0_14default_configE6__halfN2at4cuda3cub6detail10OpaqueTypeILi8EEEEELb1EPS5_SD_PSB_SE_mNS0_19identity_decomposerEEEvT1_T2_T3_T4_jPT5_SL_PNS1_23onesweep_lookback_stateET6_jjj.num_named_barrier, 0
	.set _ZN7rocprim17ROCPRIM_304000_NS6detail25onesweep_iteration_kernelINS1_34wrapped_radix_sort_onesweep_configINS0_14default_configE6__halfN2at4cuda3cub6detail10OpaqueTypeILi8EEEEELb1EPS5_SD_PSB_SE_mNS0_19identity_decomposerEEEvT1_T2_T3_T4_jPT5_SL_PNS1_23onesweep_lookback_stateET6_jjj.private_seg_size, 0
	.set _ZN7rocprim17ROCPRIM_304000_NS6detail25onesweep_iteration_kernelINS1_34wrapped_radix_sort_onesweep_configINS0_14default_configE6__halfN2at4cuda3cub6detail10OpaqueTypeILi8EEEEELb1EPS5_SD_PSB_SE_mNS0_19identity_decomposerEEEvT1_T2_T3_T4_jPT5_SL_PNS1_23onesweep_lookback_stateET6_jjj.uses_vcc, 1
	.set _ZN7rocprim17ROCPRIM_304000_NS6detail25onesweep_iteration_kernelINS1_34wrapped_radix_sort_onesweep_configINS0_14default_configE6__halfN2at4cuda3cub6detail10OpaqueTypeILi8EEEEELb1EPS5_SD_PSB_SE_mNS0_19identity_decomposerEEEvT1_T2_T3_T4_jPT5_SL_PNS1_23onesweep_lookback_stateET6_jjj.uses_flat_scratch, 0
	.set _ZN7rocprim17ROCPRIM_304000_NS6detail25onesweep_iteration_kernelINS1_34wrapped_radix_sort_onesweep_configINS0_14default_configE6__halfN2at4cuda3cub6detail10OpaqueTypeILi8EEEEELb1EPS5_SD_PSB_SE_mNS0_19identity_decomposerEEEvT1_T2_T3_T4_jPT5_SL_PNS1_23onesweep_lookback_stateET6_jjj.has_dyn_sized_stack, 0
	.set _ZN7rocprim17ROCPRIM_304000_NS6detail25onesweep_iteration_kernelINS1_34wrapped_radix_sort_onesweep_configINS0_14default_configE6__halfN2at4cuda3cub6detail10OpaqueTypeILi8EEEEELb1EPS5_SD_PSB_SE_mNS0_19identity_decomposerEEEvT1_T2_T3_T4_jPT5_SL_PNS1_23onesweep_lookback_stateET6_jjj.has_recursion, 0
	.set _ZN7rocprim17ROCPRIM_304000_NS6detail25onesweep_iteration_kernelINS1_34wrapped_radix_sort_onesweep_configINS0_14default_configE6__halfN2at4cuda3cub6detail10OpaqueTypeILi8EEEEELb1EPS5_SD_PSB_SE_mNS0_19identity_decomposerEEEvT1_T2_T3_T4_jPT5_SL_PNS1_23onesweep_lookback_stateET6_jjj.has_indirect_call, 0
	.section	.AMDGPU.csdata,"",@progbits
; Kernel info:
; codeLenInByte = 20996
; TotalNumSgprs: 81
; NumVgprs: 66
; NumAgprs: 0
; TotalNumVgprs: 66
; ScratchSize: 0
; MemoryBound: 0
; FloatMode: 240
; IeeeMode: 1
; LDSByteSize: 26624 bytes/workgroup (compile time only)
; SGPRBlocks: 12
; VGPRBlocks: 9
; NumSGPRsForWavesPerEU: 97
; NumVGPRsForWavesPerEU: 73
; AccumOffset: 68
; Occupancy: 6
; WaveLimiterHint : 1
; COMPUTE_PGM_RSRC2:SCRATCH_EN: 0
; COMPUTE_PGM_RSRC2:USER_SGPR: 2
; COMPUTE_PGM_RSRC2:TRAP_HANDLER: 0
; COMPUTE_PGM_RSRC2:TGID_X_EN: 1
; COMPUTE_PGM_RSRC2:TGID_Y_EN: 0
; COMPUTE_PGM_RSRC2:TGID_Z_EN: 0
; COMPUTE_PGM_RSRC2:TIDIG_COMP_CNT: 2
; COMPUTE_PGM_RSRC3_GFX90A:ACCUM_OFFSET: 16
; COMPUTE_PGM_RSRC3_GFX90A:TG_SPLIT: 0
	.section	.text._ZN7rocprim17ROCPRIM_304000_NS6detail28radix_sort_block_sort_kernelINS1_36wrapped_radix_sort_block_sort_configINS0_13kernel_configILj256ELj4ELj4294967295EEE6__halfN2at4cuda3cub6detail10OpaqueTypeILi8EEEEELb0EPKS6_PS6_PKSC_PSC_NS0_19identity_decomposerEEEvT1_T2_T3_T4_jT5_jj,"axG",@progbits,_ZN7rocprim17ROCPRIM_304000_NS6detail28radix_sort_block_sort_kernelINS1_36wrapped_radix_sort_block_sort_configINS0_13kernel_configILj256ELj4ELj4294967295EEE6__halfN2at4cuda3cub6detail10OpaqueTypeILi8EEEEELb0EPKS6_PS6_PKSC_PSC_NS0_19identity_decomposerEEEvT1_T2_T3_T4_jT5_jj,comdat
	.protected	_ZN7rocprim17ROCPRIM_304000_NS6detail28radix_sort_block_sort_kernelINS1_36wrapped_radix_sort_block_sort_configINS0_13kernel_configILj256ELj4ELj4294967295EEE6__halfN2at4cuda3cub6detail10OpaqueTypeILi8EEEEELb0EPKS6_PS6_PKSC_PSC_NS0_19identity_decomposerEEEvT1_T2_T3_T4_jT5_jj ; -- Begin function _ZN7rocprim17ROCPRIM_304000_NS6detail28radix_sort_block_sort_kernelINS1_36wrapped_radix_sort_block_sort_configINS0_13kernel_configILj256ELj4ELj4294967295EEE6__halfN2at4cuda3cub6detail10OpaqueTypeILi8EEEEELb0EPKS6_PS6_PKSC_PSC_NS0_19identity_decomposerEEEvT1_T2_T3_T4_jT5_jj
	.globl	_ZN7rocprim17ROCPRIM_304000_NS6detail28radix_sort_block_sort_kernelINS1_36wrapped_radix_sort_block_sort_configINS0_13kernel_configILj256ELj4ELj4294967295EEE6__halfN2at4cuda3cub6detail10OpaqueTypeILi8EEEEELb0EPKS6_PS6_PKSC_PSC_NS0_19identity_decomposerEEEvT1_T2_T3_T4_jT5_jj
	.p2align	8
	.type	_ZN7rocprim17ROCPRIM_304000_NS6detail28radix_sort_block_sort_kernelINS1_36wrapped_radix_sort_block_sort_configINS0_13kernel_configILj256ELj4ELj4294967295EEE6__halfN2at4cuda3cub6detail10OpaqueTypeILi8EEEEELb0EPKS6_PS6_PKSC_PSC_NS0_19identity_decomposerEEEvT1_T2_T3_T4_jT5_jj,@function
_ZN7rocprim17ROCPRIM_304000_NS6detail28radix_sort_block_sort_kernelINS1_36wrapped_radix_sort_block_sort_configINS0_13kernel_configILj256ELj4ELj4294967295EEE6__halfN2at4cuda3cub6detail10OpaqueTypeILi8EEEEELb0EPKS6_PS6_PKSC_PSC_NS0_19identity_decomposerEEEvT1_T2_T3_T4_jT5_jj: ; @_ZN7rocprim17ROCPRIM_304000_NS6detail28radix_sort_block_sort_kernelINS1_36wrapped_radix_sort_block_sort_configINS0_13kernel_configILj256ELj4ELj4294967295EEE6__halfN2at4cuda3cub6detail10OpaqueTypeILi8EEEEELb0EPKS6_PS6_PKSC_PSC_NS0_19identity_decomposerEEEvT1_T2_T3_T4_jT5_jj
; %bb.0:
	s_load_dword s4, s[0:1], 0x20
	s_load_dwordx8 s[36:43], s[0:1], 0x0
	s_lshl_b32 s28, s2, 10
	s_mov_b32 s29, 0
	v_and_b32_e32 v8, 0x3ff, v0
	s_waitcnt lgkmcnt(0)
	s_lshr_b32 s3, s4, 10
	s_cmp_lg_u32 s2, s3
	s_cselect_b64 s[30:31], -1, 0
	s_lshl_b64 s[34:35], s[28:29], 1
	v_mbcnt_lo_u32_b32 v1, -1, 0
	s_add_u32 s6, s36, s34
	v_mbcnt_hi_u32_b32 v1, -1, v1
	v_lshlrev_b32_e32 v10, 2, v8
	s_addc_u32 s7, s37, s35
	v_and_b32_e32 v11, 0x300, v10
	v_mov_b32_e32 v3, 0
	v_lshlrev_b32_e32 v2, 1, v1
	v_lshl_add_u64 v[4:5], s[6:7], 0, v[2:3]
	v_lshlrev_b32_e32 v2, 1, v11
	s_cmp_eq_u32 s2, s3
	v_lshl_add_u64 v[6:7], v[4:5], 0, v[2:3]
	v_lshlrev_b32_e32 v2, 3, v1
	v_lshlrev_b32_e32 v4, 3, v11
	v_add_u32_e32 v9, v1, v11
	s_cbranch_scc1 .LBB193_2
; %bb.1:
	s_lshl_b64 s[2:3], s[28:29], 3
	s_add_u32 s2, s40, s2
	s_addc_u32 s3, s41, s3
	v_lshl_add_u64 v[18:19], s[2:3], 0, v[2:3]
	v_mov_b32_e32 v5, v3
	v_lshl_add_u64 v[18:19], v[18:19], 0, v[4:5]
	global_load_ushort v14, v[6:7], off
	global_load_ushort v12, v[6:7], off offset:128
	global_load_ushort v17, v[6:7], off offset:256
	;; [unrolled: 1-line block ×3, first 2 shown]
	global_load_dwordx2 v[48:49], v[18:19], off
	global_load_dwordx2 v[50:51], v[18:19], off offset:512
	global_load_dwordx2 v[52:53], v[18:19], off offset:1024
	;; [unrolled: 1-line block ×3, first 2 shown]
	v_add_u32_e32 v5, v1, v11
	v_add_u32_e32 v11, 64, v5
	;; [unrolled: 1-line block ×4, first 2 shown]
	s_sub_i32 s33, s4, s28
	s_cbranch_execz .LBB193_3
	s_branch .LBB193_17
.LBB193_2:
                                        ; implicit-def: $vgpr48_vgpr49
                                        ; implicit-def: $vgpr50_vgpr51
                                        ; implicit-def: $vgpr52_vgpr53
                                        ; implicit-def: $vgpr54_vgpr55
                                        ; implicit-def: $vgpr14
                                        ; implicit-def: $vgpr12
                                        ; implicit-def: $vgpr17
                                        ; implicit-def: $vgpr16
                                        ; implicit-def: $vgpr5
                                        ; implicit-def: $vgpr11
                                        ; implicit-def: $vgpr13
                                        ; implicit-def: $vgpr15
	s_sub_i32 s33, s4, s28
.LBB193_3:
	v_cmp_gt_u32_e32 vcc, s33, v9
	s_waitcnt vmcnt(6)
	v_mov_b32_e32 v12, 0x7fff
	v_mov_b32_e32 v14, 0x7fff
	s_and_saveexec_b64 s[2:3], vcc
	s_cbranch_execz .LBB193_5
; %bb.4:
	global_load_ushort v14, v[6:7], off
.LBB193_5:
	s_or_b64 exec, exec, s[2:3]
	v_add_u32_e32 v11, 64, v9
	v_cmp_gt_u32_e64 s[2:3], s33, v11
	s_and_saveexec_b64 s[4:5], s[2:3]
	s_cbranch_execz .LBB193_7
; %bb.6:
	global_load_ushort v12, v[6:7], off offset:128
.LBB193_7:
	s_or_b64 exec, exec, s[4:5]
	v_add_u32_e32 v13, 0x80, v9
	v_cmp_gt_u32_e64 s[4:5], s33, v13
	s_waitcnt vmcnt(4)
	v_mov_b32_e32 v16, 0x7fff
	v_mov_b32_e32 v17, 0x7fff
	s_and_saveexec_b64 s[6:7], s[4:5]
	s_cbranch_execz .LBB193_9
; %bb.8:
	global_load_ushort v17, v[6:7], off offset:256
.LBB193_9:
	s_or_b64 exec, exec, s[6:7]
	v_add_u32_e32 v15, 0xc0, v9
	v_cmp_gt_u32_e64 s[6:7], s33, v15
	s_and_saveexec_b64 s[8:9], s[6:7]
	s_cbranch_execz .LBB193_11
; %bb.10:
	global_load_ushort v16, v[6:7], off offset:384
.LBB193_11:
	s_or_b64 exec, exec, s[8:9]
	s_lshl_b64 s[8:9], s[28:29], 3
	s_add_u32 s8, s40, s8
	s_addc_u32 s9, s41, s9
	v_mov_b32_e32 v3, 0
	v_lshl_add_u64 v[6:7], s[8:9], 0, v[2:3]
	v_mov_b32_e32 v5, v3
	v_lshl_add_u64 v[2:3], v[6:7], 0, v[4:5]
                                        ; implicit-def: $vgpr48_vgpr49
	s_and_saveexec_b64 s[8:9], vcc
	s_cbranch_execnz .LBB193_54
; %bb.12:
	s_or_b64 exec, exec, s[8:9]
                                        ; implicit-def: $vgpr50_vgpr51
	s_and_saveexec_b64 s[8:9], s[2:3]
	s_cbranch_execnz .LBB193_55
.LBB193_13:
	s_or_b64 exec, exec, s[8:9]
                                        ; implicit-def: $vgpr52_vgpr53
	s_and_saveexec_b64 s[2:3], s[4:5]
	s_cbranch_execnz .LBB193_56
.LBB193_14:
	s_or_b64 exec, exec, s[2:3]
                                        ; implicit-def: $vgpr54_vgpr55
	s_and_saveexec_b64 s[2:3], s[6:7]
	s_cbranch_execz .LBB193_16
.LBB193_15:
	global_load_dwordx2 v[54:55], v[2:3], off offset:1536
.LBB193_16:
	s_or_b64 exec, exec, s[2:3]
	v_mov_b32_e32 v5, v9
.LBB193_17:
	s_load_dwordx2 s[36:37], s[0:1], 0x28
	v_mov_b32_e32 v9, 0xffff8000
	s_load_dword s0, s[0:1], 0x3c
	s_waitcnt vmcnt(0)
	v_cmp_lt_i16_e32 vcc, -1, v14
	s_mov_b32 s26, 0
	v_cmp_lt_u32_e64 s[10:11], 31, v1
	v_cndmask_b32_e32 v2, -1, v9, vcc
	v_cmp_lt_i16_e32 vcc, -1, v12
	v_xor_b32_e32 v3, v2, v14
	s_waitcnt lgkmcnt(0)
	s_lshr_b32 s1, s0, 16
	v_cndmask_b32_e32 v2, -1, v9, vcc
	v_cmp_lt_i16_e32 vcc, -1, v17
	v_xor_b32_e32 v39, v2, v12
	s_and_b32 s0, s0, 0xffff
	v_cndmask_b32_e32 v2, -1, v9, vcc
	v_cmp_lt_i16_e32 vcc, -1, v16
	v_xor_b32_e32 v40, v2, v17
	v_lshlrev_b32_e32 v21, 2, v10
	v_cndmask_b32_e32 v2, -1, v9, vcc
	v_xor_b32_e32 v41, v2, v16
	v_bfe_u32 v2, v0, 10, 10
	v_bfe_u32 v0, v0, 20, 10
	v_mad_u32_u24 v0, v0, s1, v2
	v_mad_u64_u32 v[6:7], s[0:1], v0, s0, v[8:9]
	v_lshrrev_b32_e32 v0, 4, v6
	v_and_b32_e32 v22, 0xffffffc, v0
	v_and_b32_e32 v0, 15, v1
	v_cmp_eq_u32_e64 s[0:1], 0, v0
	v_cmp_lt_u32_e64 s[2:3], 1, v0
	v_cmp_lt_u32_e64 s[4:5], 3, v0
	;; [unrolled: 1-line block ×3, first 2 shown]
	v_and_b32_e32 v0, 16, v1
	v_cmp_eq_u32_e64 s[8:9], 0, v0
	v_and_b32_e32 v0, 0x3c0, v8
	v_min_u32_e32 v0, 0xc0, v0
	v_or_b32_e32 v0, 63, v0
	v_cmp_eq_u32_e64 s[12:13], v8, v0
	v_subrev_co_u32_e64 v0, s[18:19], 1, v1
	v_and_b32_e32 v2, 64, v1
	v_cmp_lt_i32_e32 vcc, v0, v2
	v_lshlrev_b32_e32 v26, 1, v5
	v_lshlrev_b32_e32 v27, 1, v11
	v_cndmask_b32_e32 v0, v0, v1, vcc
	v_lshlrev_b32_e32 v23, 2, v0
	v_lshrrev_b32_e32 v0, 4, v8
	v_and_b32_e32 v1, 3, v1
	v_and_b32_e32 v24, 60, v0
	v_mul_i32_i24_e32 v0, -12, v8
	v_cmp_eq_u32_e64 s[22:23], 0, v1
	v_cmp_lt_u32_e64 s[24:25], 1, v1
	v_lshlrev_b32_e32 v28, 1, v13
	v_lshlrev_b32_e32 v29, 1, v15
	v_mul_lo_u32 v1, v5, 6
	v_mul_lo_u32 v2, v11, 6
	;; [unrolled: 1-line block ×4, first 2 shown]
	s_mov_b32 s27, s26
	s_mov_b32 s44, s26
	;; [unrolled: 1-line block ×3, first 2 shown]
	s_add_i32 s40, s37, s36
	v_cmp_gt_u32_e64 s[14:15], 4, v8
	v_cmp_lt_u32_e64 s[16:17], 63, v8
	v_cmp_eq_u32_e64 s[20:21], 0, v8
	v_add_u32_e32 v25, -4, v24
	v_mov_b64_e32 v[14:15], s[26:27]
	v_mov_b64_e32 v[16:17], s[44:45]
	s_movk_i32 s41, 0x7fff
	v_mov_b32_e32 v19, 0
	v_add_u32_e32 v30, v21, v0
	v_add_u32_e32 v31, v26, v1
	;; [unrolled: 1-line block ×5, first 2 shown]
	s_branch .LBB193_19
.LBB193_18:                             ;   in Loop: Header=BB193_19 Depth=1
	s_andn2_b64 vcc, exec, s[26:27]
	s_cbranch_vccz .LBB193_35
.LBB193_19:                             ; =>This Inner Loop Header: Depth=1
	v_mov_b32_e32 v38, v3
	v_cmp_ne_u16_e32 vcc, s41, v38
	s_min_u32 s26, s37, 8
	s_lshl_b32 s44, -1, s26
	v_cndmask_b32_e32 v0, v9, v38, vcc
	v_lshrrev_b32_sdwa v0, s36, v0 dst_sel:DWORD dst_unused:UNUSED_PAD src0_sel:DWORD src1_sel:WORD_0
	v_bitop3_b32 v2, v0, s44, v0 bitop3:0x30
	v_and_b32_e32 v18, 1, v2
	v_lshl_add_u64 v[0:1], v[18:19], 0, -1
	v_cmp_ne_u32_e32 vcc, 0, v18
	v_lshlrev_b32_e32 v3, 4, v2
	v_mov_b64_e32 v[12:13], v[48:49]
	v_xor_b32_e32 v1, vcc_hi, v1
	v_xor_b32_e32 v0, vcc_lo, v0
	v_and_b32_e32 v18, exec_hi, v1
	v_and_b32_e32 v20, exec_lo, v0
	v_lshlrev_b32_e32 v1, 30, v2
	v_mov_b32_e32 v0, v19
	v_cmp_gt_i64_e32 vcc, 0, v[0:1]
	v_not_b32_e32 v0, v1
	v_ashrrev_i32_e32 v0, 31, v0
	v_xor_b32_e32 v1, vcc_hi, v0
	v_xor_b32_e32 v0, vcc_lo, v0
	v_and_b32_e32 v18, v18, v1
	v_and_b32_e32 v20, v20, v0
	v_lshlrev_b32_e32 v1, 29, v2
	v_mov_b32_e32 v0, v19
	v_cmp_gt_i64_e32 vcc, 0, v[0:1]
	v_not_b32_e32 v0, v1
	v_ashrrev_i32_e32 v0, 31, v0
	v_xor_b32_e32 v1, vcc_hi, v0
	v_xor_b32_e32 v0, vcc_lo, v0
	v_and_b32_e32 v18, v18, v1
	v_and_b32_e32 v20, v20, v0
	;; [unrolled: 9-line block ×7, first 2 shown]
	v_mbcnt_lo_u32_b32 v2, v0, 0
	v_mbcnt_hi_u32_b32 v20, v1, v2
	v_cmp_eq_u32_e32 vcc, 0, v20
	v_cmp_ne_u64_e64 s[26:27], 0, v[0:1]
	v_mov_b64_e32 v[10:11], v[50:51]
	v_mov_b64_e32 v[6:7], v[52:53]
	;; [unrolled: 1-line block ×3, first 2 shown]
	v_mov_b32_e32 v37, v39
	v_mov_b32_e32 v36, v40
	;; [unrolled: 1-line block ×3, first 2 shown]
	s_and_b64 s[46:47], s[26:27], vcc
	v_add_u32_e32 v39, v22, v3
	ds_write2_b64 v21, v[14:15], v[16:17] offset0:2 offset1:3
	s_waitcnt lgkmcnt(0)
	s_barrier
	; wave barrier
	s_and_saveexec_b64 s[26:27], s[46:47]
; %bb.20:                               ;   in Loop: Header=BB193_19 Depth=1
	v_bcnt_u32_b32 v0, v0, 0
	v_bcnt_u32_b32 v0, v1, v0
	ds_write_b32 v39, v0 offset:16
; %bb.21:                               ;   in Loop: Header=BB193_19 Depth=1
	s_or_b64 exec, exec, s[26:27]
	v_cmp_ne_u16_e32 vcc, s41, v37
	s_not_b32 s44, s44
	s_nop 0
	v_cndmask_b32_e32 v0, v9, v37, vcc
	v_lshrrev_b32_sdwa v0, s36, v0 dst_sel:DWORD dst_unused:UNUSED_PAD src0_sel:DWORD src1_sel:WORD_0
	v_and_b32_e32 v2, s44, v0
	v_lshlrev_b32_e32 v0, 4, v2
	v_and_b32_e32 v18, 1, v2
	v_add_u32_e32 v41, v22, v0
	v_lshl_add_u64 v[0:1], v[18:19], 0, -1
	v_cmp_ne_u32_e32 vcc, 0, v18
	; wave barrier
	ds_read_b32 v40, v41 offset:16
	s_nop 0
	v_xor_b32_e32 v1, vcc_hi, v1
	v_xor_b32_e32 v0, vcc_lo, v0
	v_and_b32_e32 v3, exec_hi, v1
	v_and_b32_e32 v18, exec_lo, v0
	v_lshlrev_b32_e32 v1, 30, v2
	v_mov_b32_e32 v0, v19
	v_cmp_gt_i64_e32 vcc, 0, v[0:1]
	v_not_b32_e32 v0, v1
	v_ashrrev_i32_e32 v0, 31, v0
	v_xor_b32_e32 v1, vcc_hi, v0
	v_xor_b32_e32 v0, vcc_lo, v0
	v_and_b32_e32 v3, v3, v1
	v_and_b32_e32 v18, v18, v0
	v_lshlrev_b32_e32 v1, 29, v2
	v_mov_b32_e32 v0, v19
	v_cmp_gt_i64_e32 vcc, 0, v[0:1]
	v_not_b32_e32 v0, v1
	v_ashrrev_i32_e32 v0, 31, v0
	v_xor_b32_e32 v1, vcc_hi, v0
	v_xor_b32_e32 v0, vcc_lo, v0
	v_and_b32_e32 v3, v3, v1
	v_and_b32_e32 v18, v18, v0
	;; [unrolled: 9-line block ×7, first 2 shown]
	v_mbcnt_lo_u32_b32 v2, v0, 0
	v_mbcnt_hi_u32_b32 v42, v1, v2
	v_cmp_eq_u32_e32 vcc, 0, v42
	v_cmp_ne_u64_e64 s[26:27], 0, v[0:1]
	s_and_b64 s[46:47], s[26:27], vcc
	; wave barrier
	s_and_saveexec_b64 s[26:27], s[46:47]
	s_cbranch_execz .LBB193_23
; %bb.22:                               ;   in Loop: Header=BB193_19 Depth=1
	v_bcnt_u32_b32 v0, v0, 0
	v_bcnt_u32_b32 v0, v1, v0
	s_waitcnt lgkmcnt(0)
	v_add_u32_e32 v0, v40, v0
	ds_write_b32 v41, v0 offset:16
.LBB193_23:                             ;   in Loop: Header=BB193_19 Depth=1
	s_or_b64 exec, exec, s[26:27]
	v_cmp_ne_u16_e32 vcc, s41, v36
	; wave barrier
	s_nop 1
	v_cndmask_b32_e32 v0, v9, v36, vcc
	v_lshrrev_b32_sdwa v0, s36, v0 dst_sel:DWORD dst_unused:UNUSED_PAD src0_sel:DWORD src1_sel:WORD_0
	v_and_b32_e32 v2, s44, v0
	v_lshlrev_b32_e32 v0, 4, v2
	v_and_b32_e32 v18, 1, v2
	v_add_u32_e32 v44, v22, v0
	v_lshl_add_u64 v[0:1], v[18:19], 0, -1
	v_cmp_ne_u32_e32 vcc, 0, v18
	ds_read_b32 v43, v44 offset:16
	s_nop 0
	v_xor_b32_e32 v1, vcc_hi, v1
	v_xor_b32_e32 v0, vcc_lo, v0
	v_and_b32_e32 v3, exec_hi, v1
	v_and_b32_e32 v18, exec_lo, v0
	v_lshlrev_b32_e32 v1, 30, v2
	v_mov_b32_e32 v0, v19
	v_cmp_gt_i64_e32 vcc, 0, v[0:1]
	v_not_b32_e32 v0, v1
	v_ashrrev_i32_e32 v0, 31, v0
	v_xor_b32_e32 v1, vcc_hi, v0
	v_xor_b32_e32 v0, vcc_lo, v0
	v_and_b32_e32 v3, v3, v1
	v_and_b32_e32 v18, v18, v0
	v_lshlrev_b32_e32 v1, 29, v2
	v_mov_b32_e32 v0, v19
	v_cmp_gt_i64_e32 vcc, 0, v[0:1]
	v_not_b32_e32 v0, v1
	v_ashrrev_i32_e32 v0, 31, v0
	v_xor_b32_e32 v1, vcc_hi, v0
	v_xor_b32_e32 v0, vcc_lo, v0
	v_and_b32_e32 v3, v3, v1
	v_and_b32_e32 v18, v18, v0
	v_lshlrev_b32_e32 v1, 28, v2
	v_mov_b32_e32 v0, v19
	v_cmp_gt_i64_e32 vcc, 0, v[0:1]
	v_not_b32_e32 v0, v1
	v_ashrrev_i32_e32 v0, 31, v0
	v_xor_b32_e32 v1, vcc_hi, v0
	v_xor_b32_e32 v0, vcc_lo, v0
	v_and_b32_e32 v3, v3, v1
	v_and_b32_e32 v18, v18, v0
	v_lshlrev_b32_e32 v1, 27, v2
	v_mov_b32_e32 v0, v19
	v_cmp_gt_i64_e32 vcc, 0, v[0:1]
	v_not_b32_e32 v0, v1
	v_ashrrev_i32_e32 v0, 31, v0
	v_xor_b32_e32 v1, vcc_hi, v0
	v_xor_b32_e32 v0, vcc_lo, v0
	v_and_b32_e32 v3, v3, v1
	v_and_b32_e32 v18, v18, v0
	v_lshlrev_b32_e32 v1, 26, v2
	v_mov_b32_e32 v0, v19
	v_cmp_gt_i64_e32 vcc, 0, v[0:1]
	v_not_b32_e32 v0, v1
	v_ashrrev_i32_e32 v0, 31, v0
	v_xor_b32_e32 v1, vcc_hi, v0
	v_xor_b32_e32 v0, vcc_lo, v0
	v_and_b32_e32 v3, v3, v1
	v_and_b32_e32 v18, v18, v0
	v_lshlrev_b32_e32 v1, 25, v2
	v_mov_b32_e32 v0, v19
	v_cmp_gt_i64_e32 vcc, 0, v[0:1]
	v_not_b32_e32 v0, v1
	v_ashrrev_i32_e32 v0, 31, v0
	v_xor_b32_e32 v1, vcc_hi, v0
	v_xor_b32_e32 v0, vcc_lo, v0
	v_and_b32_e32 v3, v3, v1
	v_and_b32_e32 v18, v18, v0
	v_lshlrev_b32_e32 v1, 24, v2
	v_mov_b32_e32 v0, v19
	v_cmp_gt_i64_e32 vcc, 0, v[0:1]
	v_not_b32_e32 v0, v1
	v_ashrrev_i32_e32 v0, 31, v0
	v_xor_b32_e32 v1, vcc_hi, v0
	v_xor_b32_e32 v0, vcc_lo, v0
	v_and_b32_e32 v0, v18, v0
	v_and_b32_e32 v1, v3, v1
	v_mbcnt_lo_u32_b32 v2, v0, 0
	v_mbcnt_hi_u32_b32 v45, v1, v2
	v_cmp_eq_u32_e32 vcc, 0, v45
	v_cmp_ne_u64_e64 s[26:27], 0, v[0:1]
	s_and_b64 s[46:47], s[26:27], vcc
	; wave barrier
	s_and_saveexec_b64 s[26:27], s[46:47]
	s_cbranch_execz .LBB193_25
; %bb.24:                               ;   in Loop: Header=BB193_19 Depth=1
	v_bcnt_u32_b32 v0, v0, 0
	v_bcnt_u32_b32 v0, v1, v0
	s_waitcnt lgkmcnt(0)
	v_add_u32_e32 v0, v43, v0
	ds_write_b32 v44, v0 offset:16
.LBB193_25:                             ;   in Loop: Header=BB193_19 Depth=1
	s_or_b64 exec, exec, s[26:27]
	v_cmp_ne_u16_e32 vcc, s41, v35
	; wave barrier
	s_nop 1
	v_cndmask_b32_e32 v0, v9, v35, vcc
	v_lshrrev_b32_sdwa v0, s36, v0 dst_sel:DWORD dst_unused:UNUSED_PAD src0_sel:DWORD src1_sel:WORD_0
	v_and_b32_e32 v2, s44, v0
	v_lshlrev_b32_e32 v0, 4, v2
	v_and_b32_e32 v18, 1, v2
	v_add_u32_e32 v47, v22, v0
	v_lshl_add_u64 v[0:1], v[18:19], 0, -1
	v_cmp_ne_u32_e32 vcc, 0, v18
	ds_read_b32 v46, v47 offset:16
	s_nop 0
	v_xor_b32_e32 v1, vcc_hi, v1
	v_xor_b32_e32 v0, vcc_lo, v0
	v_and_b32_e32 v3, exec_hi, v1
	v_and_b32_e32 v18, exec_lo, v0
	v_lshlrev_b32_e32 v1, 30, v2
	v_mov_b32_e32 v0, v19
	v_cmp_gt_i64_e32 vcc, 0, v[0:1]
	v_not_b32_e32 v0, v1
	v_ashrrev_i32_e32 v0, 31, v0
	v_xor_b32_e32 v1, vcc_hi, v0
	v_xor_b32_e32 v0, vcc_lo, v0
	v_and_b32_e32 v3, v3, v1
	v_and_b32_e32 v18, v18, v0
	v_lshlrev_b32_e32 v1, 29, v2
	v_mov_b32_e32 v0, v19
	v_cmp_gt_i64_e32 vcc, 0, v[0:1]
	v_not_b32_e32 v0, v1
	v_ashrrev_i32_e32 v0, 31, v0
	v_xor_b32_e32 v1, vcc_hi, v0
	v_xor_b32_e32 v0, vcc_lo, v0
	v_and_b32_e32 v3, v3, v1
	v_and_b32_e32 v18, v18, v0
	;; [unrolled: 9-line block ×7, first 2 shown]
	v_mbcnt_lo_u32_b32 v2, v0, 0
	v_mbcnt_hi_u32_b32 v18, v1, v2
	v_cmp_eq_u32_e32 vcc, 0, v18
	v_cmp_ne_u64_e64 s[26:27], 0, v[0:1]
	s_and_b64 s[44:45], s[26:27], vcc
	; wave barrier
	s_and_saveexec_b64 s[26:27], s[44:45]
	s_cbranch_execz .LBB193_27
; %bb.26:                               ;   in Loop: Header=BB193_19 Depth=1
	v_bcnt_u32_b32 v0, v0, 0
	v_bcnt_u32_b32 v0, v1, v0
	s_waitcnt lgkmcnt(0)
	v_add_u32_e32 v0, v46, v0
	ds_write_b32 v47, v0 offset:16
.LBB193_27:                             ;   in Loop: Header=BB193_19 Depth=1
	s_or_b64 exec, exec, s[26:27]
	; wave barrier
	s_waitcnt lgkmcnt(0)
	s_barrier
	ds_read2_b64 v[0:3], v21 offset0:2 offset1:3
	s_waitcnt lgkmcnt(0)
	v_add_u32_e32 v48, v1, v0
	v_add3_u32 v3, v48, v2, v3
	s_nop 1
	v_mov_b32_dpp v48, v3 row_shr:1 row_mask:0xf bank_mask:0xf
	v_cndmask_b32_e64 v48, v48, 0, s[0:1]
	v_add_u32_e32 v3, v48, v3
	s_nop 1
	v_mov_b32_dpp v48, v3 row_shr:2 row_mask:0xf bank_mask:0xf
	v_cndmask_b32_e64 v48, 0, v48, s[2:3]
	v_add_u32_e32 v3, v3, v48
	;; [unrolled: 4-line block ×4, first 2 shown]
	s_nop 1
	v_mov_b32_dpp v48, v3 row_bcast:15 row_mask:0xf bank_mask:0xf
	v_cndmask_b32_e64 v48, v48, 0, s[8:9]
	v_add_u32_e32 v3, v3, v48
	s_nop 1
	v_mov_b32_dpp v48, v3 row_bcast:31 row_mask:0xf bank_mask:0xf
	v_cndmask_b32_e64 v48, 0, v48, s[10:11]
	v_add_u32_e32 v3, v3, v48
	s_and_saveexec_b64 s[26:27], s[12:13]
; %bb.28:                               ;   in Loop: Header=BB193_19 Depth=1
	ds_write_b32 v24, v3
; %bb.29:                               ;   in Loop: Header=BB193_19 Depth=1
	s_or_b64 exec, exec, s[26:27]
	s_waitcnt lgkmcnt(0)
	s_barrier
	s_and_saveexec_b64 s[26:27], s[14:15]
	s_cbranch_execz .LBB193_31
; %bb.30:                               ;   in Loop: Header=BB193_19 Depth=1
	ds_read_b32 v48, v30
	s_waitcnt lgkmcnt(0)
	s_nop 0
	v_mov_b32_dpp v49, v48 row_shr:1 row_mask:0xf bank_mask:0xf
	v_cndmask_b32_e64 v49, v49, 0, s[22:23]
	v_add_u32_e32 v48, v49, v48
	s_nop 1
	v_mov_b32_dpp v49, v48 row_shr:2 row_mask:0xf bank_mask:0xf
	v_cndmask_b32_e64 v49, 0, v49, s[24:25]
	v_add_u32_e32 v48, v48, v49
	ds_write_b32 v30, v48
.LBB193_31:                             ;   in Loop: Header=BB193_19 Depth=1
	s_or_b64 exec, exec, s[26:27]
	v_mov_b32_e32 v48, 0
	s_waitcnt lgkmcnt(0)
	s_barrier
	s_and_saveexec_b64 s[26:27], s[16:17]
; %bb.32:                               ;   in Loop: Header=BB193_19 Depth=1
	ds_read_b32 v48, v25
; %bb.33:                               ;   in Loop: Header=BB193_19 Depth=1
	s_or_b64 exec, exec, s[26:27]
	s_waitcnt lgkmcnt(0)
	v_add_u32_e32 v3, v48, v3
	ds_bpermute_b32 v3, v23, v3
	s_add_i32 s36, s36, 8
	s_cmp_ge_u32 s36, s40
	s_mov_b64 s[26:27], -1
                                        ; implicit-def: $vgpr50_vgpr51
                                        ; implicit-def: $vgpr52_vgpr53
                                        ; implicit-def: $vgpr54_vgpr55
	s_waitcnt lgkmcnt(0)
	v_cndmask_b32_e64 v3, v3, v48, s[18:19]
	v_cndmask_b32_e64 v48, v3, 0, s[20:21]
	v_add_u32_e32 v49, v48, v0
	v_add_u32_e32 v0, v49, v1
	;; [unrolled: 1-line block ×3, first 2 shown]
	ds_write2_b64 v21, v[48:49], v[0:1] offset0:2 offset1:3
	s_waitcnt lgkmcnt(0)
	s_barrier
	ds_read_b32 v0, v39 offset:16
	ds_read_b32 v1, v41 offset:16
	;; [unrolled: 1-line block ×4, first 2 shown]
	s_waitcnt lgkmcnt(0)
	v_add_u32_e32 v47, v0, v20
	v_add3_u32 v44, v42, v40, v1
	v_add3_u32 v42, v45, v43, v2
	;; [unrolled: 1-line block ×3, first 2 shown]
	v_lshlrev_b32_e32 v20, 1, v47
	v_lshlrev_b32_e32 v18, 1, v44
	v_lshlrev_b32_e32 v2, 1, v42
	v_lshlrev_b32_e32 v0, 1, v1
                                        ; implicit-def: $vgpr48_vgpr49
                                        ; implicit-def: $vgpr3
                                        ; implicit-def: $vgpr39
                                        ; implicit-def: $vgpr40
                                        ; implicit-def: $vgpr41
	s_cbranch_scc1 .LBB193_18
; %bb.34:                               ;   in Loop: Header=BB193_19 Depth=1
	s_barrier
	ds_write_b16 v20, v38
	ds_write_b16 v18, v37
	;; [unrolled: 1-line block ×4, first 2 shown]
	s_waitcnt lgkmcnt(0)
	s_barrier
	ds_read_u16 v3, v26
	ds_read_u16 v39, v27
	;; [unrolled: 1-line block ×4, first 2 shown]
	v_mad_u64_u32 v[48:49], s[26:27], v47, 6, v[20:21]
	s_waitcnt lgkmcnt(0)
	s_barrier
	ds_write_b64 v48, v[12:13]
	v_mad_u64_u32 v[48:49], s[26:27], v44, 6, v[18:19]
	ds_write_b64 v48, v[10:11]
	v_mad_u64_u32 v[48:49], s[26:27], v42, 6, v[2:3]
	;; [unrolled: 2-line block ×3, first 2 shown]
	ds_write_b64 v48, v[4:5]
	s_waitcnt lgkmcnt(0)
	s_barrier
	ds_read_b64 v[48:49], v31
	ds_read_b64 v[50:51], v32
	;; [unrolled: 1-line block ×4, first 2 shown]
	s_add_i32 s37, s37, -8
	s_mov_b64 s[26:27], 0
	s_waitcnt lgkmcnt(0)
	s_barrier
	s_branch .LBB193_18
.LBB193_35:
	v_lshlrev_b32_e32 v14, 1, v8
	s_barrier
	ds_write_b16 v20, v38
	ds_write_b16 v18, v37
	;; [unrolled: 1-line block ×4, first 2 shown]
	s_waitcnt lgkmcnt(0)
	s_barrier
	ds_read_u16 v9, v14
	ds_read_u16 v15, v14 offset:512
	ds_read_u16 v19, v14 offset:1024
	;; [unrolled: 1-line block ×3, first 2 shown]
	s_waitcnt lgkmcnt(0)
	s_barrier
	v_mad_u64_u32 v[2:3], s[0:1], v42, 6, v[2:3]
	v_mad_u64_u32 v[16:17], s[0:1], v47, 6, v[20:21]
	ds_write_b64 v16, v[12:13]
	v_mad_u64_u32 v[12:13], s[0:1], v44, 6, v[18:19]
	v_mad_u64_u32 v[0:1], s[0:1], v1, 6, v[0:1]
	ds_write_b64 v12, v[10:11]
	ds_write_b64 v2, v[6:7]
	;; [unrolled: 1-line block ×3, first 2 shown]
	v_mad_u32_u24 v0, v8, 6, v14
	v_mov_b32_e32 v10, 0xffff8000
	v_cmp_lt_i16_e32 vcc, -1, v9
	s_waitcnt lgkmcnt(0)
	s_barrier
	ds_read2st64_b64 v[4:7], v0 offset1:4
	ds_read2st64_b64 v[0:3], v0 offset0:8 offset1:12
	v_cndmask_b32_e64 v11, v10, -1, vcc
	v_cmp_lt_i16_e32 vcc, -1, v15
	v_xor_b32_e32 v16, v11, v9
	s_add_u32 s0, s38, s34
	v_cndmask_b32_e64 v9, v10, -1, vcc
	v_cmp_lt_i16_e32 vcc, -1, v19
	v_xor_b32_e32 v13, v9, v15
	s_addc_u32 s1, s39, s35
	v_cndmask_b32_e64 v9, v10, -1, vcc
	v_cmp_lt_i16_e32 vcc, -1, v21
	v_xor_b32_e32 v12, v9, v19
	v_mov_b32_e32 v15, 0
	v_cndmask_b32_e64 v9, v10, -1, vcc
	v_xor_b32_e32 v9, v9, v21
	v_lshl_add_u64 v[10:11], s[0:1], 0, v[14:15]
	s_andn2_b64 vcc, exec, s[30:31]
	v_lshlrev_b32_e32 v14, 3, v8
	s_cbranch_vccnz .LBB193_37
; %bb.36:
	s_lshl_b64 s[0:1], s[28:29], 3
	s_add_u32 s0, s42, s0
	s_addc_u32 s1, s43, s1
	v_lshl_add_u64 v[18:19], s[0:1], 0, v[14:15]
	v_add_co_u32_e32 v18, vcc, 0x1000, v18
	global_store_short v[10:11], v16, off
	global_store_short v[10:11], v13, off offset:512
	global_store_short v[10:11], v12, off offset:1024
	global_store_short v[10:11], v9, off offset:1536
	s_waitcnt lgkmcnt(1)
	global_store_dwordx2 v14, v[4:5], s[0:1]
	global_store_dwordx2 v14, v[6:7], s[0:1] offset:2048
	v_addc_co_u32_e32 v19, vcc, 0, v19, vcc
	s_mov_b64 s[4:5], -1
	s_waitcnt lgkmcnt(0)
	global_store_dwordx2 v[18:19], v[0:1], off
	s_cbranch_execz .LBB193_38
	s_branch .LBB193_51
.LBB193_37:
	s_mov_b64 s[4:5], 0
.LBB193_38:
	v_cmp_gt_u32_e32 vcc, s33, v8
	s_and_saveexec_b64 s[0:1], vcc
	s_cbranch_execz .LBB193_40
; %bb.39:
	global_store_short v[10:11], v16, off
.LBB193_40:
	s_or_b64 exec, exec, s[0:1]
	v_add_u32_e32 v15, 0x100, v8
	v_cmp_gt_u32_e64 s[0:1], s33, v15
	s_and_saveexec_b64 s[2:3], s[0:1]
	s_cbranch_execz .LBB193_42
; %bb.41:
	global_store_short v[10:11], v13, off offset:512
.LBB193_42:
	s_or_b64 exec, exec, s[2:3]
	v_add_u32_e32 v13, 0x200, v8
	v_cmp_gt_u32_e64 s[2:3], s33, v13
	s_and_saveexec_b64 s[4:5], s[2:3]
	s_cbranch_execz .LBB193_44
; %bb.43:
	global_store_short v[10:11], v12, off offset:1024
.LBB193_44:
	;; [unrolled: 8-line block ×3, first 2 shown]
	s_or_b64 exec, exec, s[6:7]
	s_lshl_b64 s[6:7], s[28:29], 3
	s_add_u32 s6, s42, s6
	s_addc_u32 s7, s43, s7
	v_mov_b32_e32 v15, 0
	v_lshl_add_u64 v[8:9], s[6:7], 0, v[14:15]
	s_and_saveexec_b64 s[6:7], vcc
	s_cbranch_execnz .LBB193_57
; %bb.47:
	s_or_b64 exec, exec, s[6:7]
	s_and_saveexec_b64 s[6:7], s[0:1]
	s_cbranch_execnz .LBB193_58
.LBB193_48:
	s_or_b64 exec, exec, s[6:7]
	s_and_saveexec_b64 s[0:1], s[2:3]
	s_cbranch_execz .LBB193_50
.LBB193_49:
	s_waitcnt lgkmcnt(1)
	v_add_co_u32_e32 v4, vcc, 0x1000, v8
	s_nop 1
	v_addc_co_u32_e32 v5, vcc, 0, v9, vcc
	s_waitcnt lgkmcnt(0)
	global_store_dwordx2 v[4:5], v[0:1], off
.LBB193_50:
	s_or_b64 exec, exec, s[0:1]
.LBB193_51:
	s_and_saveexec_b64 s[0:1], s[4:5]
	s_cbranch_execnz .LBB193_53
; %bb.52:
	s_endpgm
.LBB193_53:
	s_lshl_b64 s[0:1], s[28:29], 3
	s_add_u32 s0, s42, s0
	s_addc_u32 s1, s43, s1
	v_mov_b32_e32 v15, 0
	s_waitcnt lgkmcnt(0)
	v_lshl_add_u64 v[0:1], s[0:1], 0, v[14:15]
	v_add_co_u32_e32 v0, vcc, 0x1000, v0
	s_nop 1
	v_addc_co_u32_e32 v1, vcc, 0, v1, vcc
	global_store_dwordx2 v[0:1], v[2:3], off offset:2048
	s_endpgm
.LBB193_54:
	global_load_dwordx2 v[48:49], v[2:3], off
	s_or_b64 exec, exec, s[8:9]
                                        ; implicit-def: $vgpr50_vgpr51
	s_and_saveexec_b64 s[8:9], s[2:3]
	s_cbranch_execz .LBB193_13
.LBB193_55:
	global_load_dwordx2 v[50:51], v[2:3], off offset:512
	s_or_b64 exec, exec, s[8:9]
                                        ; implicit-def: $vgpr52_vgpr53
	s_and_saveexec_b64 s[2:3], s[4:5]
	s_cbranch_execz .LBB193_14
.LBB193_56:
	global_load_dwordx2 v[52:53], v[2:3], off offset:1024
	s_or_b64 exec, exec, s[2:3]
                                        ; implicit-def: $vgpr54_vgpr55
	s_and_saveexec_b64 s[2:3], s[6:7]
	s_cbranch_execnz .LBB193_15
	s_branch .LBB193_16
.LBB193_57:
	s_waitcnt lgkmcnt(1)
	global_store_dwordx2 v[8:9], v[4:5], off
	s_or_b64 exec, exec, s[6:7]
	s_and_saveexec_b64 s[6:7], s[0:1]
	s_cbranch_execz .LBB193_48
.LBB193_58:
	s_waitcnt lgkmcnt(1)
	global_store_dwordx2 v[8:9], v[6:7], off offset:2048
	s_or_b64 exec, exec, s[6:7]
	s_and_saveexec_b64 s[0:1], s[2:3]
	s_cbranch_execnz .LBB193_49
	s_branch .LBB193_50
	.section	.rodata,"a",@progbits
	.p2align	6, 0x0
	.amdhsa_kernel _ZN7rocprim17ROCPRIM_304000_NS6detail28radix_sort_block_sort_kernelINS1_36wrapped_radix_sort_block_sort_configINS0_13kernel_configILj256ELj4ELj4294967295EEE6__halfN2at4cuda3cub6detail10OpaqueTypeILi8EEEEELb0EPKS6_PS6_PKSC_PSC_NS0_19identity_decomposerEEEvT1_T2_T3_T4_jT5_jj
		.amdhsa_group_segment_fixed_size 8192
		.amdhsa_private_segment_fixed_size 0
		.amdhsa_kernarg_size 304
		.amdhsa_user_sgpr_count 2
		.amdhsa_user_sgpr_dispatch_ptr 0
		.amdhsa_user_sgpr_queue_ptr 0
		.amdhsa_user_sgpr_kernarg_segment_ptr 1
		.amdhsa_user_sgpr_dispatch_id 0
		.amdhsa_user_sgpr_kernarg_preload_length 0
		.amdhsa_user_sgpr_kernarg_preload_offset 0
		.amdhsa_user_sgpr_private_segment_size 0
		.amdhsa_uses_dynamic_stack 0
		.amdhsa_enable_private_segment 0
		.amdhsa_system_sgpr_workgroup_id_x 1
		.amdhsa_system_sgpr_workgroup_id_y 0
		.amdhsa_system_sgpr_workgroup_id_z 0
		.amdhsa_system_sgpr_workgroup_info 0
		.amdhsa_system_vgpr_workitem_id 2
		.amdhsa_next_free_vgpr 56
		.amdhsa_next_free_sgpr 48
		.amdhsa_accum_offset 56
		.amdhsa_reserve_vcc 1
		.amdhsa_float_round_mode_32 0
		.amdhsa_float_round_mode_16_64 0
		.amdhsa_float_denorm_mode_32 3
		.amdhsa_float_denorm_mode_16_64 3
		.amdhsa_dx10_clamp 1
		.amdhsa_ieee_mode 1
		.amdhsa_fp16_overflow 0
		.amdhsa_tg_split 0
		.amdhsa_exception_fp_ieee_invalid_op 0
		.amdhsa_exception_fp_denorm_src 0
		.amdhsa_exception_fp_ieee_div_zero 0
		.amdhsa_exception_fp_ieee_overflow 0
		.amdhsa_exception_fp_ieee_underflow 0
		.amdhsa_exception_fp_ieee_inexact 0
		.amdhsa_exception_int_div_zero 0
	.end_amdhsa_kernel
	.section	.text._ZN7rocprim17ROCPRIM_304000_NS6detail28radix_sort_block_sort_kernelINS1_36wrapped_radix_sort_block_sort_configINS0_13kernel_configILj256ELj4ELj4294967295EEE6__halfN2at4cuda3cub6detail10OpaqueTypeILi8EEEEELb0EPKS6_PS6_PKSC_PSC_NS0_19identity_decomposerEEEvT1_T2_T3_T4_jT5_jj,"axG",@progbits,_ZN7rocprim17ROCPRIM_304000_NS6detail28radix_sort_block_sort_kernelINS1_36wrapped_radix_sort_block_sort_configINS0_13kernel_configILj256ELj4ELj4294967295EEE6__halfN2at4cuda3cub6detail10OpaqueTypeILi8EEEEELb0EPKS6_PS6_PKSC_PSC_NS0_19identity_decomposerEEEvT1_T2_T3_T4_jT5_jj,comdat
.Lfunc_end193:
	.size	_ZN7rocprim17ROCPRIM_304000_NS6detail28radix_sort_block_sort_kernelINS1_36wrapped_radix_sort_block_sort_configINS0_13kernel_configILj256ELj4ELj4294967295EEE6__halfN2at4cuda3cub6detail10OpaqueTypeILi8EEEEELb0EPKS6_PS6_PKSC_PSC_NS0_19identity_decomposerEEEvT1_T2_T3_T4_jT5_jj, .Lfunc_end193-_ZN7rocprim17ROCPRIM_304000_NS6detail28radix_sort_block_sort_kernelINS1_36wrapped_radix_sort_block_sort_configINS0_13kernel_configILj256ELj4ELj4294967295EEE6__halfN2at4cuda3cub6detail10OpaqueTypeILi8EEEEELb0EPKS6_PS6_PKSC_PSC_NS0_19identity_decomposerEEEvT1_T2_T3_T4_jT5_jj
                                        ; -- End function
	.set _ZN7rocprim17ROCPRIM_304000_NS6detail28radix_sort_block_sort_kernelINS1_36wrapped_radix_sort_block_sort_configINS0_13kernel_configILj256ELj4ELj4294967295EEE6__halfN2at4cuda3cub6detail10OpaqueTypeILi8EEEEELb0EPKS6_PS6_PKSC_PSC_NS0_19identity_decomposerEEEvT1_T2_T3_T4_jT5_jj.num_vgpr, 56
	.set _ZN7rocprim17ROCPRIM_304000_NS6detail28radix_sort_block_sort_kernelINS1_36wrapped_radix_sort_block_sort_configINS0_13kernel_configILj256ELj4ELj4294967295EEE6__halfN2at4cuda3cub6detail10OpaqueTypeILi8EEEEELb0EPKS6_PS6_PKSC_PSC_NS0_19identity_decomposerEEEvT1_T2_T3_T4_jT5_jj.num_agpr, 0
	.set _ZN7rocprim17ROCPRIM_304000_NS6detail28radix_sort_block_sort_kernelINS1_36wrapped_radix_sort_block_sort_configINS0_13kernel_configILj256ELj4ELj4294967295EEE6__halfN2at4cuda3cub6detail10OpaqueTypeILi8EEEEELb0EPKS6_PS6_PKSC_PSC_NS0_19identity_decomposerEEEvT1_T2_T3_T4_jT5_jj.numbered_sgpr, 48
	.set _ZN7rocprim17ROCPRIM_304000_NS6detail28radix_sort_block_sort_kernelINS1_36wrapped_radix_sort_block_sort_configINS0_13kernel_configILj256ELj4ELj4294967295EEE6__halfN2at4cuda3cub6detail10OpaqueTypeILi8EEEEELb0EPKS6_PS6_PKSC_PSC_NS0_19identity_decomposerEEEvT1_T2_T3_T4_jT5_jj.num_named_barrier, 0
	.set _ZN7rocprim17ROCPRIM_304000_NS6detail28radix_sort_block_sort_kernelINS1_36wrapped_radix_sort_block_sort_configINS0_13kernel_configILj256ELj4ELj4294967295EEE6__halfN2at4cuda3cub6detail10OpaqueTypeILi8EEEEELb0EPKS6_PS6_PKSC_PSC_NS0_19identity_decomposerEEEvT1_T2_T3_T4_jT5_jj.private_seg_size, 0
	.set _ZN7rocprim17ROCPRIM_304000_NS6detail28radix_sort_block_sort_kernelINS1_36wrapped_radix_sort_block_sort_configINS0_13kernel_configILj256ELj4ELj4294967295EEE6__halfN2at4cuda3cub6detail10OpaqueTypeILi8EEEEELb0EPKS6_PS6_PKSC_PSC_NS0_19identity_decomposerEEEvT1_T2_T3_T4_jT5_jj.uses_vcc, 1
	.set _ZN7rocprim17ROCPRIM_304000_NS6detail28radix_sort_block_sort_kernelINS1_36wrapped_radix_sort_block_sort_configINS0_13kernel_configILj256ELj4ELj4294967295EEE6__halfN2at4cuda3cub6detail10OpaqueTypeILi8EEEEELb0EPKS6_PS6_PKSC_PSC_NS0_19identity_decomposerEEEvT1_T2_T3_T4_jT5_jj.uses_flat_scratch, 0
	.set _ZN7rocprim17ROCPRIM_304000_NS6detail28radix_sort_block_sort_kernelINS1_36wrapped_radix_sort_block_sort_configINS0_13kernel_configILj256ELj4ELj4294967295EEE6__halfN2at4cuda3cub6detail10OpaqueTypeILi8EEEEELb0EPKS6_PS6_PKSC_PSC_NS0_19identity_decomposerEEEvT1_T2_T3_T4_jT5_jj.has_dyn_sized_stack, 0
	.set _ZN7rocprim17ROCPRIM_304000_NS6detail28radix_sort_block_sort_kernelINS1_36wrapped_radix_sort_block_sort_configINS0_13kernel_configILj256ELj4ELj4294967295EEE6__halfN2at4cuda3cub6detail10OpaqueTypeILi8EEEEELb0EPKS6_PS6_PKSC_PSC_NS0_19identity_decomposerEEEvT1_T2_T3_T4_jT5_jj.has_recursion, 0
	.set _ZN7rocprim17ROCPRIM_304000_NS6detail28radix_sort_block_sort_kernelINS1_36wrapped_radix_sort_block_sort_configINS0_13kernel_configILj256ELj4ELj4294967295EEE6__halfN2at4cuda3cub6detail10OpaqueTypeILi8EEEEELb0EPKS6_PS6_PKSC_PSC_NS0_19identity_decomposerEEEvT1_T2_T3_T4_jT5_jj.has_indirect_call, 0
	.section	.AMDGPU.csdata,"",@progbits
; Kernel info:
; codeLenInByte = 4096
; TotalNumSgprs: 54
; NumVgprs: 56
; NumAgprs: 0
; TotalNumVgprs: 56
; ScratchSize: 0
; MemoryBound: 0
; FloatMode: 240
; IeeeMode: 1
; LDSByteSize: 8192 bytes/workgroup (compile time only)
; SGPRBlocks: 6
; VGPRBlocks: 6
; NumSGPRsForWavesPerEU: 54
; NumVGPRsForWavesPerEU: 56
; AccumOffset: 56
; Occupancy: 8
; WaveLimiterHint : 1
; COMPUTE_PGM_RSRC2:SCRATCH_EN: 0
; COMPUTE_PGM_RSRC2:USER_SGPR: 2
; COMPUTE_PGM_RSRC2:TRAP_HANDLER: 0
; COMPUTE_PGM_RSRC2:TGID_X_EN: 1
; COMPUTE_PGM_RSRC2:TGID_Y_EN: 0
; COMPUTE_PGM_RSRC2:TGID_Z_EN: 0
; COMPUTE_PGM_RSRC2:TIDIG_COMP_CNT: 2
; COMPUTE_PGM_RSRC3_GFX90A:ACCUM_OFFSET: 13
; COMPUTE_PGM_RSRC3_GFX90A:TG_SPLIT: 0
	.section	.text._ZN7rocprim17ROCPRIM_304000_NS6detail45device_block_merge_mergepath_partition_kernelINS1_37wrapped_merge_sort_block_merge_configINS0_14default_configE6__halfN2at4cuda3cub6detail10OpaqueTypeILi8EEEEEPS5_jNS1_19radix_merge_compareILb0ELb0ES5_NS0_19identity_decomposerEEEEEvT0_T1_jPSI_T2_SI_,"axG",@progbits,_ZN7rocprim17ROCPRIM_304000_NS6detail45device_block_merge_mergepath_partition_kernelINS1_37wrapped_merge_sort_block_merge_configINS0_14default_configE6__halfN2at4cuda3cub6detail10OpaqueTypeILi8EEEEEPS5_jNS1_19radix_merge_compareILb0ELb0ES5_NS0_19identity_decomposerEEEEEvT0_T1_jPSI_T2_SI_,comdat
	.protected	_ZN7rocprim17ROCPRIM_304000_NS6detail45device_block_merge_mergepath_partition_kernelINS1_37wrapped_merge_sort_block_merge_configINS0_14default_configE6__halfN2at4cuda3cub6detail10OpaqueTypeILi8EEEEEPS5_jNS1_19radix_merge_compareILb0ELb0ES5_NS0_19identity_decomposerEEEEEvT0_T1_jPSI_T2_SI_ ; -- Begin function _ZN7rocprim17ROCPRIM_304000_NS6detail45device_block_merge_mergepath_partition_kernelINS1_37wrapped_merge_sort_block_merge_configINS0_14default_configE6__halfN2at4cuda3cub6detail10OpaqueTypeILi8EEEEEPS5_jNS1_19radix_merge_compareILb0ELb0ES5_NS0_19identity_decomposerEEEEEvT0_T1_jPSI_T2_SI_
	.globl	_ZN7rocprim17ROCPRIM_304000_NS6detail45device_block_merge_mergepath_partition_kernelINS1_37wrapped_merge_sort_block_merge_configINS0_14default_configE6__halfN2at4cuda3cub6detail10OpaqueTypeILi8EEEEEPS5_jNS1_19radix_merge_compareILb0ELb0ES5_NS0_19identity_decomposerEEEEEvT0_T1_jPSI_T2_SI_
	.p2align	8
	.type	_ZN7rocprim17ROCPRIM_304000_NS6detail45device_block_merge_mergepath_partition_kernelINS1_37wrapped_merge_sort_block_merge_configINS0_14default_configE6__halfN2at4cuda3cub6detail10OpaqueTypeILi8EEEEEPS5_jNS1_19radix_merge_compareILb0ELb0ES5_NS0_19identity_decomposerEEEEEvT0_T1_jPSI_T2_SI_,@function
_ZN7rocprim17ROCPRIM_304000_NS6detail45device_block_merge_mergepath_partition_kernelINS1_37wrapped_merge_sort_block_merge_configINS0_14default_configE6__halfN2at4cuda3cub6detail10OpaqueTypeILi8EEEEEPS5_jNS1_19radix_merge_compareILb0ELb0ES5_NS0_19identity_decomposerEEEEEvT0_T1_jPSI_T2_SI_: ; @_ZN7rocprim17ROCPRIM_304000_NS6detail45device_block_merge_mergepath_partition_kernelINS1_37wrapped_merge_sort_block_merge_configINS0_14default_configE6__halfN2at4cuda3cub6detail10OpaqueTypeILi8EEEEEPS5_jNS1_19radix_merge_compareILb0ELb0ES5_NS0_19identity_decomposerEEEEEvT0_T1_jPSI_T2_SI_
; %bb.0:
	s_load_dwordx2 s[4:5], s[0:1], 0x8
	v_lshl_or_b32 v0, s2, 7, v0
	s_waitcnt lgkmcnt(0)
	v_cmp_gt_u32_e32 vcc, s5, v0
	s_and_saveexec_b64 s[2:3], vcc
	s_cbranch_execz .LBB194_6
; %bb.1:
	s_load_dword s2, s[0:1], 0x1c
	s_waitcnt lgkmcnt(0)
	s_lshr_b32 s3, s2, 9
	s_and_b32 s3, s3, 0x7ffffe
	s_add_i32 s5, s3, -1
	s_sub_i32 s3, 0, s3
	v_and_b32_e32 v1, s3, v0
	v_and_b32_e32 v2, s5, v0
	v_lshlrev_b32_e32 v1, 10, v1
	v_lshlrev_b32_e32 v3, 10, v2
	v_min_u32_e32 v2, s4, v1
	v_add_u32_e32 v1, s2, v1
	v_min_u32_e32 v4, s4, v1
	v_add_u32_e32 v1, s2, v4
	v_min_u32_e32 v1, s4, v1
	v_sub_u32_e32 v5, v1, v2
	v_min_u32_e32 v10, v5, v3
	v_sub_u32_e32 v3, v4, v2
	v_sub_u32_e32 v1, v1, v4
	v_sub_u32_e64 v1, v10, v1 clamp
	v_min_u32_e32 v11, v10, v3
	v_cmp_lt_u32_e32 vcc, v1, v11
	s_and_saveexec_b64 s[2:3], vcc
	s_cbranch_execz .LBB194_5
; %bb.2:
	s_load_dwordx2 s[6:7], s[0:1], 0x0
	v_mov_b32_e32 v5, 0
	v_mov_b32_e32 v3, v5
	s_mov_b64 s[4:5], 0
	s_waitcnt lgkmcnt(0)
	v_lshl_add_u64 v[6:7], v[2:3], 1, s[6:7]
	v_lshl_add_u64 v[8:9], v[4:5], 1, s[6:7]
	s_movk_i32 s6, 0x8000
	v_mov_b32_e32 v3, 0xffff8000
.LBB194_3:                              ; =>This Inner Loop Header: Depth=1
	v_add_u32_e32 v4, v11, v1
	v_lshrrev_b32_e32 v16, 1, v4
	v_and_b32_e32 v4, -2, v4
	v_mov_b32_e32 v13, v5
	v_xad_u32 v12, v16, -1, v10
	v_lshl_add_u64 v[14:15], v[6:7], 0, v[4:5]
	global_load_ushort v4, v[14:15], off
	v_lshl_add_u64 v[12:13], v[12:13], 1, v[8:9]
	global_load_ushort v12, v[12:13], off
	v_add_u32_e32 v13, 1, v16
	s_waitcnt vmcnt(1)
	v_cmp_ne_u16_e32 vcc, s6, v4
	s_nop 1
	v_cndmask_b32_e32 v4, 0, v4, vcc
	s_waitcnt vmcnt(0)
	v_cmp_ne_u16_e32 vcc, s6, v12
	s_nop 1
	v_cndmask_b32_e32 v12, 0, v12, vcc
	v_cmp_lt_i16_e32 vcc, -1, v4
	s_nop 1
	v_cndmask_b32_e32 v14, -1, v3, vcc
	v_cmp_lt_i16_e32 vcc, -1, v12
	v_xor_b32_e32 v4, v14, v4
	s_nop 0
	v_cndmask_b32_e32 v14, -1, v3, vcc
	v_xor_b32_e32 v12, v14, v12
	v_cmp_gt_u16_e32 vcc, v4, v12
	s_nop 1
	v_cndmask_b32_e32 v11, v11, v16, vcc
	v_cndmask_b32_e32 v1, v13, v1, vcc
	v_cmp_ge_u32_e32 vcc, v1, v11
	s_or_b64 s[4:5], vcc, s[4:5]
	s_andn2_b64 exec, exec, s[4:5]
	s_cbranch_execnz .LBB194_3
; %bb.4:
	s_or_b64 exec, exec, s[4:5]
.LBB194_5:
	s_or_b64 exec, exec, s[2:3]
	s_load_dwordx2 s[0:1], s[0:1], 0x10
	v_add_u32_e32 v2, v1, v2
	v_mov_b32_e32 v1, 0
	s_waitcnt lgkmcnt(0)
	v_lshl_add_u64 v[0:1], v[0:1], 2, s[0:1]
	global_store_dword v[0:1], v2, off
.LBB194_6:
	s_endpgm
	.section	.rodata,"a",@progbits
	.p2align	6, 0x0
	.amdhsa_kernel _ZN7rocprim17ROCPRIM_304000_NS6detail45device_block_merge_mergepath_partition_kernelINS1_37wrapped_merge_sort_block_merge_configINS0_14default_configE6__halfN2at4cuda3cub6detail10OpaqueTypeILi8EEEEEPS5_jNS1_19radix_merge_compareILb0ELb0ES5_NS0_19identity_decomposerEEEEEvT0_T1_jPSI_T2_SI_
		.amdhsa_group_segment_fixed_size 0
		.amdhsa_private_segment_fixed_size 0
		.amdhsa_kernarg_size 32
		.amdhsa_user_sgpr_count 2
		.amdhsa_user_sgpr_dispatch_ptr 0
		.amdhsa_user_sgpr_queue_ptr 0
		.amdhsa_user_sgpr_kernarg_segment_ptr 1
		.amdhsa_user_sgpr_dispatch_id 0
		.amdhsa_user_sgpr_kernarg_preload_length 0
		.amdhsa_user_sgpr_kernarg_preload_offset 0
		.amdhsa_user_sgpr_private_segment_size 0
		.amdhsa_uses_dynamic_stack 0
		.amdhsa_enable_private_segment 0
		.amdhsa_system_sgpr_workgroup_id_x 1
		.amdhsa_system_sgpr_workgroup_id_y 0
		.amdhsa_system_sgpr_workgroup_id_z 0
		.amdhsa_system_sgpr_workgroup_info 0
		.amdhsa_system_vgpr_workitem_id 0
		.amdhsa_next_free_vgpr 17
		.amdhsa_next_free_sgpr 8
		.amdhsa_accum_offset 20
		.amdhsa_reserve_vcc 1
		.amdhsa_float_round_mode_32 0
		.amdhsa_float_round_mode_16_64 0
		.amdhsa_float_denorm_mode_32 3
		.amdhsa_float_denorm_mode_16_64 3
		.amdhsa_dx10_clamp 1
		.amdhsa_ieee_mode 1
		.amdhsa_fp16_overflow 0
		.amdhsa_tg_split 0
		.amdhsa_exception_fp_ieee_invalid_op 0
		.amdhsa_exception_fp_denorm_src 0
		.amdhsa_exception_fp_ieee_div_zero 0
		.amdhsa_exception_fp_ieee_overflow 0
		.amdhsa_exception_fp_ieee_underflow 0
		.amdhsa_exception_fp_ieee_inexact 0
		.amdhsa_exception_int_div_zero 0
	.end_amdhsa_kernel
	.section	.text._ZN7rocprim17ROCPRIM_304000_NS6detail45device_block_merge_mergepath_partition_kernelINS1_37wrapped_merge_sort_block_merge_configINS0_14default_configE6__halfN2at4cuda3cub6detail10OpaqueTypeILi8EEEEEPS5_jNS1_19radix_merge_compareILb0ELb0ES5_NS0_19identity_decomposerEEEEEvT0_T1_jPSI_T2_SI_,"axG",@progbits,_ZN7rocprim17ROCPRIM_304000_NS6detail45device_block_merge_mergepath_partition_kernelINS1_37wrapped_merge_sort_block_merge_configINS0_14default_configE6__halfN2at4cuda3cub6detail10OpaqueTypeILi8EEEEEPS5_jNS1_19radix_merge_compareILb0ELb0ES5_NS0_19identity_decomposerEEEEEvT0_T1_jPSI_T2_SI_,comdat
.Lfunc_end194:
	.size	_ZN7rocprim17ROCPRIM_304000_NS6detail45device_block_merge_mergepath_partition_kernelINS1_37wrapped_merge_sort_block_merge_configINS0_14default_configE6__halfN2at4cuda3cub6detail10OpaqueTypeILi8EEEEEPS5_jNS1_19radix_merge_compareILb0ELb0ES5_NS0_19identity_decomposerEEEEEvT0_T1_jPSI_T2_SI_, .Lfunc_end194-_ZN7rocprim17ROCPRIM_304000_NS6detail45device_block_merge_mergepath_partition_kernelINS1_37wrapped_merge_sort_block_merge_configINS0_14default_configE6__halfN2at4cuda3cub6detail10OpaqueTypeILi8EEEEEPS5_jNS1_19radix_merge_compareILb0ELb0ES5_NS0_19identity_decomposerEEEEEvT0_T1_jPSI_T2_SI_
                                        ; -- End function
	.set _ZN7rocprim17ROCPRIM_304000_NS6detail45device_block_merge_mergepath_partition_kernelINS1_37wrapped_merge_sort_block_merge_configINS0_14default_configE6__halfN2at4cuda3cub6detail10OpaqueTypeILi8EEEEEPS5_jNS1_19radix_merge_compareILb0ELb0ES5_NS0_19identity_decomposerEEEEEvT0_T1_jPSI_T2_SI_.num_vgpr, 17
	.set _ZN7rocprim17ROCPRIM_304000_NS6detail45device_block_merge_mergepath_partition_kernelINS1_37wrapped_merge_sort_block_merge_configINS0_14default_configE6__halfN2at4cuda3cub6detail10OpaqueTypeILi8EEEEEPS5_jNS1_19radix_merge_compareILb0ELb0ES5_NS0_19identity_decomposerEEEEEvT0_T1_jPSI_T2_SI_.num_agpr, 0
	.set _ZN7rocprim17ROCPRIM_304000_NS6detail45device_block_merge_mergepath_partition_kernelINS1_37wrapped_merge_sort_block_merge_configINS0_14default_configE6__halfN2at4cuda3cub6detail10OpaqueTypeILi8EEEEEPS5_jNS1_19radix_merge_compareILb0ELb0ES5_NS0_19identity_decomposerEEEEEvT0_T1_jPSI_T2_SI_.numbered_sgpr, 8
	.set _ZN7rocprim17ROCPRIM_304000_NS6detail45device_block_merge_mergepath_partition_kernelINS1_37wrapped_merge_sort_block_merge_configINS0_14default_configE6__halfN2at4cuda3cub6detail10OpaqueTypeILi8EEEEEPS5_jNS1_19radix_merge_compareILb0ELb0ES5_NS0_19identity_decomposerEEEEEvT0_T1_jPSI_T2_SI_.num_named_barrier, 0
	.set _ZN7rocprim17ROCPRIM_304000_NS6detail45device_block_merge_mergepath_partition_kernelINS1_37wrapped_merge_sort_block_merge_configINS0_14default_configE6__halfN2at4cuda3cub6detail10OpaqueTypeILi8EEEEEPS5_jNS1_19radix_merge_compareILb0ELb0ES5_NS0_19identity_decomposerEEEEEvT0_T1_jPSI_T2_SI_.private_seg_size, 0
	.set _ZN7rocprim17ROCPRIM_304000_NS6detail45device_block_merge_mergepath_partition_kernelINS1_37wrapped_merge_sort_block_merge_configINS0_14default_configE6__halfN2at4cuda3cub6detail10OpaqueTypeILi8EEEEEPS5_jNS1_19radix_merge_compareILb0ELb0ES5_NS0_19identity_decomposerEEEEEvT0_T1_jPSI_T2_SI_.uses_vcc, 1
	.set _ZN7rocprim17ROCPRIM_304000_NS6detail45device_block_merge_mergepath_partition_kernelINS1_37wrapped_merge_sort_block_merge_configINS0_14default_configE6__halfN2at4cuda3cub6detail10OpaqueTypeILi8EEEEEPS5_jNS1_19radix_merge_compareILb0ELb0ES5_NS0_19identity_decomposerEEEEEvT0_T1_jPSI_T2_SI_.uses_flat_scratch, 0
	.set _ZN7rocprim17ROCPRIM_304000_NS6detail45device_block_merge_mergepath_partition_kernelINS1_37wrapped_merge_sort_block_merge_configINS0_14default_configE6__halfN2at4cuda3cub6detail10OpaqueTypeILi8EEEEEPS5_jNS1_19radix_merge_compareILb0ELb0ES5_NS0_19identity_decomposerEEEEEvT0_T1_jPSI_T2_SI_.has_dyn_sized_stack, 0
	.set _ZN7rocprim17ROCPRIM_304000_NS6detail45device_block_merge_mergepath_partition_kernelINS1_37wrapped_merge_sort_block_merge_configINS0_14default_configE6__halfN2at4cuda3cub6detail10OpaqueTypeILi8EEEEEPS5_jNS1_19radix_merge_compareILb0ELb0ES5_NS0_19identity_decomposerEEEEEvT0_T1_jPSI_T2_SI_.has_recursion, 0
	.set _ZN7rocprim17ROCPRIM_304000_NS6detail45device_block_merge_mergepath_partition_kernelINS1_37wrapped_merge_sort_block_merge_configINS0_14default_configE6__halfN2at4cuda3cub6detail10OpaqueTypeILi8EEEEEPS5_jNS1_19radix_merge_compareILb0ELb0ES5_NS0_19identity_decomposerEEEEEvT0_T1_jPSI_T2_SI_.has_indirect_call, 0
	.section	.AMDGPU.csdata,"",@progbits
; Kernel info:
; codeLenInByte = 396
; TotalNumSgprs: 14
; NumVgprs: 17
; NumAgprs: 0
; TotalNumVgprs: 17
; ScratchSize: 0
; MemoryBound: 0
; FloatMode: 240
; IeeeMode: 1
; LDSByteSize: 0 bytes/workgroup (compile time only)
; SGPRBlocks: 1
; VGPRBlocks: 2
; NumSGPRsForWavesPerEU: 14
; NumVGPRsForWavesPerEU: 17
; AccumOffset: 20
; Occupancy: 8
; WaveLimiterHint : 0
; COMPUTE_PGM_RSRC2:SCRATCH_EN: 0
; COMPUTE_PGM_RSRC2:USER_SGPR: 2
; COMPUTE_PGM_RSRC2:TRAP_HANDLER: 0
; COMPUTE_PGM_RSRC2:TGID_X_EN: 1
; COMPUTE_PGM_RSRC2:TGID_Y_EN: 0
; COMPUTE_PGM_RSRC2:TGID_Z_EN: 0
; COMPUTE_PGM_RSRC2:TIDIG_COMP_CNT: 0
; COMPUTE_PGM_RSRC3_GFX90A:ACCUM_OFFSET: 4
; COMPUTE_PGM_RSRC3_GFX90A:TG_SPLIT: 0
	.section	.text._ZN7rocprim17ROCPRIM_304000_NS6detail35device_block_merge_mergepath_kernelINS1_37wrapped_merge_sort_block_merge_configINS0_14default_configE6__halfN2at4cuda3cub6detail10OpaqueTypeILi8EEEEEPS5_SD_PSB_SE_jNS1_19radix_merge_compareILb0ELb0ES5_NS0_19identity_decomposerEEEEEvT0_T1_T2_T3_T4_SM_jT5_PKSM_NS1_7vsmem_tE,"axG",@progbits,_ZN7rocprim17ROCPRIM_304000_NS6detail35device_block_merge_mergepath_kernelINS1_37wrapped_merge_sort_block_merge_configINS0_14default_configE6__halfN2at4cuda3cub6detail10OpaqueTypeILi8EEEEEPS5_SD_PSB_SE_jNS1_19radix_merge_compareILb0ELb0ES5_NS0_19identity_decomposerEEEEEvT0_T1_T2_T3_T4_SM_jT5_PKSM_NS1_7vsmem_tE,comdat
	.protected	_ZN7rocprim17ROCPRIM_304000_NS6detail35device_block_merge_mergepath_kernelINS1_37wrapped_merge_sort_block_merge_configINS0_14default_configE6__halfN2at4cuda3cub6detail10OpaqueTypeILi8EEEEEPS5_SD_PSB_SE_jNS1_19radix_merge_compareILb0ELb0ES5_NS0_19identity_decomposerEEEEEvT0_T1_T2_T3_T4_SM_jT5_PKSM_NS1_7vsmem_tE ; -- Begin function _ZN7rocprim17ROCPRIM_304000_NS6detail35device_block_merge_mergepath_kernelINS1_37wrapped_merge_sort_block_merge_configINS0_14default_configE6__halfN2at4cuda3cub6detail10OpaqueTypeILi8EEEEEPS5_SD_PSB_SE_jNS1_19radix_merge_compareILb0ELb0ES5_NS0_19identity_decomposerEEEEEvT0_T1_T2_T3_T4_SM_jT5_PKSM_NS1_7vsmem_tE
	.globl	_ZN7rocprim17ROCPRIM_304000_NS6detail35device_block_merge_mergepath_kernelINS1_37wrapped_merge_sort_block_merge_configINS0_14default_configE6__halfN2at4cuda3cub6detail10OpaqueTypeILi8EEEEEPS5_SD_PSB_SE_jNS1_19radix_merge_compareILb0ELb0ES5_NS0_19identity_decomposerEEEEEvT0_T1_T2_T3_T4_SM_jT5_PKSM_NS1_7vsmem_tE
	.p2align	8
	.type	_ZN7rocprim17ROCPRIM_304000_NS6detail35device_block_merge_mergepath_kernelINS1_37wrapped_merge_sort_block_merge_configINS0_14default_configE6__halfN2at4cuda3cub6detail10OpaqueTypeILi8EEEEEPS5_SD_PSB_SE_jNS1_19radix_merge_compareILb0ELb0ES5_NS0_19identity_decomposerEEEEEvT0_T1_T2_T3_T4_SM_jT5_PKSM_NS1_7vsmem_tE,@function
_ZN7rocprim17ROCPRIM_304000_NS6detail35device_block_merge_mergepath_kernelINS1_37wrapped_merge_sort_block_merge_configINS0_14default_configE6__halfN2at4cuda3cub6detail10OpaqueTypeILi8EEEEEPS5_SD_PSB_SE_jNS1_19radix_merge_compareILb0ELb0ES5_NS0_19identity_decomposerEEEEEvT0_T1_T2_T3_T4_SM_jT5_PKSM_NS1_7vsmem_tE: ; @_ZN7rocprim17ROCPRIM_304000_NS6detail35device_block_merge_mergepath_kernelINS1_37wrapped_merge_sort_block_merge_configINS0_14default_configE6__halfN2at4cuda3cub6detail10OpaqueTypeILi8EEEEEPS5_SD_PSB_SE_jNS1_19radix_merge_compareILb0ELb0ES5_NS0_19identity_decomposerEEEEEvT0_T1_T2_T3_T4_SM_jT5_PKSM_NS1_7vsmem_tE
; %bb.0:
	s_load_dwordx2 s[26:27], s[0:1], 0x40
	s_load_dwordx4 s[12:15], s[0:1], 0x20
	s_add_u32 s24, s0, 64
	s_addc_u32 s25, s1, 0
	s_waitcnt lgkmcnt(0)
	s_mul_i32 s4, s27, s4
	s_add_i32 s3, s4, s3
	s_mul_i32 s3, s3, s26
	s_add_i32 s22, s3, s2
	s_cmp_ge_u32 s22, s14
	s_cbranch_scc1 .LBB195_83
; %bb.1:
	s_load_dwordx8 s[4:11], s[0:1], 0x0
	s_load_dwordx2 s[14:15], s[0:1], 0x30
	s_lshr_b32 s27, s12, 10
	s_cmp_lg_u32 s22, s27
	s_mov_b32 s23, 0
	s_cselect_b64 s[16:17], -1, 0
	s_lshl_b64 s[0:1], s[22:23], 2
	s_waitcnt lgkmcnt(0)
	s_add_u32 s0, s14, s0
	s_addc_u32 s1, s15, s1
	s_load_dwordx2 s[18:19], s[0:1], 0x0
	s_lshr_b32 s0, s13, 9
	s_and_b32 s0, s0, 0x7ffffe
	s_sub_i32 s0, 0, s0
	s_and_b32 s1, s22, s0
	s_lshl_b32 s3, s1, 10
	s_lshl_b32 s14, s22, 10
	s_lshl_b32 s1, s1, 11
	s_sub_i32 s15, s14, s3
	s_add_i32 s1, s1, s13
	s_add_i32 s15, s1, s15
	s_waitcnt lgkmcnt(0)
	s_sub_i32 s20, s15, s18
	s_sub_i32 s15, s15, s19
	;; [unrolled: 1-line block ×3, first 2 shown]
	s_min_u32 s20, s12, s20
	s_addk_i32 s15, 0x400
	s_or_b32 s0, s22, s0
	s_min_u32 s3, s12, s1
	s_add_i32 s1, s1, s13
	s_cmp_eq_u32 s0, -1
	s_cselect_b32 s0, s1, s15
	s_cselect_b32 s1, s3, s19
	s_min_u32 s0, s0, s12
	s_mov_b32 s19, s23
	s_sub_i32 s15, s1, s18
	s_sub_i32 s30, s0, s20
	s_lshl_b64 s[0:1], s[18:19], 1
	s_add_u32 s0, s4, s0
	s_mov_b32 s21, s23
	s_addc_u32 s1, s5, s1
	s_lshl_b64 s[28:29], s[20:21], 1
	s_add_u32 s4, s4, s28
	s_addc_u32 s5, s5, s29
	s_cmp_lt_u32 s2, s26
	v_mov_b32_e32 v3, 0
	s_cselect_b32 s2, 12, 18
	global_load_dword v1, v3, s[24:25] offset:14
	s_add_u32 s2, s24, s2
	s_addc_u32 s3, s25, 0
	global_load_ushort v2, v3, s[2:3]
	v_cmp_gt_u32_e32 vcc, s15, v0
	s_cmp_eq_u32 s22, s27
	s_waitcnt vmcnt(1)
	v_lshrrev_b32_e32 v4, 16, v1
	v_and_b32_e32 v1, 0xffff, v1
	v_mul_lo_u32 v1, v1, v4
	s_waitcnt vmcnt(0)
	v_mul_lo_u32 v1, v1, v2
	v_lshlrev_b32_e32 v2, 1, v0
	v_add_u32_e32 v4, v1, v0
	s_cbranch_scc1 .LBB195_3
; %bb.2:
	v_subrev_u32_e32 v5, s15, v0
	v_lshlrev_b32_e32 v8, 1, v5
	v_mov_b32_e32 v9, v3
	v_lshl_add_u64 v[6:7], s[0:1], 0, v[2:3]
	v_lshl_add_u64 v[8:9], s[4:5], 0, v[8:9]
	v_cndmask_b32_e32 v7, v9, v7, vcc
	v_cndmask_b32_e32 v6, v8, v6, vcc
	v_mov_b32_e32 v5, v3
	v_subrev_co_u32_e32 v8, vcc, s15, v4
	v_mov_b32_e32 v9, v3
	global_load_ushort v10, v[6:7], off
	v_lshl_add_u64 v[6:7], v[4:5], 1, s[0:1]
	v_lshl_add_u64 v[8:9], v[8:9], 1, s[4:5]
	v_cndmask_b32_e32 v7, v9, v7, vcc
	v_cndmask_b32_e32 v6, v8, v6, vcc
	global_load_ushort v11, v[6:7], off
	v_add_u32_e32 v6, v4, v1
	v_mov_b32_e32 v7, v3
	v_subrev_co_u32_e32 v12, vcc, s15, v6
	v_mov_b32_e32 v13, v3
	v_lshl_add_u64 v[8:9], v[6:7], 1, s[0:1]
	v_lshl_add_u64 v[12:13], v[12:13], 1, s[4:5]
	v_cndmask_b32_e32 v9, v13, v9, vcc
	v_cndmask_b32_e32 v8, v12, v8, vcc
	v_add_u32_e32 v6, v6, v1
	global_load_ushort v12, v[8:9], off
	v_lshl_add_u64 v[8:9], v[6:7], 1, s[0:1]
	v_subrev_co_u32_e32 v6, vcc, s15, v6
	v_lshl_add_u64 v[6:7], v[6:7], 1, s[4:5]
	s_nop 0
	v_cndmask_b32_e32 v7, v7, v9, vcc
	v_cndmask_b32_e32 v6, v6, v8, vcc
	global_load_ushort v3, v[6:7], off
	s_add_i32 s13, s30, s15
	s_cbranch_execz .LBB195_4
	s_branch .LBB195_13
.LBB195_3:
                                        ; implicit-def: $vgpr3
                                        ; implicit-def: $vgpr12
                                        ; implicit-def: $vgpr11
                                        ; implicit-def: $vgpr10
                                        ; implicit-def: $sgpr13
.LBB195_4:
	s_add_i32 s13, s30, s15
	v_cmp_gt_u32_e32 vcc, s13, v0
                                        ; implicit-def: $vgpr10
	s_and_saveexec_b64 s[2:3], vcc
	s_cbranch_execz .LBB195_6
; %bb.5:
	s_waitcnt vmcnt(0)
	v_mov_b32_e32 v3, 0
	v_subrev_u32_e32 v5, s15, v0
	v_lshlrev_b32_e32 v8, 1, v5
	v_mov_b32_e32 v9, v3
	v_lshl_add_u64 v[6:7], s[0:1], 0, v[2:3]
	v_lshl_add_u64 v[8:9], s[4:5], 0, v[8:9]
	v_cmp_gt_u32_e32 vcc, s15, v0
	s_nop 1
	v_cndmask_b32_e32 v7, v9, v7, vcc
	v_cndmask_b32_e32 v6, v8, v6, vcc
	global_load_ushort v10, v[6:7], off
.LBB195_6:
	s_or_b64 exec, exec, s[2:3]
	v_cmp_gt_u32_e32 vcc, s13, v4
                                        ; implicit-def: $vgpr11
	s_and_saveexec_b64 s[2:3], vcc
	s_cbranch_execz .LBB195_8
; %bb.7:
	v_mov_b32_e32 v5, 0
	v_subrev_co_u32_e32 v8, vcc, s15, v4
	v_mov_b32_e32 v9, v5
	v_lshl_add_u64 v[6:7], v[4:5], 1, s[0:1]
	v_lshl_add_u64 v[8:9], v[8:9], 1, s[4:5]
	v_cndmask_b32_e32 v7, v9, v7, vcc
	v_cndmask_b32_e32 v6, v8, v6, vcc
	global_load_ushort v11, v[6:7], off
.LBB195_8:
	s_or_b64 exec, exec, s[2:3]
	v_add_u32_e32 v4, v4, v1
	v_cmp_gt_u32_e32 vcc, s13, v4
                                        ; implicit-def: $vgpr12
	s_and_saveexec_b64 s[2:3], vcc
	s_cbranch_execz .LBB195_10
; %bb.9:
	v_mov_b32_e32 v5, 0
	v_subrev_co_u32_e32 v8, vcc, s15, v4
	v_mov_b32_e32 v9, v5
	v_lshl_add_u64 v[6:7], v[4:5], 1, s[0:1]
	v_lshl_add_u64 v[8:9], v[8:9], 1, s[4:5]
	v_cndmask_b32_e32 v7, v9, v7, vcc
	v_cndmask_b32_e32 v6, v8, v6, vcc
	global_load_ushort v12, v[6:7], off
.LBB195_10:
	s_or_b64 exec, exec, s[2:3]
	v_add_u32_e32 v4, v4, v1
	v_cmp_gt_u32_e32 vcc, s13, v4
                                        ; implicit-def: $vgpr3
	s_and_saveexec_b64 s[2:3], vcc
	s_cbranch_execz .LBB195_12
; %bb.11:
	v_mov_b32_e32 v5, 0
	v_lshl_add_u64 v[6:7], v[4:5], 1, s[0:1]
	v_subrev_co_u32_e32 v4, vcc, s15, v4
	v_lshl_add_u64 v[4:5], v[4:5], 1, s[4:5]
	s_nop 0
	v_cndmask_b32_e32 v5, v5, v7, vcc
	v_cndmask_b32_e32 v4, v4, v6, vcc
	global_load_ushort v3, v[4:5], off
.LBB195_12:
	s_or_b64 exec, exec, s[2:3]
.LBB195_13:
	v_lshlrev_b32_e32 v1, 2, v0
	v_min_u32_e32 v4, s13, v1
	v_sub_u32_e64 v5, v4, s30 clamp
	v_min_u32_e32 v6, s15, v4
	v_cmp_lt_u32_e32 vcc, v5, v6
	s_waitcnt vmcnt(0)
	ds_write_b16 v2, v10
	ds_write_b16 v2, v11 offset:512
	ds_write_b16 v2, v12 offset:1024
	;; [unrolled: 1-line block ×3, first 2 shown]
	s_waitcnt lgkmcnt(0)
	s_barrier
	s_and_saveexec_b64 s[0:1], vcc
	s_cbranch_execz .LBB195_17
; %bb.14:
	v_lshlrev_b32_e32 v7, 1, v4
	v_lshl_add_u32 v7, s15, 1, v7
	s_mov_b64 s[2:3], 0
	s_movk_i32 s4, 0x8000
	v_mov_b32_e32 v8, 0xffff8000
.LBB195_15:                             ; =>This Inner Loop Header: Depth=1
	v_add_u32_e32 v9, v6, v5
	v_lshrrev_b32_e32 v13, 1, v9
	v_and_b32_e32 v9, -2, v9
	ds_read_u16 v9, v9
	v_not_b32_e32 v14, v13
	v_lshl_add_u32 v14, v14, 1, v7
	ds_read_u16 v14, v14
	v_add_u32_e32 v15, 1, v13
	s_waitcnt lgkmcnt(1)
	v_cmp_ne_u16_e32 vcc, s4, v9
	s_nop 1
	v_cndmask_b32_e32 v9, 0, v9, vcc
	v_cmp_lt_i16_e32 vcc, -1, v9
	s_nop 1
	v_cndmask_b32_e32 v16, -1, v8, vcc
	s_waitcnt lgkmcnt(0)
	v_cmp_ne_u16_e32 vcc, s4, v14
	v_xor_b32_e32 v9, v16, v9
	s_nop 0
	v_cndmask_b32_e32 v14, 0, v14, vcc
	v_cmp_lt_i16_e32 vcc, -1, v14
	s_nop 1
	v_cndmask_b32_e32 v16, -1, v8, vcc
	v_xor_b32_e32 v14, v16, v14
	v_cmp_gt_u16_e32 vcc, v9, v14
	s_nop 1
	v_cndmask_b32_e32 v6, v6, v13, vcc
	v_cndmask_b32_e32 v5, v15, v5, vcc
	v_cmp_ge_u32_e32 vcc, v5, v6
	s_or_b64 s[2:3], vcc, s[2:3]
	s_andn2_b64 exec, exec, s[2:3]
	s_cbranch_execnz .LBB195_15
; %bb.16:
	s_or_b64 exec, exec, s[2:3]
.LBB195_17:
	s_or_b64 exec, exec, s[0:1]
	v_sub_u32_e32 v4, v4, v5
	v_add_u32_e32 v8, s15, v4
	v_cmp_ge_u32_e32 vcc, s15, v5
	v_cmp_ge_u32_e64 s[0:1], s13, v8
	s_or_b64 s[0:1], vcc, s[0:1]
	v_mov_b32_e32 v16, 0
	v_mov_b32_e32 v15, 0
	;; [unrolled: 1-line block ×4, first 2 shown]
	s_and_saveexec_b64 s[2:3], s[0:1]
	s_cbranch_execz .LBB195_37
; %bb.18:
	v_cmp_le_u32_e32 vcc, s15, v5
	v_cmp_gt_u32_e64 s[0:1], s15, v5
                                        ; implicit-def: $vgpr3
	s_and_saveexec_b64 s[4:5], s[0:1]
; %bb.19:
	v_lshlrev_b32_e32 v3, 1, v5
	ds_read_u16 v3, v3
; %bb.20:
	s_or_b64 exec, exec, s[4:5]
	v_cmp_le_u32_e64 s[4:5], s13, v8
	v_cmp_gt_u32_e64 s[0:1], s13, v8
                                        ; implicit-def: $vgpr4
	s_and_saveexec_b64 s[22:23], s[0:1]
; %bb.21:
	v_lshlrev_b32_e32 v4, 1, v8
	ds_read_u16 v4, v4
; %bb.22:
	s_or_b64 exec, exec, s[22:23]
	s_nor_b64 s[22:23], vcc, s[4:5]
	s_and_saveexec_b64 s[0:1], s[22:23]
	s_cbranch_execz .LBB195_24
; %bb.23:
	s_movk_i32 s22, 0x8000
	s_waitcnt lgkmcnt(0)
	v_cmp_ne_u16_e32 vcc, s22, v3
	v_mov_b32_e32 v9, 0xffff8000
	s_andn2_b64 s[4:5], s[4:5], exec
	v_cndmask_b32_e32 v6, 0, v3, vcc
	v_cmp_ne_u16_e32 vcc, s22, v4
	s_nop 1
	v_cndmask_b32_e32 v7, 0, v4, vcc
	v_cmp_lt_i16_e32 vcc, -1, v6
	s_nop 1
	v_cndmask_b32_e32 v10, -1, v9, vcc
	v_cmp_lt_i16_e32 vcc, -1, v7
	v_xor_b32_e32 v6, v10, v6
	s_nop 0
	v_cndmask_b32_e32 v9, -1, v9, vcc
	v_xor_b32_e32 v7, v9, v7
	v_cmp_le_u16_e32 vcc, v6, v7
	s_and_b64 s[22:23], vcc, exec
	s_or_b64 s[4:5], s[4:5], s[22:23]
.LBB195_24:
	s_or_b64 exec, exec, s[0:1]
	v_mov_b32_e32 v6, s13
	v_mov_b32_e32 v7, s15
	v_cndmask_b32_e64 v13, v8, v5, s[4:5]
	v_cndmask_b32_e64 v6, v6, v7, s[4:5]
	v_add_u32_e32 v10, 1, v13
	v_add_u32_e32 v6, -1, v6
	v_min_u32_e32 v6, v10, v6
	v_lshlrev_b32_e32 v6, 1, v6
	ds_read_u16 v7, v6
	v_cndmask_b32_e64 v9, v10, v8, s[4:5]
	v_cndmask_b32_e64 v10, v5, v10, s[4:5]
	v_cmp_gt_u32_e32 vcc, s13, v9
	s_mov_b64 s[22:23], -1
	s_waitcnt lgkmcnt(0)
	v_cndmask_b32_e64 v6, v7, v4, s[4:5]
	v_cndmask_b32_e64 v7, v3, v7, s[4:5]
	s_mov_b64 s[0:1], -1
	s_and_saveexec_b64 s[24:25], vcc
	s_cbranch_execz .LBB195_28
; %bb.25:
	v_cmp_gt_u32_e32 vcc, s15, v10
	s_mov_b64 s[26:27], 0
	s_and_saveexec_b64 s[0:1], vcc
	s_cbranch_execz .LBB195_27
; %bb.26:
	s_movk_i32 s26, 0x8000
	v_cmp_ne_u16_e32 vcc, s26, v7
	v_mov_b32_e32 v11, 0xffff8000
	s_nop 0
	v_cndmask_b32_e32 v5, 0, v7, vcc
	v_cmp_ne_u16_e32 vcc, s26, v6
	s_nop 1
	v_cndmask_b32_e32 v8, 0, v6, vcc
	v_cmp_lt_i16_e32 vcc, -1, v5
	s_nop 1
	v_cndmask_b32_e32 v12, -1, v11, vcc
	v_cmp_lt_i16_e32 vcc, -1, v8
	v_xor_b32_e32 v5, v12, v5
	s_nop 0
	v_cndmask_b32_e32 v11, -1, v11, vcc
	v_xor_b32_e32 v8, v11, v8
	v_cmp_le_u16_e32 vcc, v5, v8
	s_and_b64 s[26:27], vcc, exec
.LBB195_27:
	s_or_b64 exec, exec, s[0:1]
	s_orn2_b64 s[0:1], s[26:27], exec
.LBB195_28:
	s_or_b64 exec, exec, s[24:25]
	v_mov_b32_e32 v5, s13
	v_mov_b32_e32 v8, s15
	v_cndmask_b32_e64 v14, v9, v10, s[0:1]
	v_cndmask_b32_e64 v5, v5, v8, s[0:1]
	v_add_u32_e32 v11, 1, v14
	v_add_u32_e32 v5, -1, v5
	v_min_u32_e32 v5, v11, v5
	v_lshlrev_b32_e32 v5, 1, v5
	ds_read_u16 v8, v5
	v_cndmask_b32_e64 v9, v11, v9, s[0:1]
	v_cndmask_b32_e64 v10, v10, v11, s[0:1]
	v_cmp_gt_u32_e32 vcc, s13, v9
	s_waitcnt lgkmcnt(0)
	v_cndmask_b32_e64 v5, v8, v6, s[0:1]
	v_cndmask_b32_e64 v8, v7, v8, s[0:1]
	s_and_saveexec_b64 s[24:25], vcc
	s_cbranch_execz .LBB195_32
; %bb.29:
	v_cmp_gt_u32_e32 vcc, s15, v10
	s_mov_b64 s[26:27], 0
	s_and_saveexec_b64 s[22:23], vcc
	s_cbranch_execz .LBB195_31
; %bb.30:
	s_movk_i32 s26, 0x8000
	v_cmp_ne_u16_e32 vcc, s26, v8
	v_mov_b32_e32 v15, 0xffff8000
	s_nop 0
	v_cndmask_b32_e32 v11, 0, v8, vcc
	v_cmp_ne_u16_e32 vcc, s26, v5
	s_nop 1
	v_cndmask_b32_e32 v12, 0, v5, vcc
	v_cmp_lt_i16_e32 vcc, -1, v11
	s_nop 1
	v_cndmask_b32_e32 v16, -1, v15, vcc
	v_cmp_lt_i16_e32 vcc, -1, v12
	v_xor_b32_e32 v11, v16, v11
	s_nop 0
	v_cndmask_b32_e32 v15, -1, v15, vcc
	v_xor_b32_e32 v12, v15, v12
	v_cmp_le_u16_e32 vcc, v11, v12
	s_and_b64 s[26:27], vcc, exec
.LBB195_31:
	s_or_b64 exec, exec, s[22:23]
	s_orn2_b64 s[22:23], s[26:27], exec
.LBB195_32:
	s_or_b64 exec, exec, s[24:25]
	v_mov_b32_e32 v11, s13
	v_mov_b32_e32 v12, s15
	v_cndmask_b32_e64 v15, v9, v10, s[22:23]
	v_cndmask_b32_e64 v11, v11, v12, s[22:23]
	v_add_u32_e32 v12, 1, v15
	v_add_u32_e32 v11, -1, v11
	v_min_u32_e32 v11, v12, v11
	v_lshlrev_b32_e32 v11, 1, v11
	ds_read_u16 v11, v11
	v_cndmask_b32_e64 v9, v12, v9, s[22:23]
	v_cndmask_b32_e64 v16, v10, v12, s[22:23]
	v_cmp_gt_u32_e32 vcc, s13, v9
	s_mov_b64 s[26:27], -1
	s_waitcnt lgkmcnt(0)
	v_cndmask_b32_e64 v17, v11, v5, s[22:23]
	v_cndmask_b32_e64 v18, v8, v11, s[22:23]
	s_and_saveexec_b64 s[24:25], vcc
	s_cbranch_execz .LBB195_36
; %bb.33:
	v_cmp_gt_u32_e32 vcc, s15, v16
	s_mov_b64 s[28:29], 0
	s_and_saveexec_b64 s[26:27], vcc
	s_cbranch_execz .LBB195_35
; %bb.34:
	s_movk_i32 s28, 0x8000
	v_cmp_ne_u16_e32 vcc, s28, v18
	v_mov_b32_e32 v12, 0xffff8000
	s_nop 0
	v_cndmask_b32_e32 v10, 0, v18, vcc
	v_cmp_ne_u16_e32 vcc, s28, v17
	s_nop 1
	v_cndmask_b32_e32 v11, 0, v17, vcc
	v_cmp_lt_i16_e32 vcc, -1, v10
	s_nop 1
	v_cndmask_b32_e32 v19, -1, v12, vcc
	v_cmp_lt_i16_e32 vcc, -1, v11
	v_xor_b32_e32 v10, v19, v10
	s_nop 0
	v_cndmask_b32_e32 v12, -1, v12, vcc
	v_xor_b32_e32 v11, v12, v11
	v_cmp_le_u16_e32 vcc, v10, v11
	s_and_b64 s[28:29], vcc, exec
.LBB195_35:
	s_or_b64 exec, exec, s[26:27]
	s_orn2_b64 s[26:27], s[28:29], exec
.LBB195_36:
	s_or_b64 exec, exec, s[24:25]
	v_cndmask_b32_e64 v12, v5, v8, s[22:23]
	v_cndmask_b32_e64 v11, v6, v7, s[0:1]
	;; [unrolled: 1-line block ×5, first 2 shown]
.LBB195_37:
	s_or_b64 exec, exec, s[2:3]
	s_lshl_b64 s[0:1], s[18:19], 3
	s_add_u32 s24, s8, s0
	s_addc_u32 s25, s9, s1
	s_lshl_b64 s[0:1], s[20:21], 3
	s_add_u32 s22, s8, s0
	v_cndmask_b32_e64 v4, 0, 1, s[16:17]
	v_mov_b32_e32 v5, 0
	s_addc_u32 s23, s9, s1
	v_cmp_gt_u32_e64 s[4:5], s15, v0
	v_cmp_ne_u32_e64 s[0:1], 1, v4
	s_andn2_b64 vcc, exec, s[16:17]
	v_cmp_le_u32_e64 s[2:3], s15, v0
	s_barrier
	s_cbranch_vccnz .LBB195_39
; %bb.38:
	v_subrev_u32_e32 v8, s15, v0
	v_lshlrev_b32_e32 v4, 3, v0
	v_lshlrev_b32_e32 v8, 3, v8
	v_mov_b32_e32 v9, v5
	v_lshl_add_u64 v[6:7], s[24:25], 0, v[4:5]
	v_lshl_add_u64 v[8:9], s[22:23], 0, v[8:9]
	v_cndmask_b32_e64 v7, v9, v7, s[4:5]
	v_cndmask_b32_e64 v6, v8, v6, s[4:5]
	global_load_dwordx2 v[18:19], v[6:7], off
	v_or_b32_e32 v6, 0x100, v0
	v_subrev_u32_e32 v7, s15, v6
	v_min_u32_e32 v8, v6, v7
	v_mov_b32_e32 v17, s23
	v_mov_b32_e32 v24, s25
	v_cmp_gt_u32_e32 vcc, s15, v6
	v_mov_b32_e32 v25, s22
	v_mov_b32_e32 v26, s24
	v_cndmask_b32_e32 v7, v17, v24, vcc
	v_cndmask_b32_e32 v6, v25, v26, vcc
	v_lshlrev_b32_e32 v8, 3, v8
	v_mov_b32_e32 v9, v5
	v_lshl_add_u64 v[6:7], v[6:7], 0, v[8:9]
	global_load_dwordx2 v[20:21], v[6:7], off
	v_or_b32_e32 v6, 0x200, v0
	v_subrev_u32_e32 v7, s15, v6
	v_min_u32_e32 v8, v6, v7
	v_cmp_gt_u32_e32 vcc, s15, v6
	v_lshlrev_b32_e32 v8, 3, v8
	v_or_b32_e32 v5, 0x300, v0
	v_cndmask_b32_e32 v7, v17, v24, vcc
	v_cndmask_b32_e32 v6, v25, v26, vcc
	v_lshl_add_u64 v[6:7], v[6:7], 0, v[8:9]
	global_load_dwordx2 v[22:23], v[6:7], off
	v_subrev_u32_e32 v6, s15, v5
	v_cmp_gt_u32_e32 vcc, s15, v5
	v_min_u32_e32 v8, v5, v6
	s_nop 0
	v_cndmask_b32_e32 v7, v17, v24, vcc
	v_cndmask_b32_e32 v6, v25, v26, vcc
	s_mov_b64 s[4:5], -1
	s_waitcnt vmcnt(1)
	ds_write2st64_b64 v4, v[18:19], v[20:21] offset1:4
	s_waitcnt vmcnt(0)
	ds_write_b64 v4, v[22:23] offset:4096
	s_cbranch_execz .LBB195_40
	s_branch .LBB195_57
.LBB195_39:
	s_mov_b64 s[4:5], 0
                                        ; implicit-def: $vgpr5
                                        ; implicit-def: $vgpr6_vgpr7
                                        ; implicit-def: $vgpr8
.LBB195_40:
	s_and_saveexec_b64 s[4:5], s[2:3]
	s_xor_b64 s[2:3], exec, s[4:5]
	s_cbranch_execz .LBB195_44
; %bb.41:
	v_subrev_u32_e32 v4, s15, v0
	v_cmp_gt_u32_e32 vcc, s30, v4
	s_and_saveexec_b64 s[4:5], vcc
	s_cbranch_execz .LBB195_43
; %bb.42:
	v_lshlrev_b32_e32 v4, 3, v4
	global_load_dwordx2 v[4:5], v4, s[22:23]
	v_mad_u32_u24 v6, v0, 6, v2
	s_waitcnt vmcnt(0)
	ds_write_b64 v6, v[4:5]
.LBB195_43:
	s_or_b64 exec, exec, s[4:5]
.LBB195_44:
	s_or_saveexec_b64 s[2:3], s[2:3]
	v_mad_u32_u24 v6, v0, 6, v2
	s_xor_b64 exec, exec, s[2:3]
	s_cbranch_execz .LBB195_46
; %bb.45:
	v_lshlrev_b32_e32 v4, 3, v0
	global_load_dwordx2 v[4:5], v4, s[24:25]
	s_waitcnt vmcnt(0)
	ds_write_b64 v6, v[4:5]
.LBB195_46:
	s_or_b64 exec, exec, s[2:3]
	v_or_b32_e32 v7, 0x100, v0
	v_cmp_le_u32_e32 vcc, s15, v7
	s_mov_b64 s[2:3], -1
	v_mov_b64_e32 v[4:5], s[18:19]
	s_and_saveexec_b64 s[4:5], vcc
; %bb.47:
	v_subrev_u32_e32 v7, s15, v7
	v_cmp_gt_u32_e32 vcc, s30, v7
	v_mov_b64_e32 v[4:5], s[20:21]
	s_orn2_b64 s[2:3], vcc, exec
; %bb.48:
	s_or_b64 exec, exec, s[4:5]
	s_and_saveexec_b64 s[4:5], s[2:3]
	s_cbranch_execz .LBB195_50
; %bb.49:
	v_lshl_add_u64 v[4:5], v[4:5], 3, s[8:9]
	v_lshlrev_b32_e32 v8, 3, v7
	v_mov_b32_e32 v9, 0
	v_lshl_add_u64 v[4:5], v[4:5], 0, v[8:9]
	global_load_dwordx2 v[4:5], v[4:5], off
	s_waitcnt vmcnt(0)
	ds_write_b64 v6, v[4:5] offset:2048
.LBB195_50:
	s_or_b64 exec, exec, s[4:5]
	v_or_b32_e32 v7, 0x200, v0
	v_cmp_le_u32_e32 vcc, s15, v7
	s_mov_b64 s[2:3], -1
	v_mov_b64_e32 v[4:5], s[18:19]
	s_and_saveexec_b64 s[4:5], vcc
; %bb.51:
	v_subrev_u32_e32 v7, s15, v7
	v_cmp_gt_u32_e32 vcc, s30, v7
	v_mov_b64_e32 v[4:5], s[20:21]
	s_orn2_b64 s[2:3], vcc, exec
; %bb.52:
	s_or_b64 exec, exec, s[4:5]
	s_and_saveexec_b64 s[4:5], s[2:3]
	s_cbranch_execz .LBB195_54
; %bb.53:
	v_lshl_add_u64 v[4:5], v[4:5], 3, s[8:9]
	v_lshlrev_b32_e32 v8, 3, v7
	v_mov_b32_e32 v9, 0
	v_lshl_add_u64 v[4:5], v[4:5], 0, v[8:9]
	global_load_dwordx2 v[4:5], v[4:5], off
	s_waitcnt vmcnt(0)
	ds_write_b64 v6, v[4:5] offset:4096
.LBB195_54:
	s_or_b64 exec, exec, s[4:5]
	v_or_b32_e32 v5, 0x300, v0
	v_cmp_le_u32_e32 vcc, s15, v5
	s_mov_b64 s[4:5], -1
	v_mov_b64_e32 v[6:7], s[24:25]
	v_mov_b32_e32 v8, v5
	s_and_saveexec_b64 s[2:3], vcc
; %bb.55:
	v_subrev_u32_e32 v8, s15, v5
	v_cmp_gt_u32_e32 vcc, s30, v8
	v_mov_b64_e32 v[6:7], s[22:23]
	s_orn2_b64 s[4:5], vcc, exec
; %bb.56:
	s_or_b64 exec, exec, s[2:3]
.LBB195_57:
	s_and_saveexec_b64 s[2:3], s[4:5]
	s_cbranch_execz .LBB195_59
; %bb.58:
	v_mov_b32_e32 v9, 0
	v_lshl_add_u64 v[6:7], v[8:9], 3, v[6:7]
	global_load_dwordx2 v[6:7], v[6:7], off
	v_lshlrev_b32_e32 v4, 3, v5
	s_waitcnt vmcnt(0)
	ds_write_b64 v4, v[6:7]
.LBB195_59:
	s_or_b64 exec, exec, s[2:3]
	s_and_b64 vcc, exec, s[0:1]
	v_add_u32_e32 v4, s14, v1
	s_waitcnt lgkmcnt(0)
	s_barrier
	s_cbranch_vccnz .LBB195_61
; %bb.60:
	v_lshlrev_b32_e32 v5, 3, v13
	v_lshlrev_b32_e32 v6, 3, v14
	;; [unrolled: 1-line block ×3, first 2 shown]
	ds_read_b64 v[18:19], v5
	ds_read_b64 v[20:21], v6
	ds_read_b64 v[6:7], v7
	v_mov_b32_e32 v5, 0
	v_lshl_add_u64 v[8:9], v[4:5], 3, s[10:11]
	s_mov_b64 s[0:1], -1
	s_waitcnt lgkmcnt(1)
	global_store_dwordx4 v[8:9], v[18:21], off
	s_waitcnt lgkmcnt(0)
	global_store_dwordx2 v[8:9], v[6:7], off offset:16
	s_cbranch_execz .LBB195_62
	s_branch .LBB195_71
.LBB195_61:
	s_mov_b64 s[0:1], 0
.LBB195_62:
	v_cmp_gt_u32_e32 vcc, s13, v1
	s_and_saveexec_b64 s[2:3], vcc
	s_cbranch_execz .LBB195_64
; %bb.63:
	v_lshlrev_b32_e32 v5, 3, v13
	ds_read_b64 v[6:7], v5
	v_mov_b32_e32 v5, 0
	v_lshl_add_u64 v[8:9], v[4:5], 3, s[10:11]
	s_waitcnt lgkmcnt(0)
	global_store_dwordx2 v[8:9], v[6:7], off
.LBB195_64:
	s_or_b64 exec, exec, s[2:3]
	v_or_b32_e32 v5, 1, v1
	v_cmp_gt_u32_e32 vcc, s13, v5
	s_and_saveexec_b64 s[2:3], vcc
	s_cbranch_execz .LBB195_66
; %bb.65:
	v_lshlrev_b32_e32 v5, 3, v14
	ds_read_b64 v[6:7], v5
	v_mov_b32_e32 v5, 0
	v_lshl_add_u64 v[8:9], v[4:5], 3, s[10:11]
	s_waitcnt lgkmcnt(0)
	global_store_dwordx2 v[8:9], v[6:7], off offset:8
.LBB195_66:
	s_or_b64 exec, exec, s[2:3]
	v_or_b32_e32 v5, 2, v1
	v_cmp_gt_u32_e32 vcc, s13, v5
	s_and_saveexec_b64 s[2:3], vcc
	s_cbranch_execz .LBB195_68
; %bb.67:
	v_lshlrev_b32_e32 v5, 3, v15
	ds_read_b64 v[6:7], v5
	v_mov_b32_e32 v5, 0
	v_lshl_add_u64 v[8:9], v[4:5], 3, s[10:11]
	s_waitcnt lgkmcnt(0)
	global_store_dwordx2 v[8:9], v[6:7], off offset:16
.LBB195_68:
	s_or_b64 exec, exec, s[2:3]
	v_or_b32_e32 v5, 3, v1
	v_cmp_gt_u32_e32 vcc, s13, v5
	s_and_saveexec_b64 s[2:3], vcc
; %bb.69:
	v_mov_b32_e32 v5, 0
	s_or_b64 s[0:1], s[0:1], exec
; %bb.70:
	s_or_b64 exec, exec, s[2:3]
.LBB195_71:
	s_and_saveexec_b64 s[2:3], s[0:1]
	s_cbranch_execz .LBB195_73
; %bb.72:
	v_lshlrev_b32_e32 v6, 3, v16
	ds_read_b64 v[6:7], v6
	v_lshl_add_u64 v[4:5], v[4:5], 3, s[10:11]
	s_waitcnt lgkmcnt(0)
	global_store_dwordx2 v[4:5], v[6:7], off offset:24
.LBB195_73:
	s_or_b64 exec, exec, s[2:3]
	v_lshrrev_b32_e32 v4, 2, v0
	v_and_b32_e32 v4, 60, v4
	s_mov_b32 s2, 0x5040100
	v_lshl_add_u32 v1, v1, 1, v4
	v_perm_b32 v3, v3, v12, s2
	v_perm_b32 v4, v11, v10, s2
	s_barrier
	s_barrier
	ds_write2_b32 v1, v4, v3 offset1:1
	v_lshrrev_b32_e32 v1, 4, v0
	v_and_b32_e32 v1, 12, v1
	v_or_b32_e32 v5, 0x100, v0
	v_add_u32_e32 v6, v1, v2
	v_lshrrev_b32_e32 v1, 4, v5
	v_and_b32_e32 v1, 28, v1
	v_or_b32_e32 v4, 0x200, v0
	v_add_u32_e32 v7, v1, v2
	v_lshrrev_b32_e32 v1, 4, v4
	v_and_b32_e32 v1, 44, v1
	s_mov_b32 s15, 0
	v_add_u32_e32 v8, v1, v2
	v_or_b32_e32 v1, 0x300, v0
	s_lshl_b64 s[0:1], s[14:15], 1
	v_lshrrev_b32_e32 v3, 4, v1
	s_add_u32 s0, s6, s0
	v_and_b32_e32 v3, 60, v3
	s_addc_u32 s1, s7, s1
	v_add_u32_e32 v9, v3, v2
	v_mov_b32_e32 v3, 0
	v_lshl_add_u64 v[2:3], s[0:1], 0, v[2:3]
	s_and_b64 vcc, exec, s[16:17]
	s_waitcnt lgkmcnt(0)
	s_cbranch_vccz .LBB195_75
; %bb.74:
	s_barrier
	ds_read_u16 v10, v6
	ds_read_u16 v12, v7 offset:512
	ds_read_u16 v13, v8 offset:1024
	;; [unrolled: 1-line block ×3, first 2 shown]
	s_waitcnt lgkmcnt(3)
	global_store_short v[2:3], v10, off
	s_waitcnt lgkmcnt(2)
	global_store_short v[2:3], v12, off offset:512
	s_waitcnt lgkmcnt(1)
	global_store_short v[2:3], v13, off offset:1024
	s_mov_b64 s[0:1], -1
	s_cbranch_execz .LBB195_76
	s_branch .LBB195_81
.LBB195_75:
	s_mov_b64 s[0:1], 0
                                        ; implicit-def: $vgpr11
.LBB195_76:
	s_barrier
	s_waitcnt lgkmcnt(0)
	ds_read_u16 v10, v7 offset:512
	ds_read_u16 v7, v8 offset:1024
	;; [unrolled: 1-line block ×3, first 2 shown]
	s_sub_i32 s2, s12, s14
	v_cmp_gt_u32_e32 vcc, s2, v0
	s_and_saveexec_b64 s[0:1], vcc
	s_cbranch_execnz .LBB195_84
; %bb.77:
	s_or_b64 exec, exec, s[0:1]
	v_cmp_gt_u32_e32 vcc, s2, v5
	s_and_saveexec_b64 s[0:1], vcc
	s_cbranch_execnz .LBB195_85
.LBB195_78:
	s_or_b64 exec, exec, s[0:1]
	v_cmp_gt_u32_e32 vcc, s2, v4
	s_and_saveexec_b64 s[0:1], vcc
	s_cbranch_execz .LBB195_80
.LBB195_79:
	s_waitcnt lgkmcnt(1)
	global_store_short v[2:3], v7, off offset:1024
.LBB195_80:
	s_or_b64 exec, exec, s[0:1]
	v_cmp_gt_u32_e64 s[0:1], s2, v1
.LBB195_81:
	s_and_saveexec_b64 s[2:3], s[0:1]
	s_cbranch_execz .LBB195_83
; %bb.82:
	s_waitcnt lgkmcnt(0)
	global_store_short v[2:3], v11, off offset:1536
.LBB195_83:
	s_endpgm
.LBB195_84:
	ds_read_u16 v0, v6
	s_waitcnt lgkmcnt(0)
	global_store_short v[2:3], v0, off
	s_or_b64 exec, exec, s[0:1]
	v_cmp_gt_u32_e32 vcc, s2, v5
	s_and_saveexec_b64 s[0:1], vcc
	s_cbranch_execz .LBB195_78
.LBB195_85:
	s_waitcnt lgkmcnt(2)
	global_store_short v[2:3], v10, off offset:512
	s_or_b64 exec, exec, s[0:1]
	v_cmp_gt_u32_e32 vcc, s2, v4
	s_and_saveexec_b64 s[0:1], vcc
	s_cbranch_execnz .LBB195_79
	s_branch .LBB195_80
	.section	.rodata,"a",@progbits
	.p2align	6, 0x0
	.amdhsa_kernel _ZN7rocprim17ROCPRIM_304000_NS6detail35device_block_merge_mergepath_kernelINS1_37wrapped_merge_sort_block_merge_configINS0_14default_configE6__halfN2at4cuda3cub6detail10OpaqueTypeILi8EEEEEPS5_SD_PSB_SE_jNS1_19radix_merge_compareILb0ELb0ES5_NS0_19identity_decomposerEEEEEvT0_T1_T2_T3_T4_SM_jT5_PKSM_NS1_7vsmem_tE
		.amdhsa_group_segment_fixed_size 8208
		.amdhsa_private_segment_fixed_size 0
		.amdhsa_kernarg_size 320
		.amdhsa_user_sgpr_count 2
		.amdhsa_user_sgpr_dispatch_ptr 0
		.amdhsa_user_sgpr_queue_ptr 0
		.amdhsa_user_sgpr_kernarg_segment_ptr 1
		.amdhsa_user_sgpr_dispatch_id 0
		.amdhsa_user_sgpr_kernarg_preload_length 0
		.amdhsa_user_sgpr_kernarg_preload_offset 0
		.amdhsa_user_sgpr_private_segment_size 0
		.amdhsa_uses_dynamic_stack 0
		.amdhsa_enable_private_segment 0
		.amdhsa_system_sgpr_workgroup_id_x 1
		.amdhsa_system_sgpr_workgroup_id_y 1
		.amdhsa_system_sgpr_workgroup_id_z 1
		.amdhsa_system_sgpr_workgroup_info 0
		.amdhsa_system_vgpr_workitem_id 0
		.amdhsa_next_free_vgpr 27
		.amdhsa_next_free_sgpr 31
		.amdhsa_accum_offset 28
		.amdhsa_reserve_vcc 1
		.amdhsa_float_round_mode_32 0
		.amdhsa_float_round_mode_16_64 0
		.amdhsa_float_denorm_mode_32 3
		.amdhsa_float_denorm_mode_16_64 3
		.amdhsa_dx10_clamp 1
		.amdhsa_ieee_mode 1
		.amdhsa_fp16_overflow 0
		.amdhsa_tg_split 0
		.amdhsa_exception_fp_ieee_invalid_op 0
		.amdhsa_exception_fp_denorm_src 0
		.amdhsa_exception_fp_ieee_div_zero 0
		.amdhsa_exception_fp_ieee_overflow 0
		.amdhsa_exception_fp_ieee_underflow 0
		.amdhsa_exception_fp_ieee_inexact 0
		.amdhsa_exception_int_div_zero 0
	.end_amdhsa_kernel
	.section	.text._ZN7rocprim17ROCPRIM_304000_NS6detail35device_block_merge_mergepath_kernelINS1_37wrapped_merge_sort_block_merge_configINS0_14default_configE6__halfN2at4cuda3cub6detail10OpaqueTypeILi8EEEEEPS5_SD_PSB_SE_jNS1_19radix_merge_compareILb0ELb0ES5_NS0_19identity_decomposerEEEEEvT0_T1_T2_T3_T4_SM_jT5_PKSM_NS1_7vsmem_tE,"axG",@progbits,_ZN7rocprim17ROCPRIM_304000_NS6detail35device_block_merge_mergepath_kernelINS1_37wrapped_merge_sort_block_merge_configINS0_14default_configE6__halfN2at4cuda3cub6detail10OpaqueTypeILi8EEEEEPS5_SD_PSB_SE_jNS1_19radix_merge_compareILb0ELb0ES5_NS0_19identity_decomposerEEEEEvT0_T1_T2_T3_T4_SM_jT5_PKSM_NS1_7vsmem_tE,comdat
.Lfunc_end195:
	.size	_ZN7rocprim17ROCPRIM_304000_NS6detail35device_block_merge_mergepath_kernelINS1_37wrapped_merge_sort_block_merge_configINS0_14default_configE6__halfN2at4cuda3cub6detail10OpaqueTypeILi8EEEEEPS5_SD_PSB_SE_jNS1_19radix_merge_compareILb0ELb0ES5_NS0_19identity_decomposerEEEEEvT0_T1_T2_T3_T4_SM_jT5_PKSM_NS1_7vsmem_tE, .Lfunc_end195-_ZN7rocprim17ROCPRIM_304000_NS6detail35device_block_merge_mergepath_kernelINS1_37wrapped_merge_sort_block_merge_configINS0_14default_configE6__halfN2at4cuda3cub6detail10OpaqueTypeILi8EEEEEPS5_SD_PSB_SE_jNS1_19radix_merge_compareILb0ELb0ES5_NS0_19identity_decomposerEEEEEvT0_T1_T2_T3_T4_SM_jT5_PKSM_NS1_7vsmem_tE
                                        ; -- End function
	.set _ZN7rocprim17ROCPRIM_304000_NS6detail35device_block_merge_mergepath_kernelINS1_37wrapped_merge_sort_block_merge_configINS0_14default_configE6__halfN2at4cuda3cub6detail10OpaqueTypeILi8EEEEEPS5_SD_PSB_SE_jNS1_19radix_merge_compareILb0ELb0ES5_NS0_19identity_decomposerEEEEEvT0_T1_T2_T3_T4_SM_jT5_PKSM_NS1_7vsmem_tE.num_vgpr, 27
	.set _ZN7rocprim17ROCPRIM_304000_NS6detail35device_block_merge_mergepath_kernelINS1_37wrapped_merge_sort_block_merge_configINS0_14default_configE6__halfN2at4cuda3cub6detail10OpaqueTypeILi8EEEEEPS5_SD_PSB_SE_jNS1_19radix_merge_compareILb0ELb0ES5_NS0_19identity_decomposerEEEEEvT0_T1_T2_T3_T4_SM_jT5_PKSM_NS1_7vsmem_tE.num_agpr, 0
	.set _ZN7rocprim17ROCPRIM_304000_NS6detail35device_block_merge_mergepath_kernelINS1_37wrapped_merge_sort_block_merge_configINS0_14default_configE6__halfN2at4cuda3cub6detail10OpaqueTypeILi8EEEEEPS5_SD_PSB_SE_jNS1_19radix_merge_compareILb0ELb0ES5_NS0_19identity_decomposerEEEEEvT0_T1_T2_T3_T4_SM_jT5_PKSM_NS1_7vsmem_tE.numbered_sgpr, 31
	.set _ZN7rocprim17ROCPRIM_304000_NS6detail35device_block_merge_mergepath_kernelINS1_37wrapped_merge_sort_block_merge_configINS0_14default_configE6__halfN2at4cuda3cub6detail10OpaqueTypeILi8EEEEEPS5_SD_PSB_SE_jNS1_19radix_merge_compareILb0ELb0ES5_NS0_19identity_decomposerEEEEEvT0_T1_T2_T3_T4_SM_jT5_PKSM_NS1_7vsmem_tE.num_named_barrier, 0
	.set _ZN7rocprim17ROCPRIM_304000_NS6detail35device_block_merge_mergepath_kernelINS1_37wrapped_merge_sort_block_merge_configINS0_14default_configE6__halfN2at4cuda3cub6detail10OpaqueTypeILi8EEEEEPS5_SD_PSB_SE_jNS1_19radix_merge_compareILb0ELb0ES5_NS0_19identity_decomposerEEEEEvT0_T1_T2_T3_T4_SM_jT5_PKSM_NS1_7vsmem_tE.private_seg_size, 0
	.set _ZN7rocprim17ROCPRIM_304000_NS6detail35device_block_merge_mergepath_kernelINS1_37wrapped_merge_sort_block_merge_configINS0_14default_configE6__halfN2at4cuda3cub6detail10OpaqueTypeILi8EEEEEPS5_SD_PSB_SE_jNS1_19radix_merge_compareILb0ELb0ES5_NS0_19identity_decomposerEEEEEvT0_T1_T2_T3_T4_SM_jT5_PKSM_NS1_7vsmem_tE.uses_vcc, 1
	.set _ZN7rocprim17ROCPRIM_304000_NS6detail35device_block_merge_mergepath_kernelINS1_37wrapped_merge_sort_block_merge_configINS0_14default_configE6__halfN2at4cuda3cub6detail10OpaqueTypeILi8EEEEEPS5_SD_PSB_SE_jNS1_19radix_merge_compareILb0ELb0ES5_NS0_19identity_decomposerEEEEEvT0_T1_T2_T3_T4_SM_jT5_PKSM_NS1_7vsmem_tE.uses_flat_scratch, 0
	.set _ZN7rocprim17ROCPRIM_304000_NS6detail35device_block_merge_mergepath_kernelINS1_37wrapped_merge_sort_block_merge_configINS0_14default_configE6__halfN2at4cuda3cub6detail10OpaqueTypeILi8EEEEEPS5_SD_PSB_SE_jNS1_19radix_merge_compareILb0ELb0ES5_NS0_19identity_decomposerEEEEEvT0_T1_T2_T3_T4_SM_jT5_PKSM_NS1_7vsmem_tE.has_dyn_sized_stack, 0
	.set _ZN7rocprim17ROCPRIM_304000_NS6detail35device_block_merge_mergepath_kernelINS1_37wrapped_merge_sort_block_merge_configINS0_14default_configE6__halfN2at4cuda3cub6detail10OpaqueTypeILi8EEEEEPS5_SD_PSB_SE_jNS1_19radix_merge_compareILb0ELb0ES5_NS0_19identity_decomposerEEEEEvT0_T1_T2_T3_T4_SM_jT5_PKSM_NS1_7vsmem_tE.has_recursion, 0
	.set _ZN7rocprim17ROCPRIM_304000_NS6detail35device_block_merge_mergepath_kernelINS1_37wrapped_merge_sort_block_merge_configINS0_14default_configE6__halfN2at4cuda3cub6detail10OpaqueTypeILi8EEEEEPS5_SD_PSB_SE_jNS1_19radix_merge_compareILb0ELb0ES5_NS0_19identity_decomposerEEEEEvT0_T1_T2_T3_T4_SM_jT5_PKSM_NS1_7vsmem_tE.has_indirect_call, 0
	.section	.AMDGPU.csdata,"",@progbits
; Kernel info:
; codeLenInByte = 3436
; TotalNumSgprs: 37
; NumVgprs: 27
; NumAgprs: 0
; TotalNumVgprs: 27
; ScratchSize: 0
; MemoryBound: 0
; FloatMode: 240
; IeeeMode: 1
; LDSByteSize: 8208 bytes/workgroup (compile time only)
; SGPRBlocks: 4
; VGPRBlocks: 3
; NumSGPRsForWavesPerEU: 37
; NumVGPRsForWavesPerEU: 27
; AccumOffset: 28
; Occupancy: 8
; WaveLimiterHint : 1
; COMPUTE_PGM_RSRC2:SCRATCH_EN: 0
; COMPUTE_PGM_RSRC2:USER_SGPR: 2
; COMPUTE_PGM_RSRC2:TRAP_HANDLER: 0
; COMPUTE_PGM_RSRC2:TGID_X_EN: 1
; COMPUTE_PGM_RSRC2:TGID_Y_EN: 1
; COMPUTE_PGM_RSRC2:TGID_Z_EN: 1
; COMPUTE_PGM_RSRC2:TIDIG_COMP_CNT: 0
; COMPUTE_PGM_RSRC3_GFX90A:ACCUM_OFFSET: 6
; COMPUTE_PGM_RSRC3_GFX90A:TG_SPLIT: 0
	.section	.text._ZN7rocprim17ROCPRIM_304000_NS6detail33device_block_merge_oddeven_kernelINS1_37wrapped_merge_sort_block_merge_configINS0_14default_configE6__halfN2at4cuda3cub6detail10OpaqueTypeILi8EEEEEPS5_SD_PSB_SE_jNS1_19radix_merge_compareILb0ELb0ES5_NS0_19identity_decomposerEEEEEvT0_T1_T2_T3_T4_SM_T5_,"axG",@progbits,_ZN7rocprim17ROCPRIM_304000_NS6detail33device_block_merge_oddeven_kernelINS1_37wrapped_merge_sort_block_merge_configINS0_14default_configE6__halfN2at4cuda3cub6detail10OpaqueTypeILi8EEEEEPS5_SD_PSB_SE_jNS1_19radix_merge_compareILb0ELb0ES5_NS0_19identity_decomposerEEEEEvT0_T1_T2_T3_T4_SM_T5_,comdat
	.protected	_ZN7rocprim17ROCPRIM_304000_NS6detail33device_block_merge_oddeven_kernelINS1_37wrapped_merge_sort_block_merge_configINS0_14default_configE6__halfN2at4cuda3cub6detail10OpaqueTypeILi8EEEEEPS5_SD_PSB_SE_jNS1_19radix_merge_compareILb0ELb0ES5_NS0_19identity_decomposerEEEEEvT0_T1_T2_T3_T4_SM_T5_ ; -- Begin function _ZN7rocprim17ROCPRIM_304000_NS6detail33device_block_merge_oddeven_kernelINS1_37wrapped_merge_sort_block_merge_configINS0_14default_configE6__halfN2at4cuda3cub6detail10OpaqueTypeILi8EEEEEPS5_SD_PSB_SE_jNS1_19radix_merge_compareILb0ELb0ES5_NS0_19identity_decomposerEEEEEvT0_T1_T2_T3_T4_SM_T5_
	.globl	_ZN7rocprim17ROCPRIM_304000_NS6detail33device_block_merge_oddeven_kernelINS1_37wrapped_merge_sort_block_merge_configINS0_14default_configE6__halfN2at4cuda3cub6detail10OpaqueTypeILi8EEEEEPS5_SD_PSB_SE_jNS1_19radix_merge_compareILb0ELb0ES5_NS0_19identity_decomposerEEEEEvT0_T1_T2_T3_T4_SM_T5_
	.p2align	8
	.type	_ZN7rocprim17ROCPRIM_304000_NS6detail33device_block_merge_oddeven_kernelINS1_37wrapped_merge_sort_block_merge_configINS0_14default_configE6__halfN2at4cuda3cub6detail10OpaqueTypeILi8EEEEEPS5_SD_PSB_SE_jNS1_19radix_merge_compareILb0ELb0ES5_NS0_19identity_decomposerEEEEEvT0_T1_T2_T3_T4_SM_T5_,@function
_ZN7rocprim17ROCPRIM_304000_NS6detail33device_block_merge_oddeven_kernelINS1_37wrapped_merge_sort_block_merge_configINS0_14default_configE6__halfN2at4cuda3cub6detail10OpaqueTypeILi8EEEEEPS5_SD_PSB_SE_jNS1_19radix_merge_compareILb0ELb0ES5_NS0_19identity_decomposerEEEEEvT0_T1_T2_T3_T4_SM_T5_: ; @_ZN7rocprim17ROCPRIM_304000_NS6detail33device_block_merge_oddeven_kernelINS1_37wrapped_merge_sort_block_merge_configINS0_14default_configE6__halfN2at4cuda3cub6detail10OpaqueTypeILi8EEEEEPS5_SD_PSB_SE_jNS1_19radix_merge_compareILb0ELb0ES5_NS0_19identity_decomposerEEEEEvT0_T1_T2_T3_T4_SM_T5_
; %bb.0:
	s_load_dwordx2 s[16:17], s[0:1], 0x20
	s_waitcnt lgkmcnt(0)
	s_lshr_b32 s3, s16, 8
	s_cmp_eq_u32 s2, s3
	s_cselect_b64 s[6:7], -1, 0
	s_cmp_lg_u32 s2, s3
	s_cselect_b64 s[8:9], -1, 0
	s_lshl_b32 s18, s2, 8
	s_sub_i32 s3, s16, s18
	v_cmp_gt_u32_e64 s[4:5], s3, v0
	s_or_b64 s[8:9], s[8:9], s[4:5]
	s_and_saveexec_b64 s[10:11], s[8:9]
	s_cbranch_execz .LBB196_24
; %bb.1:
	s_load_dwordx8 s[8:15], s[0:1], 0x0
	s_mov_b32 s19, 0
	s_lshl_b64 s[0:1], s[18:19], 1
	v_lshlrev_b32_e32 v5, 3, v0
	v_lshlrev_b32_e32 v1, 1, v0
	s_waitcnt lgkmcnt(0)
	s_add_u32 s0, s8, s0
	s_addc_u32 s1, s9, s1
	s_lshl_b64 s[20:21], s[18:19], 3
	s_add_u32 s12, s12, s20
	s_addc_u32 s13, s13, s21
	global_load_dwordx2 v[2:3], v5, s[12:13]
	global_load_ushort v4, v1, s[0:1]
	s_lshr_b32 s0, s17, 8
	s_sub_i32 s1, 0, s0
	s_and_b32 s1, s2, s1
	s_and_b32 s0, s1, s0
	s_lshl_b32 s19, s1, 8
	s_sub_i32 s12, 0, s17
	s_cmp_eq_u32 s0, 0
	s_cselect_b64 s[0:1], -1, 0
	s_and_b64 s[2:3], s[0:1], exec
	s_cselect_b32 s12, s17, s12
	s_add_i32 s12, s12, s19
	s_mov_b64 s[2:3], -1
	s_cmp_gt_u32 s16, s12
	v_add_u32_e32 v0, s18, v0
	s_cbranch_scc1 .LBB196_9
; %bb.2:
	s_and_b64 vcc, exec, s[6:7]
	s_cbranch_vccz .LBB196_6
; %bb.3:
	v_cmp_gt_u32_e32 vcc, s16, v0
	s_and_saveexec_b64 s[2:3], vcc
	s_cbranch_execz .LBB196_5
; %bb.4:
	v_mov_b32_e32 v1, 0
	v_lshl_add_u64 v[8:9], v[0:1], 1, s[10:11]
	v_lshl_add_u64 v[6:7], v[0:1], 3, s[14:15]
	s_waitcnt vmcnt(0)
	global_store_short v[8:9], v4, off
	global_store_dwordx2 v[6:7], v[2:3], off
.LBB196_5:
	s_or_b64 exec, exec, s[2:3]
	s_mov_b64 s[2:3], 0
.LBB196_6:
	s_andn2_b64 vcc, exec, s[2:3]
	s_cbranch_vccnz .LBB196_8
; %bb.7:
	v_mov_b32_e32 v1, 0
	v_lshl_add_u64 v[6:7], v[0:1], 1, s[10:11]
	v_lshl_add_u64 v[8:9], v[0:1], 3, s[14:15]
	s_waitcnt vmcnt(0)
	global_store_short v[6:7], v4, off
	global_store_dwordx2 v[8:9], v[2:3], off
.LBB196_8:
	s_mov_b64 s[2:3], 0
.LBB196_9:
	s_andn2_b64 vcc, exec, s[2:3]
	s_cbranch_vccnz .LBB196_24
; %bb.10:
	s_min_u32 s13, s12, s16
	s_add_i32 s2, s13, s17
	s_min_u32 s16, s2, s16
	s_min_u32 s2, s19, s13
	s_add_i32 s19, s19, s13
	v_subrev_u32_e32 v0, s19, v0
	v_add_u32_e32 v0, s2, v0
	s_movk_i32 s2, 0x8000
	s_waitcnt vmcnt(0)
	v_cmp_ne_u16_e32 vcc, s2, v4
	v_mov_b32_e32 v5, 0xffff8000
	s_mov_b64 s[2:3], -1
	v_cndmask_b32_e32 v1, 0, v4, vcc
	v_cmp_lt_i16_e32 vcc, -1, v1
	s_nop 1
	v_cndmask_b32_e32 v5, -1, v5, vcc
	v_xor_b32_e32 v1, v5, v1
	s_and_b64 vcc, exec, s[6:7]
	s_cbranch_vccz .LBB196_18
; %bb.11:
	s_and_saveexec_b64 s[2:3], s[4:5]
	s_cbranch_execz .LBB196_17
; %bb.12:
	s_cmp_ge_u32 s12, s16
	v_mov_b32_e32 v5, s13
	s_cbranch_scc1 .LBB196_16
; %bb.13:
	s_mov_b64 s[4:5], 0
	v_mov_b32_e32 v6, s16
	v_mov_b32_e32 v5, s13
	s_movk_i32 s6, 0x8000
	v_mov_b32_e32 v7, 0xffff8000
.LBB196_14:                             ; =>This Inner Loop Header: Depth=1
	v_add_u32_e32 v8, v5, v6
	v_and_b32_e32 v9, -2, v8
	global_load_ushort v9, v9, s[8:9]
	v_lshrrev_b32_e32 v8, 1, v8
	v_add_u32_e32 v10, 1, v8
	s_waitcnt vmcnt(0)
	v_cmp_ne_u16_e32 vcc, s6, v9
	s_nop 1
	v_cndmask_b32_e32 v9, 0, v9, vcc
	v_cmp_lt_i16_e32 vcc, -1, v9
	s_nop 1
	v_cndmask_b32_e32 v11, -1, v7, vcc
	v_xor_b32_e32 v9, v11, v9
	v_cmp_gt_u16_e32 vcc, v1, v9
	s_nop 1
	v_cndmask_b32_e64 v11, 0, 1, vcc
	v_cmp_le_u16_e32 vcc, v9, v1
	s_nop 1
	v_cndmask_b32_e64 v9, 0, 1, vcc
	v_cndmask_b32_e64 v9, v9, v11, s[0:1]
	v_and_b32_e32 v9, 1, v9
	v_cmp_eq_u32_e32 vcc, 1, v9
	s_nop 1
	v_cndmask_b32_e32 v6, v8, v6, vcc
	v_cndmask_b32_e32 v5, v5, v10, vcc
	v_cmp_ge_u32_e32 vcc, v5, v6
	s_or_b64 s[4:5], vcc, s[4:5]
	s_andn2_b64 exec, exec, s[4:5]
	s_cbranch_execnz .LBB196_14
; %bb.15:
	s_or_b64 exec, exec, s[4:5]
.LBB196_16:
	v_add_u32_e32 v6, v5, v0
	v_mov_b32_e32 v7, 0
	v_lshl_add_u64 v[8:9], v[6:7], 1, s[10:11]
	v_lshl_add_u64 v[6:7], v[6:7], 3, s[14:15]
	global_store_short v[8:9], v4, off
	global_store_dwordx2 v[6:7], v[2:3], off
.LBB196_17:
	s_or_b64 exec, exec, s[2:3]
	s_mov_b64 s[2:3], 0
.LBB196_18:
	s_andn2_b64 vcc, exec, s[2:3]
	s_cbranch_vccnz .LBB196_24
; %bb.19:
	s_cmp_ge_u32 s12, s16
	v_mov_b32_e32 v5, s13
	s_cbranch_scc1 .LBB196_23
; %bb.20:
	s_mov_b64 s[2:3], 0
	v_mov_b32_e32 v6, s16
	v_mov_b32_e32 v5, s13
	s_movk_i32 s4, 0x8000
	v_mov_b32_e32 v7, 0xffff8000
.LBB196_21:                             ; =>This Inner Loop Header: Depth=1
	v_add_u32_e32 v8, v5, v6
	v_and_b32_e32 v9, -2, v8
	global_load_ushort v9, v9, s[8:9]
	v_lshrrev_b32_e32 v8, 1, v8
	v_add_u32_e32 v10, 1, v8
	s_waitcnt vmcnt(0)
	v_cmp_ne_u16_e32 vcc, s4, v9
	s_nop 1
	v_cndmask_b32_e32 v9, 0, v9, vcc
	v_cmp_lt_i16_e32 vcc, -1, v9
	s_nop 1
	v_cndmask_b32_e32 v11, -1, v7, vcc
	v_xor_b32_e32 v9, v11, v9
	v_cmp_gt_u16_e32 vcc, v1, v9
	s_nop 1
	v_cndmask_b32_e64 v11, 0, 1, vcc
	v_cmp_le_u16_e32 vcc, v9, v1
	s_nop 1
	v_cndmask_b32_e64 v9, 0, 1, vcc
	v_cndmask_b32_e64 v9, v9, v11, s[0:1]
	v_and_b32_e32 v9, 1, v9
	v_cmp_eq_u32_e32 vcc, 1, v9
	s_nop 1
	v_cndmask_b32_e32 v6, v8, v6, vcc
	v_cndmask_b32_e32 v5, v5, v10, vcc
	v_cmp_ge_u32_e32 vcc, v5, v6
	s_or_b64 s[2:3], vcc, s[2:3]
	s_andn2_b64 exec, exec, s[2:3]
	s_cbranch_execnz .LBB196_21
; %bb.22:
	s_or_b64 exec, exec, s[2:3]
.LBB196_23:
	v_add_u32_e32 v0, v5, v0
	v_mov_b32_e32 v1, 0
	v_lshl_add_u64 v[6:7], v[0:1], 1, s[10:11]
	v_lshl_add_u64 v[0:1], v[0:1], 3, s[14:15]
	global_store_short v[6:7], v4, off
	global_store_dwordx2 v[0:1], v[2:3], off
.LBB196_24:
	s_endpgm
	.section	.rodata,"a",@progbits
	.p2align	6, 0x0
	.amdhsa_kernel _ZN7rocprim17ROCPRIM_304000_NS6detail33device_block_merge_oddeven_kernelINS1_37wrapped_merge_sort_block_merge_configINS0_14default_configE6__halfN2at4cuda3cub6detail10OpaqueTypeILi8EEEEEPS5_SD_PSB_SE_jNS1_19radix_merge_compareILb0ELb0ES5_NS0_19identity_decomposerEEEEEvT0_T1_T2_T3_T4_SM_T5_
		.amdhsa_group_segment_fixed_size 0
		.amdhsa_private_segment_fixed_size 0
		.amdhsa_kernarg_size 44
		.amdhsa_user_sgpr_count 2
		.amdhsa_user_sgpr_dispatch_ptr 0
		.amdhsa_user_sgpr_queue_ptr 0
		.amdhsa_user_sgpr_kernarg_segment_ptr 1
		.amdhsa_user_sgpr_dispatch_id 0
		.amdhsa_user_sgpr_kernarg_preload_length 0
		.amdhsa_user_sgpr_kernarg_preload_offset 0
		.amdhsa_user_sgpr_private_segment_size 0
		.amdhsa_uses_dynamic_stack 0
		.amdhsa_enable_private_segment 0
		.amdhsa_system_sgpr_workgroup_id_x 1
		.amdhsa_system_sgpr_workgroup_id_y 0
		.amdhsa_system_sgpr_workgroup_id_z 0
		.amdhsa_system_sgpr_workgroup_info 0
		.amdhsa_system_vgpr_workitem_id 0
		.amdhsa_next_free_vgpr 12
		.amdhsa_next_free_sgpr 22
		.amdhsa_accum_offset 12
		.amdhsa_reserve_vcc 1
		.amdhsa_float_round_mode_32 0
		.amdhsa_float_round_mode_16_64 0
		.amdhsa_float_denorm_mode_32 3
		.amdhsa_float_denorm_mode_16_64 3
		.amdhsa_dx10_clamp 1
		.amdhsa_ieee_mode 1
		.amdhsa_fp16_overflow 0
		.amdhsa_tg_split 0
		.amdhsa_exception_fp_ieee_invalid_op 0
		.amdhsa_exception_fp_denorm_src 0
		.amdhsa_exception_fp_ieee_div_zero 0
		.amdhsa_exception_fp_ieee_overflow 0
		.amdhsa_exception_fp_ieee_underflow 0
		.amdhsa_exception_fp_ieee_inexact 0
		.amdhsa_exception_int_div_zero 0
	.end_amdhsa_kernel
	.section	.text._ZN7rocprim17ROCPRIM_304000_NS6detail33device_block_merge_oddeven_kernelINS1_37wrapped_merge_sort_block_merge_configINS0_14default_configE6__halfN2at4cuda3cub6detail10OpaqueTypeILi8EEEEEPS5_SD_PSB_SE_jNS1_19radix_merge_compareILb0ELb0ES5_NS0_19identity_decomposerEEEEEvT0_T1_T2_T3_T4_SM_T5_,"axG",@progbits,_ZN7rocprim17ROCPRIM_304000_NS6detail33device_block_merge_oddeven_kernelINS1_37wrapped_merge_sort_block_merge_configINS0_14default_configE6__halfN2at4cuda3cub6detail10OpaqueTypeILi8EEEEEPS5_SD_PSB_SE_jNS1_19radix_merge_compareILb0ELb0ES5_NS0_19identity_decomposerEEEEEvT0_T1_T2_T3_T4_SM_T5_,comdat
.Lfunc_end196:
	.size	_ZN7rocprim17ROCPRIM_304000_NS6detail33device_block_merge_oddeven_kernelINS1_37wrapped_merge_sort_block_merge_configINS0_14default_configE6__halfN2at4cuda3cub6detail10OpaqueTypeILi8EEEEEPS5_SD_PSB_SE_jNS1_19radix_merge_compareILb0ELb0ES5_NS0_19identity_decomposerEEEEEvT0_T1_T2_T3_T4_SM_T5_, .Lfunc_end196-_ZN7rocprim17ROCPRIM_304000_NS6detail33device_block_merge_oddeven_kernelINS1_37wrapped_merge_sort_block_merge_configINS0_14default_configE6__halfN2at4cuda3cub6detail10OpaqueTypeILi8EEEEEPS5_SD_PSB_SE_jNS1_19radix_merge_compareILb0ELb0ES5_NS0_19identity_decomposerEEEEEvT0_T1_T2_T3_T4_SM_T5_
                                        ; -- End function
	.set _ZN7rocprim17ROCPRIM_304000_NS6detail33device_block_merge_oddeven_kernelINS1_37wrapped_merge_sort_block_merge_configINS0_14default_configE6__halfN2at4cuda3cub6detail10OpaqueTypeILi8EEEEEPS5_SD_PSB_SE_jNS1_19radix_merge_compareILb0ELb0ES5_NS0_19identity_decomposerEEEEEvT0_T1_T2_T3_T4_SM_T5_.num_vgpr, 12
	.set _ZN7rocprim17ROCPRIM_304000_NS6detail33device_block_merge_oddeven_kernelINS1_37wrapped_merge_sort_block_merge_configINS0_14default_configE6__halfN2at4cuda3cub6detail10OpaqueTypeILi8EEEEEPS5_SD_PSB_SE_jNS1_19radix_merge_compareILb0ELb0ES5_NS0_19identity_decomposerEEEEEvT0_T1_T2_T3_T4_SM_T5_.num_agpr, 0
	.set _ZN7rocprim17ROCPRIM_304000_NS6detail33device_block_merge_oddeven_kernelINS1_37wrapped_merge_sort_block_merge_configINS0_14default_configE6__halfN2at4cuda3cub6detail10OpaqueTypeILi8EEEEEPS5_SD_PSB_SE_jNS1_19radix_merge_compareILb0ELb0ES5_NS0_19identity_decomposerEEEEEvT0_T1_T2_T3_T4_SM_T5_.numbered_sgpr, 22
	.set _ZN7rocprim17ROCPRIM_304000_NS6detail33device_block_merge_oddeven_kernelINS1_37wrapped_merge_sort_block_merge_configINS0_14default_configE6__halfN2at4cuda3cub6detail10OpaqueTypeILi8EEEEEPS5_SD_PSB_SE_jNS1_19radix_merge_compareILb0ELb0ES5_NS0_19identity_decomposerEEEEEvT0_T1_T2_T3_T4_SM_T5_.num_named_barrier, 0
	.set _ZN7rocprim17ROCPRIM_304000_NS6detail33device_block_merge_oddeven_kernelINS1_37wrapped_merge_sort_block_merge_configINS0_14default_configE6__halfN2at4cuda3cub6detail10OpaqueTypeILi8EEEEEPS5_SD_PSB_SE_jNS1_19radix_merge_compareILb0ELb0ES5_NS0_19identity_decomposerEEEEEvT0_T1_T2_T3_T4_SM_T5_.private_seg_size, 0
	.set _ZN7rocprim17ROCPRIM_304000_NS6detail33device_block_merge_oddeven_kernelINS1_37wrapped_merge_sort_block_merge_configINS0_14default_configE6__halfN2at4cuda3cub6detail10OpaqueTypeILi8EEEEEPS5_SD_PSB_SE_jNS1_19radix_merge_compareILb0ELb0ES5_NS0_19identity_decomposerEEEEEvT0_T1_T2_T3_T4_SM_T5_.uses_vcc, 1
	.set _ZN7rocprim17ROCPRIM_304000_NS6detail33device_block_merge_oddeven_kernelINS1_37wrapped_merge_sort_block_merge_configINS0_14default_configE6__halfN2at4cuda3cub6detail10OpaqueTypeILi8EEEEEPS5_SD_PSB_SE_jNS1_19radix_merge_compareILb0ELb0ES5_NS0_19identity_decomposerEEEEEvT0_T1_T2_T3_T4_SM_T5_.uses_flat_scratch, 0
	.set _ZN7rocprim17ROCPRIM_304000_NS6detail33device_block_merge_oddeven_kernelINS1_37wrapped_merge_sort_block_merge_configINS0_14default_configE6__halfN2at4cuda3cub6detail10OpaqueTypeILi8EEEEEPS5_SD_PSB_SE_jNS1_19radix_merge_compareILb0ELb0ES5_NS0_19identity_decomposerEEEEEvT0_T1_T2_T3_T4_SM_T5_.has_dyn_sized_stack, 0
	.set _ZN7rocprim17ROCPRIM_304000_NS6detail33device_block_merge_oddeven_kernelINS1_37wrapped_merge_sort_block_merge_configINS0_14default_configE6__halfN2at4cuda3cub6detail10OpaqueTypeILi8EEEEEPS5_SD_PSB_SE_jNS1_19radix_merge_compareILb0ELb0ES5_NS0_19identity_decomposerEEEEEvT0_T1_T2_T3_T4_SM_T5_.has_recursion, 0
	.set _ZN7rocprim17ROCPRIM_304000_NS6detail33device_block_merge_oddeven_kernelINS1_37wrapped_merge_sort_block_merge_configINS0_14default_configE6__halfN2at4cuda3cub6detail10OpaqueTypeILi8EEEEEPS5_SD_PSB_SE_jNS1_19radix_merge_compareILb0ELb0ES5_NS0_19identity_decomposerEEEEEvT0_T1_T2_T3_T4_SM_T5_.has_indirect_call, 0
	.section	.AMDGPU.csdata,"",@progbits
; Kernel info:
; codeLenInByte = 844
; TotalNumSgprs: 28
; NumVgprs: 12
; NumAgprs: 0
; TotalNumVgprs: 12
; ScratchSize: 0
; MemoryBound: 0
; FloatMode: 240
; IeeeMode: 1
; LDSByteSize: 0 bytes/workgroup (compile time only)
; SGPRBlocks: 3
; VGPRBlocks: 1
; NumSGPRsForWavesPerEU: 28
; NumVGPRsForWavesPerEU: 12
; AccumOffset: 12
; Occupancy: 8
; WaveLimiterHint : 0
; COMPUTE_PGM_RSRC2:SCRATCH_EN: 0
; COMPUTE_PGM_RSRC2:USER_SGPR: 2
; COMPUTE_PGM_RSRC2:TRAP_HANDLER: 0
; COMPUTE_PGM_RSRC2:TGID_X_EN: 1
; COMPUTE_PGM_RSRC2:TGID_Y_EN: 0
; COMPUTE_PGM_RSRC2:TGID_Z_EN: 0
; COMPUTE_PGM_RSRC2:TIDIG_COMP_CNT: 0
; COMPUTE_PGM_RSRC3_GFX90A:ACCUM_OFFSET: 2
; COMPUTE_PGM_RSRC3_GFX90A:TG_SPLIT: 0
	.section	.text._ZN7rocprim17ROCPRIM_304000_NS6detail26onesweep_histograms_kernelINS1_34wrapped_radix_sort_onesweep_configINS0_14default_configE6__halfN2at4cuda3cub6detail10OpaqueTypeILi8EEEEELb0EPKS5_mNS0_19identity_decomposerEEEvT1_PT2_SH_SH_T3_jj,"axG",@progbits,_ZN7rocprim17ROCPRIM_304000_NS6detail26onesweep_histograms_kernelINS1_34wrapped_radix_sort_onesweep_configINS0_14default_configE6__halfN2at4cuda3cub6detail10OpaqueTypeILi8EEEEELb0EPKS5_mNS0_19identity_decomposerEEEvT1_PT2_SH_SH_T3_jj,comdat
	.protected	_ZN7rocprim17ROCPRIM_304000_NS6detail26onesweep_histograms_kernelINS1_34wrapped_radix_sort_onesweep_configINS0_14default_configE6__halfN2at4cuda3cub6detail10OpaqueTypeILi8EEEEELb0EPKS5_mNS0_19identity_decomposerEEEvT1_PT2_SH_SH_T3_jj ; -- Begin function _ZN7rocprim17ROCPRIM_304000_NS6detail26onesweep_histograms_kernelINS1_34wrapped_radix_sort_onesweep_configINS0_14default_configE6__halfN2at4cuda3cub6detail10OpaqueTypeILi8EEEEELb0EPKS5_mNS0_19identity_decomposerEEEvT1_PT2_SH_SH_T3_jj
	.globl	_ZN7rocprim17ROCPRIM_304000_NS6detail26onesweep_histograms_kernelINS1_34wrapped_radix_sort_onesweep_configINS0_14default_configE6__halfN2at4cuda3cub6detail10OpaqueTypeILi8EEEEELb0EPKS5_mNS0_19identity_decomposerEEEvT1_PT2_SH_SH_T3_jj
	.p2align	8
	.type	_ZN7rocprim17ROCPRIM_304000_NS6detail26onesweep_histograms_kernelINS1_34wrapped_radix_sort_onesweep_configINS0_14default_configE6__halfN2at4cuda3cub6detail10OpaqueTypeILi8EEEEELb0EPKS5_mNS0_19identity_decomposerEEEvT1_PT2_SH_SH_T3_jj,@function
_ZN7rocprim17ROCPRIM_304000_NS6detail26onesweep_histograms_kernelINS1_34wrapped_radix_sort_onesweep_configINS0_14default_configE6__halfN2at4cuda3cub6detail10OpaqueTypeILi8EEEEELb0EPKS5_mNS0_19identity_decomposerEEEvT1_PT2_SH_SH_T3_jj: ; @_ZN7rocprim17ROCPRIM_304000_NS6detail26onesweep_histograms_kernelINS1_34wrapped_radix_sort_onesweep_configINS0_14default_configE6__halfN2at4cuda3cub6detail10OpaqueTypeILi8EEEEELb0EPKS5_mNS0_19identity_decomposerEEEvT1_PT2_SH_SH_T3_jj
; %bb.0:
	s_load_dwordx8 s[24:31], s[0:1], 0x0
	s_load_dwordx2 s[34:35], s[0:1], 0x24
	v_mov_b32_e32 v2, s2
	v_mov_b32_e32 v3, 0
	s_mul_hi_u32 s0, s2, 0x1800
	s_mulk_i32 s2, 0x1800
	s_waitcnt lgkmcnt(0)
	v_cmp_le_u64_e32 vcc, s[30:31], v[2:3]
	s_add_u32 s24, s24, s2
	s_addc_u32 s25, s25, s0
	s_mov_b64 s[0:1], -1
	v_lshlrev_b32_e32 v2, 1, v0
	s_cbranch_vccz .LBB197_86
; %bb.1:
	s_mul_i32 s0, s30, 0xfffff400
	s_add_i32 s28, s0, s28
	v_lshl_add_u64 v[4:5], s[24:25], 0, v[2:3]
	v_cmp_gt_u32_e64 s[22:23], s28, v0
                                        ; implicit-def: $vgpr15
	s_and_saveexec_b64 s[0:1], s[22:23]
	s_cbranch_execz .LBB197_3
; %bb.2:
	global_load_ushort v15, v[4:5], off
.LBB197_3:
	s_or_b64 exec, exec, s[0:1]
	v_or_b32_e32 v1, 0x100, v0
	v_cmp_gt_u32_e64 s[20:21], s28, v1
                                        ; implicit-def: $vgpr14
	s_and_saveexec_b64 s[0:1], s[20:21]
	s_cbranch_execz .LBB197_5
; %bb.4:
	global_load_ushort v14, v[4:5], off offset:512
.LBB197_5:
	s_or_b64 exec, exec, s[0:1]
	v_or_b32_e32 v1, 0x200, v0
	v_cmp_gt_u32_e64 s[18:19], s28, v1
                                        ; implicit-def: $vgpr13
	s_and_saveexec_b64 s[0:1], s[18:19]
	s_cbranch_execz .LBB197_7
; %bb.6:
	global_load_ushort v13, v[4:5], off offset:1024
.LBB197_7:
	s_or_b64 exec, exec, s[0:1]
	v_or_b32_e32 v1, 0x300, v0
	v_cmp_gt_u32_e64 s[16:17], s28, v1
                                        ; implicit-def: $vgpr12
	s_and_saveexec_b64 s[0:1], s[16:17]
	s_cbranch_execz .LBB197_9
; %bb.8:
	global_load_ushort v12, v[4:5], off offset:1536
.LBB197_9:
	s_or_b64 exec, exec, s[0:1]
	v_or_b32_e32 v1, 0x400, v0
	v_cmp_gt_u32_e64 s[14:15], s28, v1
                                        ; implicit-def: $vgpr11
	s_and_saveexec_b64 s[0:1], s[14:15]
	s_cbranch_execz .LBB197_11
; %bb.10:
	global_load_ushort v11, v[4:5], off offset:2048
.LBB197_11:
	s_or_b64 exec, exec, s[0:1]
	v_or_b32_e32 v1, 0x500, v0
	v_cmp_gt_u32_e64 s[12:13], s28, v1
                                        ; implicit-def: $vgpr10
	s_and_saveexec_b64 s[0:1], s[12:13]
	s_cbranch_execz .LBB197_13
; %bb.12:
	global_load_ushort v10, v[4:5], off offset:2560
.LBB197_13:
	s_or_b64 exec, exec, s[0:1]
	v_or_b32_e32 v1, 0x600, v0
	v_cmp_gt_u32_e64 s[10:11], s28, v1
                                        ; implicit-def: $vgpr9
	s_and_saveexec_b64 s[0:1], s[10:11]
	s_cbranch_execz .LBB197_15
; %bb.14:
	global_load_ushort v9, v[4:5], off offset:3072
.LBB197_15:
	s_or_b64 exec, exec, s[0:1]
	v_or_b32_e32 v1, 0x700, v0
	v_cmp_gt_u32_e64 s[8:9], s28, v1
                                        ; implicit-def: $vgpr8
	s_and_saveexec_b64 s[0:1], s[8:9]
	s_cbranch_execz .LBB197_17
; %bb.16:
	global_load_ushort v8, v[4:5], off offset:3584
.LBB197_17:
	s_or_b64 exec, exec, s[0:1]
	v_or_b32_e32 v1, 0x800, v0
	v_cmp_gt_u32_e64 s[6:7], s28, v1
                                        ; implicit-def: $vgpr7
	s_and_saveexec_b64 s[0:1], s[6:7]
	s_cbranch_execz .LBB197_19
; %bb.18:
	v_add_co_u32_e32 v6, vcc, 0x1000, v4
	s_nop 1
	v_addc_co_u32_e32 v7, vcc, 0, v5, vcc
	global_load_ushort v7, v[6:7], off
.LBB197_19:
	s_or_b64 exec, exec, s[0:1]
	v_or_b32_e32 v1, 0x900, v0
	v_cmp_gt_u32_e64 s[4:5], s28, v1
                                        ; implicit-def: $vgpr6
	s_and_saveexec_b64 s[0:1], s[4:5]
	s_cbranch_execz .LBB197_21
; %bb.20:
	v_add_co_u32_e32 v16, vcc, 0x1000, v4
	s_nop 1
	v_addc_co_u32_e32 v17, vcc, 0, v5, vcc
	global_load_ushort v6, v[16:17], off offset:512
.LBB197_21:
	s_or_b64 exec, exec, s[0:1]
	v_or_b32_e32 v1, 0xa00, v0
	v_cmp_gt_u32_e64 s[2:3], s28, v1
                                        ; implicit-def: $vgpr3
	s_and_saveexec_b64 s[0:1], s[2:3]
	s_cbranch_execz .LBB197_23
; %bb.22:
	v_add_co_u32_e32 v16, vcc, 0x1000, v4
	s_nop 1
	v_addc_co_u32_e32 v17, vcc, 0, v5, vcc
	global_load_ushort v3, v[16:17], off offset:1024
.LBB197_23:
	s_or_b64 exec, exec, s[0:1]
	v_or_b32_e32 v1, 0xb00, v0
	v_cmp_gt_u32_e64 s[0:1], s28, v1
                                        ; implicit-def: $vgpr1
	s_and_saveexec_b64 s[28:29], s[0:1]
	s_cbranch_execz .LBB197_25
; %bb.24:
	v_add_co_u32_e32 v4, vcc, 0x1000, v4
	s_nop 1
	v_addc_co_u32_e32 v5, vcc, 0, v5, vcc
	global_load_ushort v1, v[4:5], off offset:1536
.LBB197_25:
	s_or_b64 exec, exec, s[28:29]
	s_mov_b32 s28, 0
	v_lshlrev_b32_e32 v4, 2, v0
	s_mov_b32 s29, 1
	s_mov_b64 s[30:31], 0
	v_mov_b32_e32 v5, 0
	s_mov_b32 s36, s28
	s_branch .LBB197_27
.LBB197_26:                             ;   in Loop: Header=BB197_27 Depth=1
	s_or_b64 exec, exec, s[40:41]
	s_add_i32 s36, s36, 2
	v_cmp_eq_u32_e64 s[38:39], 8, s36
	s_or_b64 s[30:31], s[38:39], s[30:31]
	v_add_u32_e32 v4, 0x800, v4
	s_andn2_b64 exec, exec, s[30:31]
	s_cbranch_execz .LBB197_31
.LBB197_27:                             ; =>This Inner Loop Header: Depth=1
	s_mov_b32 s37, s36
	s_or_b64 s[40:41], s[36:37], s[28:29]
	v_cmp_le_u32_e64 s[38:39], s41, 7
	v_cmp_le_u32_e64 s[42:43], s40, 7
	s_and_saveexec_b64 s[40:41], s[42:43]
; %bb.28:                               ;   in Loop: Header=BB197_27 Depth=1
	ds_write_b32 v4, v5
; %bb.29:                               ;   in Loop: Header=BB197_27 Depth=1
	s_or_b64 exec, exec, s[40:41]
	s_and_saveexec_b64 s[40:41], s[38:39]
	s_cbranch_execz .LBB197_26
; %bb.30:                               ;   in Loop: Header=BB197_27 Depth=1
	ds_write_b32 v4, v5 offset:1024
	s_branch .LBB197_26
.LBB197_31:
	s_or_b64 exec, exec, s[30:31]
	s_cmp_gt_u32 s35, s34
	s_cselect_b64 s[28:29], -1, 0
	s_cmp_le_u32 s35, s34
	s_waitcnt lgkmcnt(0)
	s_barrier
	s_cbranch_scc1 .LBB197_80
; %bb.32:
	v_mov_b32_e32 v5, 0xffff8000
	s_waitcnt vmcnt(0)
	v_cmp_lt_i16_e32 vcc, -1, v15
	v_and_b32_e32 v4, 3, v0
	s_movk_i32 s30, 0x7fff
	v_cndmask_b32_e32 v16, -1, v5, vcc
	v_xor_b32_e32 v15, v16, v15
	v_cmp_ne_u16_e32 vcc, s30, v15
	v_lshlrev_b32_e32 v4, 2, v4
	s_sub_i32 s33, s35, s34
	v_cndmask_b32_e32 v5, v5, v15, vcc
	v_mov_b32_e32 v15, 1
	s_mov_b32 s36, s33
	v_mov_b32_e32 v16, v4
	s_mov_b32 s37, s34
	s_branch .LBB197_34
.LBB197_33:                             ;   in Loop: Header=BB197_34 Depth=1
	s_or_b64 exec, exec, s[30:31]
	s_add_i32 s37, s37, 8
	s_add_i32 s36, s36, -8
	s_cmp_ge_u32 s37, s35
	v_add_u32_e32 v16, 0x1000, v16
	s_cbranch_scc1 .LBB197_36
.LBB197_34:                             ; =>This Inner Loop Header: Depth=1
	s_and_saveexec_b64 s[30:31], s[22:23]
	s_cbranch_execz .LBB197_33
; %bb.35:                               ;   in Loop: Header=BB197_34 Depth=1
	s_min_u32 s38, s36, 8
	v_lshrrev_b32_sdwa v17, s37, v5 dst_sel:DWORD dst_unused:UNUSED_PAD src0_sel:DWORD src1_sel:WORD_0
	v_bfe_u32 v17, v17, 0, s38
	v_lshl_add_u32 v17, v17, 4, v16
	ds_add_u32 v17, v15
	s_branch .LBB197_33
.LBB197_36:
	v_mov_b32_e32 v5, 0xffff8000
	v_cmp_lt_i16_e32 vcc, -1, v14
	s_movk_i32 s22, 0x7fff
	s_mov_b32 s30, s33
	v_cndmask_b32_e32 v15, -1, v5, vcc
	v_xor_b32_e32 v14, v15, v14
	v_cmp_ne_u16_e32 vcc, s22, v14
	v_mov_b32_e32 v15, v4
	s_mov_b32 s31, s34
	v_cndmask_b32_e32 v5, v5, v14, vcc
	v_mov_b32_e32 v14, 1
	s_branch .LBB197_38
.LBB197_37:                             ;   in Loop: Header=BB197_38 Depth=1
	s_or_b64 exec, exec, s[22:23]
	s_add_i32 s31, s31, 8
	s_add_i32 s30, s30, -8
	s_cmp_lt_u32 s31, s35
	v_add_u32_e32 v15, 0x1000, v15
	s_cbranch_scc0 .LBB197_40
.LBB197_38:                             ; =>This Inner Loop Header: Depth=1
	s_and_saveexec_b64 s[22:23], s[20:21]
	s_cbranch_execz .LBB197_37
; %bb.39:                               ;   in Loop: Header=BB197_38 Depth=1
	s_min_u32 s36, s30, 8
	v_lshrrev_b32_sdwa v16, s31, v5 dst_sel:DWORD dst_unused:UNUSED_PAD src0_sel:DWORD src1_sel:WORD_0
	v_bfe_u32 v16, v16, 0, s36
	v_lshl_add_u32 v16, v16, 4, v15
	ds_add_u32 v16, v14
	s_branch .LBB197_37
.LBB197_40:
	v_mov_b32_e32 v5, 0xffff8000
	v_cmp_lt_i16_e32 vcc, -1, v13
	s_movk_i32 s20, 0x7fff
	s_mov_b32 s22, s33
	v_cndmask_b32_e32 v14, -1, v5, vcc
	v_xor_b32_e32 v13, v14, v13
	v_cmp_ne_u16_e32 vcc, s20, v13
	v_mov_b32_e32 v14, v4
	s_mov_b32 s23, s34
	v_cndmask_b32_e32 v5, v5, v13, vcc
	v_mov_b32_e32 v13, 1
	s_branch .LBB197_42
.LBB197_41:                             ;   in Loop: Header=BB197_42 Depth=1
	s_or_b64 exec, exec, s[20:21]
	s_add_i32 s23, s23, 8
	s_add_i32 s22, s22, -8
	s_cmp_lt_u32 s23, s35
	v_add_u32_e32 v14, 0x1000, v14
	s_cbranch_scc0 .LBB197_44
.LBB197_42:                             ; =>This Inner Loop Header: Depth=1
	s_and_saveexec_b64 s[20:21], s[18:19]
	s_cbranch_execz .LBB197_41
; %bb.43:                               ;   in Loop: Header=BB197_42 Depth=1
	s_min_u32 s30, s22, 8
	v_lshrrev_b32_sdwa v15, s23, v5 dst_sel:DWORD dst_unused:UNUSED_PAD src0_sel:DWORD src1_sel:WORD_0
	v_bfe_u32 v15, v15, 0, s30
	v_lshl_add_u32 v15, v15, 4, v14
	ds_add_u32 v15, v13
	s_branch .LBB197_41
.LBB197_44:
	;; [unrolled: 30-line block ×10, first 2 shown]
	v_mov_b32_e32 v3, 0xffff8000
	v_cmp_lt_i16_e32 vcc, -1, v1
	s_movk_i32 s2, 0x7fff
	s_mov_b32 s4, s34
	v_cndmask_b32_e32 v5, -1, v3, vcc
	v_xor_b32_e32 v1, v5, v1
	v_cmp_ne_u16_e32 vcc, s2, v1
	s_nop 1
	v_cndmask_b32_e32 v1, v3, v1, vcc
	v_mov_b32_e32 v3, 1
	s_branch .LBB197_78
.LBB197_77:                             ;   in Loop: Header=BB197_78 Depth=1
	s_or_b64 exec, exec, s[2:3]
	s_add_i32 s4, s4, 8
	s_add_i32 s33, s33, -8
	s_cmp_lt_u32 s4, s35
	v_add_u32_e32 v4, 0x1000, v4
	s_cbranch_scc0 .LBB197_80
.LBB197_78:                             ; =>This Inner Loop Header: Depth=1
	s_and_saveexec_b64 s[2:3], s[0:1]
	s_cbranch_execz .LBB197_77
; %bb.79:                               ;   in Loop: Header=BB197_78 Depth=1
	s_min_u32 s5, s33, 8
	v_lshrrev_b32_sdwa v5, s4, v1 dst_sel:DWORD dst_unused:UNUSED_PAD src0_sel:DWORD src1_sel:WORD_0
	v_bfe_u32 v5, v5, 0, s5
	v_lshl_add_u32 v5, v5, 4, v4
	ds_add_u32 v5, v3
	s_branch .LBB197_77
.LBB197_80:
	s_and_b64 vcc, exec, s[28:29]
	s_waitcnt lgkmcnt(0)
	s_barrier
	s_cbranch_vccz .LBB197_85
; %bb.81:
	s_movk_i32 s0, 0x100
	v_cmp_gt_u32_e32 vcc, s0, v0
	s_waitcnt vmcnt(0)
	v_lshlrev_b32_e32 v1, 4, v0
	v_mov_b32_e32 v5, 0
	v_mov_b32_e32 v4, v0
	s_mov_b32 s2, s34
	s_branch .LBB197_83
.LBB197_82:                             ;   in Loop: Header=BB197_83 Depth=1
	s_or_b64 exec, exec, s[0:1]
	s_add_i32 s2, s2, 8
	v_add_u32_e32 v4, 0x100, v4
	s_cmp_lt_u32 s2, s35
	v_add_u32_e32 v1, 0x1000, v1
	s_cbranch_scc0 .LBB197_85
.LBB197_83:                             ; =>This Inner Loop Header: Depth=1
	s_and_saveexec_b64 s[0:1], vcc
	s_cbranch_execz .LBB197_82
; %bb.84:                               ;   in Loop: Header=BB197_83 Depth=1
	ds_read2_b32 v[6:7], v1 offset1:1
	ds_read2_b32 v[8:9], v1 offset0:2 offset1:3
	v_lshl_add_u64 v[10:11], v[4:5], 3, s[26:27]
	s_waitcnt lgkmcnt(1)
	v_add_u32_e32 v3, v7, v6
	s_waitcnt lgkmcnt(0)
	v_add3_u32 v6, v3, v8, v9
	v_mov_b32_e32 v7, v5
	global_atomic_add_x2 v[10:11], v[6:7], off
	s_branch .LBB197_82
.LBB197_85:
	s_mov_b64 s[0:1], 0
.LBB197_86:
	s_and_b64 vcc, exec, s[0:1]
	s_cbranch_vccz .LBB197_134
; %bb.87:
	s_waitcnt vmcnt(0)
	v_mov_b32_e32 v3, 0
	global_load_ushort v14, v2, s[24:25]
	global_load_ushort v13, v2, s[24:25] offset:512
	global_load_ushort v12, v2, s[24:25] offset:1024
	;; [unrolled: 1-line block ×7, first 2 shown]
	v_lshl_add_u64 v[16:17], s[24:25], 0, v[2:3]
	v_add_co_u32_e32 v16, vcc, 0x1000, v16
	s_cmp_eq_u32 s34, 0
	s_nop 0
	v_addc_co_u32_e32 v17, vcc, 0, v17, vcc
	global_load_ushort v9, v[16:17], off
	global_load_ushort v7, v[16:17], off offset:512
	global_load_ushort v5, v[16:17], off offset:1024
	;; [unrolled: 1-line block ×3, first 2 shown]
	s_cselect_b64 s[2:3], -1, 0
	s_cmp_eq_u32 s35, 16
	s_cselect_b64 s[4:5], -1, 0
	s_mov_b32 s0, 0
	s_and_b64 s[4:5], s[2:3], s[4:5]
	s_mov_b32 s1, 1
	s_mov_b64 s[2:3], -1
	s_and_b64 vcc, exec, s[4:5]
	v_lshlrev_b32_e32 v15, 2, v0
	s_cbranch_vccnz .LBB197_125
; %bb.88:
	v_lshlrev_b32_e32 v2, 2, v0
	s_mov_b64 s[2:3], 0
	s_mov_b32 s4, s0
	s_branch .LBB197_90
.LBB197_89:                             ;   in Loop: Header=BB197_90 Depth=1
	s_or_b64 exec, exec, s[8:9]
	s_add_i32 s4, s4, 2
	v_cmp_eq_u32_e64 s[6:7], 8, s4
	s_or_b64 s[2:3], s[6:7], s[2:3]
	v_add_u32_e32 v2, 0x800, v2
	s_andn2_b64 exec, exec, s[2:3]
	s_cbranch_execz .LBB197_94
.LBB197_90:                             ; =>This Inner Loop Header: Depth=1
	s_mov_b32 s5, s4
	s_or_b64 s[8:9], s[4:5], s[0:1]
	v_cmp_le_u32_e64 s[6:7], s9, 7
	v_cmp_le_u32_e64 s[10:11], s8, 7
	s_and_saveexec_b64 s[8:9], s[10:11]
; %bb.91:                               ;   in Loop: Header=BB197_90 Depth=1
	ds_write_b32 v2, v3
; %bb.92:                               ;   in Loop: Header=BB197_90 Depth=1
	s_or_b64 exec, exec, s[8:9]
	s_and_saveexec_b64 s[8:9], s[6:7]
	s_cbranch_execz .LBB197_89
; %bb.93:                               ;   in Loop: Header=BB197_90 Depth=1
	ds_write_b32 v2, v3 offset:1024
	s_branch .LBB197_89
.LBB197_94:
	s_or_b64 exec, exec, s[2:3]
	s_cmp_gt_u32 s35, s34
	s_cselect_b64 s[0:1], -1, 0
	s_cmp_le_u32 s35, s34
	s_waitcnt lgkmcnt(0)
	s_barrier
	s_cbranch_scc1 .LBB197_119
; %bb.95:
	v_mov_b32_e32 v3, 0xffff8000
	s_waitcnt vmcnt(11)
	v_cmp_lt_i16_e32 vcc, -1, v14
	v_and_b32_e32 v2, 3, v0
	s_movk_i32 s2, 0x7fff
	v_cndmask_b32_e32 v16, -1, v3, vcc
	v_xor_b32_e32 v16, v16, v14
	v_cmp_ne_u16_e32 vcc, s2, v16
	v_lshlrev_b32_e32 v2, 2, v2
	s_sub_i32 s2, s35, s34
	v_cndmask_b32_e32 v3, v3, v16, vcc
	v_mov_b32_e32 v16, 1
	s_mov_b32 s3, s2
	v_mov_b32_e32 v17, v2
	s_mov_b32 s4, s34
.LBB197_96:                             ; =>This Inner Loop Header: Depth=1
	s_min_u32 s5, s3, 8
	v_lshrrev_b32_sdwa v18, s4, v3 dst_sel:DWORD dst_unused:UNUSED_PAD src0_sel:DWORD src1_sel:WORD_0
	v_bfe_u32 v18, v18, 0, s5
	v_lshl_add_u32 v18, v18, 4, v17
	ds_add_u32 v18, v16
	s_add_i32 s4, s4, 8
	s_add_i32 s3, s3, -8
	s_cmp_ge_u32 s4, s35
	v_add_u32_e32 v17, 0x1000, v17
	s_cbranch_scc0 .LBB197_96
; %bb.97:
	v_mov_b32_e32 v3, 0xffff8000
	s_waitcnt vmcnt(10)
	v_cmp_lt_i16_e32 vcc, -1, v13
	s_movk_i32 s3, 0x7fff
	v_mov_b32_e32 v17, v2
	v_cndmask_b32_e32 v16, -1, v3, vcc
	v_xor_b32_e32 v16, v16, v13
	v_cmp_ne_u16_e32 vcc, s3, v16
	s_mov_b32 s3, s2
	s_mov_b32 s4, s34
	v_cndmask_b32_e32 v3, v3, v16, vcc
	v_mov_b32_e32 v16, 1
.LBB197_98:                             ; =>This Inner Loop Header: Depth=1
	s_min_u32 s5, s3, 8
	v_lshrrev_b32_sdwa v18, s4, v3 dst_sel:DWORD dst_unused:UNUSED_PAD src0_sel:DWORD src1_sel:WORD_0
	v_bfe_u32 v18, v18, 0, s5
	v_lshl_add_u32 v18, v18, 4, v17
	ds_add_u32 v18, v16
	s_add_i32 s4, s4, 8
	s_add_i32 s3, s3, -8
	s_cmp_lt_u32 s4, s35
	v_add_u32_e32 v17, 0x1000, v17
	s_cbranch_scc1 .LBB197_98
; %bb.99:
	v_mov_b32_e32 v3, 0xffff8000
	s_waitcnt vmcnt(9)
	v_cmp_lt_i16_e32 vcc, -1, v12
	s_movk_i32 s3, 0x7fff
	v_mov_b32_e32 v17, v2
	v_cndmask_b32_e32 v16, -1, v3, vcc
	v_xor_b32_e32 v16, v16, v12
	v_cmp_ne_u16_e32 vcc, s3, v16
	s_mov_b32 s3, s2
	s_mov_b32 s4, s34
	v_cndmask_b32_e32 v3, v3, v16, vcc
	v_mov_b32_e32 v16, 1
.LBB197_100:                            ; =>This Inner Loop Header: Depth=1
	s_min_u32 s5, s3, 8
	v_lshrrev_b32_sdwa v18, s4, v3 dst_sel:DWORD dst_unused:UNUSED_PAD src0_sel:DWORD src1_sel:WORD_0
	v_bfe_u32 v18, v18, 0, s5
	v_lshl_add_u32 v18, v18, 4, v17
	ds_add_u32 v18, v16
	s_add_i32 s4, s4, 8
	s_add_i32 s3, s3, -8
	s_cmp_lt_u32 s4, s35
	v_add_u32_e32 v17, 0x1000, v17
	s_cbranch_scc1 .LBB197_100
; %bb.101:
	v_mov_b32_e32 v3, 0xffff8000
	s_waitcnt vmcnt(8)
	v_cmp_lt_i16_e32 vcc, -1, v11
	s_movk_i32 s3, 0x7fff
	v_mov_b32_e32 v17, v2
	v_cndmask_b32_e32 v16, -1, v3, vcc
	v_xor_b32_e32 v16, v16, v11
	v_cmp_ne_u16_e32 vcc, s3, v16
	s_mov_b32 s3, s2
	s_mov_b32 s4, s34
	v_cndmask_b32_e32 v3, v3, v16, vcc
	v_mov_b32_e32 v16, 1
.LBB197_102:                            ; =>This Inner Loop Header: Depth=1
	s_min_u32 s5, s3, 8
	v_lshrrev_b32_sdwa v18, s4, v3 dst_sel:DWORD dst_unused:UNUSED_PAD src0_sel:DWORD src1_sel:WORD_0
	v_bfe_u32 v18, v18, 0, s5
	v_lshl_add_u32 v18, v18, 4, v17
	ds_add_u32 v18, v16
	s_add_i32 s4, s4, 8
	s_add_i32 s3, s3, -8
	s_cmp_lt_u32 s4, s35
	v_add_u32_e32 v17, 0x1000, v17
	s_cbranch_scc1 .LBB197_102
	;; [unrolled: 24-line block ×9, first 2 shown]
; %bb.117:
	v_mov_b32_e32 v3, 0xffff8000
	s_waitcnt vmcnt(0)
	v_cmp_lt_i16_e32 vcc, -1, v1
	s_movk_i32 s3, 0x7fff
	s_nop 0
	v_cndmask_b32_e32 v16, -1, v3, vcc
	v_xor_b32_e32 v16, v16, v1
	v_cmp_ne_u16_e32 vcc, s3, v16
	s_mov_b32 s3, s34
	s_nop 0
	v_cndmask_b32_e32 v3, v3, v16, vcc
	v_mov_b32_e32 v16, 1
.LBB197_118:                            ; =>This Inner Loop Header: Depth=1
	s_min_u32 s4, s2, 8
	v_lshrrev_b32_sdwa v17, s3, v3 dst_sel:DWORD dst_unused:UNUSED_PAD src0_sel:DWORD src1_sel:WORD_0
	v_bfe_u32 v17, v17, 0, s4
	v_lshl_add_u32 v17, v17, 4, v2
	ds_add_u32 v17, v16
	s_add_i32 s3, s3, 8
	s_add_i32 s2, s2, -8
	s_cmp_lt_u32 s3, s35
	v_add_u32_e32 v2, 0x1000, v2
	s_cbranch_scc1 .LBB197_118
.LBB197_119:
	s_and_b64 vcc, exec, s[0:1]
	s_waitcnt lgkmcnt(0)
	s_barrier
	s_cbranch_vccz .LBB197_124
; %bb.120:
	s_movk_i32 s0, 0x100
	v_cmp_gt_u32_e32 vcc, s0, v0
	v_lshlrev_b32_e32 v16, 4, v0
	v_mov_b32_e32 v3, 0
	v_mov_b32_e32 v2, v0
	s_branch .LBB197_122
.LBB197_121:                            ;   in Loop: Header=BB197_122 Depth=1
	s_or_b64 exec, exec, s[0:1]
	s_add_i32 s34, s34, 8
	v_add_u32_e32 v2, 0x100, v2
	s_cmp_ge_u32 s34, s35
	v_add_u32_e32 v16, 0x1000, v16
	s_cbranch_scc1 .LBB197_124
.LBB197_122:                            ; =>This Inner Loop Header: Depth=1
	s_and_saveexec_b64 s[0:1], vcc
	s_cbranch_execz .LBB197_121
; %bb.123:                              ;   in Loop: Header=BB197_122 Depth=1
	ds_read2_b32 v[18:19], v16 offset1:1
	ds_read2_b32 v[20:21], v16 offset0:2 offset1:3
	v_lshl_add_u64 v[22:23], v[2:3], 3, s[26:27]
	s_waitcnt lgkmcnt(1)
	v_add_u32_e32 v17, v19, v18
	s_waitcnt lgkmcnt(0)
	v_add3_u32 v18, v17, v20, v21
	v_mov_b32_e32 v19, v3
	global_atomic_add_x2 v[22:23], v[18:19], off
	s_branch .LBB197_121
.LBB197_124:
	s_mov_b64 s[2:3], 0
.LBB197_125:
	s_and_b64 vcc, exec, s[2:3]
	s_cbranch_vccz .LBB197_134
; %bb.126:
	s_mov_b32 s0, 0
	s_mov_b32 s1, 1
	s_mov_b64 s[2:3], 0
	v_mov_b32_e32 v2, 0
	s_mov_b32 s4, s0
	s_branch .LBB197_128
.LBB197_127:                            ;   in Loop: Header=BB197_128 Depth=1
	s_or_b64 exec, exec, s[8:9]
	s_add_i32 s4, s4, 2
	v_cmp_eq_u32_e64 s[6:7], 8, s4
	s_or_b64 s[2:3], s[6:7], s[2:3]
	v_add_u32_e32 v15, 0x800, v15
	s_andn2_b64 exec, exec, s[2:3]
	s_cbranch_execz .LBB197_132
.LBB197_128:                            ; =>This Inner Loop Header: Depth=1
	s_mov_b32 s5, s4
	s_or_b64 s[8:9], s[4:5], s[0:1]
	v_cmp_le_u32_e64 s[6:7], s9, 7
	v_cmp_le_u32_e64 s[10:11], s8, 7
	s_and_saveexec_b64 s[8:9], s[10:11]
; %bb.129:                              ;   in Loop: Header=BB197_128 Depth=1
	ds_write_b32 v15, v2
; %bb.130:                              ;   in Loop: Header=BB197_128 Depth=1
	s_or_b64 exec, exec, s[8:9]
	s_and_saveexec_b64 s[8:9], s[6:7]
	s_cbranch_execz .LBB197_127
; %bb.131:                              ;   in Loop: Header=BB197_128 Depth=1
	ds_write_b32 v15, v2 offset:1024
	s_branch .LBB197_127
.LBB197_132:
	s_or_b64 exec, exec, s[2:3]
	v_mov_b32_e32 v2, 0xffff8000
	s_waitcnt vmcnt(11)
	v_cmp_lt_i16_e32 vcc, -1, v14
	s_movk_i32 s0, 0x7fff
	s_movk_i32 s1, 0xff0
	v_cndmask_b32_e32 v3, -1, v2, vcc
	s_waitcnt vmcnt(10)
	v_cmp_lt_i16_e32 vcc, -1, v13
	v_xor_b32_e32 v3, v3, v14
	v_mov_b32_e32 v16, 1
	v_cndmask_b32_e32 v14, -1, v2, vcc
	s_waitcnt vmcnt(9)
	v_cmp_lt_i16_e32 vcc, -1, v12
	v_xor_b32_e32 v13, v14, v13
	s_waitcnt lgkmcnt(0)
	v_cndmask_b32_e32 v14, -1, v2, vcc
	s_waitcnt vmcnt(8)
	v_cmp_lt_i16_e32 vcc, -1, v11
	v_xor_b32_e32 v12, v14, v12
	s_barrier
	v_cndmask_b32_e32 v14, -1, v2, vcc
	s_waitcnt vmcnt(7)
	v_cmp_lt_i16_e32 vcc, -1, v10
	v_xor_b32_e32 v11, v14, v11
	s_nop 0
	v_cndmask_b32_e32 v14, -1, v2, vcc
	s_waitcnt vmcnt(6)
	v_cmp_lt_i16_e32 vcc, -1, v8
	v_xor_b32_e32 v10, v14, v10
	s_nop 0
	;; [unrolled: 5-line block ×8, first 2 shown]
	v_cndmask_b32_e32 v14, -1, v2, vcc
	v_cmp_ne_u16_e32 vcc, s0, v3
	v_xor_b32_e32 v1, v14, v1
	v_and_b32_e32 v14, 3, v0
	v_cndmask_b32_e32 v3, v2, v3, vcc
	v_and_b32_e32 v3, 0xffff, v3
	v_lshlrev_b32_e32 v15, 4, v3
	v_lshlrev_b32_e32 v14, 2, v14
	v_and_or_b32 v15, v15, s1, v14
	v_bfe_u32 v3, v3, 8, 8
	ds_add_u32 v15, v16
	v_lshl_or_b32 v3, v3, 4, v14
	v_cmp_ne_u16_e32 vcc, s0, v13
	ds_add_u32 v3, v16 offset:4096
	s_nop 0
	v_cndmask_b32_e32 v3, v2, v13, vcc
	v_and_b32_e32 v3, 0xffff, v3
	v_lshlrev_b32_e32 v13, 4, v3
	v_and_or_b32 v13, v13, s1, v14
	v_bfe_u32 v3, v3, 8, 8
	ds_add_u32 v13, v16
	v_lshl_or_b32 v3, v3, 4, v14
	v_cmp_ne_u16_e32 vcc, s0, v12
	ds_add_u32 v3, v16 offset:4096
	s_nop 0
	v_cndmask_b32_e32 v3, v2, v12, vcc
	v_and_b32_e32 v3, 0xffff, v3
	;; [unrolled: 10-line block ×10, first 2 shown]
	v_cmp_ne_u16_e32 vcc, s0, v1
	v_lshlrev_b32_e32 v4, 4, v3
	v_and_or_b32 v4, v4, s1, v14
	v_cndmask_b32_e32 v1, v2, v1, vcc
	v_bfe_u32 v3, v3, 8, 8
	v_and_b32_e32 v1, 0xffff, v1
	ds_add_u32 v4, v16
	v_lshl_or_b32 v3, v3, 4, v14
	v_lshlrev_b32_e32 v2, 4, v1
	ds_add_u32 v3, v16 offset:4096
	v_and_or_b32 v2, v2, s1, v14
	v_bfe_u32 v1, v1, 8, 8
	ds_add_u32 v2, v16
	v_lshl_or_b32 v1, v1, 4, v14
	ds_add_u32 v1, v16 offset:4096
	s_movk_i32 s0, 0x100
	v_cmp_gt_u32_e32 vcc, s0, v0
	s_waitcnt lgkmcnt(0)
	s_barrier
	s_and_saveexec_b64 s[0:1], vcc
	s_cbranch_execz .LBB197_134
; %bb.133:
	v_lshlrev_b32_e32 v6, 4, v0
	ds_read2_b32 v[2:3], v6 offset1:1
	ds_read2_b32 v[4:5], v6 offset0:2 offset1:3
	v_lshlrev_b32_e32 v7, 3, v0
	v_mov_b32_e32 v1, 0
	v_or_b32_e32 v8, 0x1000, v6
	s_waitcnt lgkmcnt(1)
	v_add_u32_e32 v0, v3, v2
	s_waitcnt lgkmcnt(0)
	v_add3_u32 v0, v0, v4, v5
	global_atomic_add_x2 v7, v[0:1], s[26:27]
	v_or_b32_e32 v0, 0x1008, v6
	ds_read2_b32 v[2:3], v8 offset1:1
	ds_read2_b32 v[4:5], v0 offset1:1
	s_waitcnt lgkmcnt(1)
	v_add_u32_e32 v0, v3, v2
	s_waitcnt lgkmcnt(0)
	v_add3_u32 v0, v0, v4, v5
	global_atomic_add_x2 v7, v[0:1], s[26:27] offset:2048
.LBB197_134:
	s_endpgm
	.section	.rodata,"a",@progbits
	.p2align	6, 0x0
	.amdhsa_kernel _ZN7rocprim17ROCPRIM_304000_NS6detail26onesweep_histograms_kernelINS1_34wrapped_radix_sort_onesweep_configINS0_14default_configE6__halfN2at4cuda3cub6detail10OpaqueTypeILi8EEEEELb0EPKS5_mNS0_19identity_decomposerEEEvT1_PT2_SH_SH_T3_jj
		.amdhsa_group_segment_fixed_size 8192
		.amdhsa_private_segment_fixed_size 0
		.amdhsa_kernarg_size 44
		.amdhsa_user_sgpr_count 2
		.amdhsa_user_sgpr_dispatch_ptr 0
		.amdhsa_user_sgpr_queue_ptr 0
		.amdhsa_user_sgpr_kernarg_segment_ptr 1
		.amdhsa_user_sgpr_dispatch_id 0
		.amdhsa_user_sgpr_kernarg_preload_length 0
		.amdhsa_user_sgpr_kernarg_preload_offset 0
		.amdhsa_user_sgpr_private_segment_size 0
		.amdhsa_uses_dynamic_stack 0
		.amdhsa_enable_private_segment 0
		.amdhsa_system_sgpr_workgroup_id_x 1
		.amdhsa_system_sgpr_workgroup_id_y 0
		.amdhsa_system_sgpr_workgroup_id_z 0
		.amdhsa_system_sgpr_workgroup_info 0
		.amdhsa_system_vgpr_workitem_id 0
		.amdhsa_next_free_vgpr 24
		.amdhsa_next_free_sgpr 44
		.amdhsa_accum_offset 24
		.amdhsa_reserve_vcc 1
		.amdhsa_float_round_mode_32 0
		.amdhsa_float_round_mode_16_64 0
		.amdhsa_float_denorm_mode_32 3
		.amdhsa_float_denorm_mode_16_64 3
		.amdhsa_dx10_clamp 1
		.amdhsa_ieee_mode 1
		.amdhsa_fp16_overflow 0
		.amdhsa_tg_split 0
		.amdhsa_exception_fp_ieee_invalid_op 0
		.amdhsa_exception_fp_denorm_src 0
		.amdhsa_exception_fp_ieee_div_zero 0
		.amdhsa_exception_fp_ieee_overflow 0
		.amdhsa_exception_fp_ieee_underflow 0
		.amdhsa_exception_fp_ieee_inexact 0
		.amdhsa_exception_int_div_zero 0
	.end_amdhsa_kernel
	.section	.text._ZN7rocprim17ROCPRIM_304000_NS6detail26onesweep_histograms_kernelINS1_34wrapped_radix_sort_onesweep_configINS0_14default_configE6__halfN2at4cuda3cub6detail10OpaqueTypeILi8EEEEELb0EPKS5_mNS0_19identity_decomposerEEEvT1_PT2_SH_SH_T3_jj,"axG",@progbits,_ZN7rocprim17ROCPRIM_304000_NS6detail26onesweep_histograms_kernelINS1_34wrapped_radix_sort_onesweep_configINS0_14default_configE6__halfN2at4cuda3cub6detail10OpaqueTypeILi8EEEEELb0EPKS5_mNS0_19identity_decomposerEEEvT1_PT2_SH_SH_T3_jj,comdat
.Lfunc_end197:
	.size	_ZN7rocprim17ROCPRIM_304000_NS6detail26onesweep_histograms_kernelINS1_34wrapped_radix_sort_onesweep_configINS0_14default_configE6__halfN2at4cuda3cub6detail10OpaqueTypeILi8EEEEELb0EPKS5_mNS0_19identity_decomposerEEEvT1_PT2_SH_SH_T3_jj, .Lfunc_end197-_ZN7rocprim17ROCPRIM_304000_NS6detail26onesweep_histograms_kernelINS1_34wrapped_radix_sort_onesweep_configINS0_14default_configE6__halfN2at4cuda3cub6detail10OpaqueTypeILi8EEEEELb0EPKS5_mNS0_19identity_decomposerEEEvT1_PT2_SH_SH_T3_jj
                                        ; -- End function
	.set _ZN7rocprim17ROCPRIM_304000_NS6detail26onesweep_histograms_kernelINS1_34wrapped_radix_sort_onesweep_configINS0_14default_configE6__halfN2at4cuda3cub6detail10OpaqueTypeILi8EEEEELb0EPKS5_mNS0_19identity_decomposerEEEvT1_PT2_SH_SH_T3_jj.num_vgpr, 24
	.set _ZN7rocprim17ROCPRIM_304000_NS6detail26onesweep_histograms_kernelINS1_34wrapped_radix_sort_onesweep_configINS0_14default_configE6__halfN2at4cuda3cub6detail10OpaqueTypeILi8EEEEELb0EPKS5_mNS0_19identity_decomposerEEEvT1_PT2_SH_SH_T3_jj.num_agpr, 0
	.set _ZN7rocprim17ROCPRIM_304000_NS6detail26onesweep_histograms_kernelINS1_34wrapped_radix_sort_onesweep_configINS0_14default_configE6__halfN2at4cuda3cub6detail10OpaqueTypeILi8EEEEELb0EPKS5_mNS0_19identity_decomposerEEEvT1_PT2_SH_SH_T3_jj.numbered_sgpr, 44
	.set _ZN7rocprim17ROCPRIM_304000_NS6detail26onesweep_histograms_kernelINS1_34wrapped_radix_sort_onesweep_configINS0_14default_configE6__halfN2at4cuda3cub6detail10OpaqueTypeILi8EEEEELb0EPKS5_mNS0_19identity_decomposerEEEvT1_PT2_SH_SH_T3_jj.num_named_barrier, 0
	.set _ZN7rocprim17ROCPRIM_304000_NS6detail26onesweep_histograms_kernelINS1_34wrapped_radix_sort_onesweep_configINS0_14default_configE6__halfN2at4cuda3cub6detail10OpaqueTypeILi8EEEEELb0EPKS5_mNS0_19identity_decomposerEEEvT1_PT2_SH_SH_T3_jj.private_seg_size, 0
	.set _ZN7rocprim17ROCPRIM_304000_NS6detail26onesweep_histograms_kernelINS1_34wrapped_radix_sort_onesweep_configINS0_14default_configE6__halfN2at4cuda3cub6detail10OpaqueTypeILi8EEEEELb0EPKS5_mNS0_19identity_decomposerEEEvT1_PT2_SH_SH_T3_jj.uses_vcc, 1
	.set _ZN7rocprim17ROCPRIM_304000_NS6detail26onesweep_histograms_kernelINS1_34wrapped_radix_sort_onesweep_configINS0_14default_configE6__halfN2at4cuda3cub6detail10OpaqueTypeILi8EEEEELb0EPKS5_mNS0_19identity_decomposerEEEvT1_PT2_SH_SH_T3_jj.uses_flat_scratch, 0
	.set _ZN7rocprim17ROCPRIM_304000_NS6detail26onesweep_histograms_kernelINS1_34wrapped_radix_sort_onesweep_configINS0_14default_configE6__halfN2at4cuda3cub6detail10OpaqueTypeILi8EEEEELb0EPKS5_mNS0_19identity_decomposerEEEvT1_PT2_SH_SH_T3_jj.has_dyn_sized_stack, 0
	.set _ZN7rocprim17ROCPRIM_304000_NS6detail26onesweep_histograms_kernelINS1_34wrapped_radix_sort_onesweep_configINS0_14default_configE6__halfN2at4cuda3cub6detail10OpaqueTypeILi8EEEEELb0EPKS5_mNS0_19identity_decomposerEEEvT1_PT2_SH_SH_T3_jj.has_recursion, 0
	.set _ZN7rocprim17ROCPRIM_304000_NS6detail26onesweep_histograms_kernelINS1_34wrapped_radix_sort_onesweep_configINS0_14default_configE6__halfN2at4cuda3cub6detail10OpaqueTypeILi8EEEEELb0EPKS5_mNS0_19identity_decomposerEEEvT1_PT2_SH_SH_T3_jj.has_indirect_call, 0
	.section	.AMDGPU.csdata,"",@progbits
; Kernel info:
; codeLenInByte = 5540
; TotalNumSgprs: 50
; NumVgprs: 24
; NumAgprs: 0
; TotalNumVgprs: 24
; ScratchSize: 0
; MemoryBound: 0
; FloatMode: 240
; IeeeMode: 1
; LDSByteSize: 8192 bytes/workgroup (compile time only)
; SGPRBlocks: 6
; VGPRBlocks: 2
; NumSGPRsForWavesPerEU: 50
; NumVGPRsForWavesPerEU: 24
; AccumOffset: 24
; Occupancy: 8
; WaveLimiterHint : 1
; COMPUTE_PGM_RSRC2:SCRATCH_EN: 0
; COMPUTE_PGM_RSRC2:USER_SGPR: 2
; COMPUTE_PGM_RSRC2:TRAP_HANDLER: 0
; COMPUTE_PGM_RSRC2:TGID_X_EN: 1
; COMPUTE_PGM_RSRC2:TGID_Y_EN: 0
; COMPUTE_PGM_RSRC2:TGID_Z_EN: 0
; COMPUTE_PGM_RSRC2:TIDIG_COMP_CNT: 0
; COMPUTE_PGM_RSRC3_GFX90A:ACCUM_OFFSET: 5
; COMPUTE_PGM_RSRC3_GFX90A:TG_SPLIT: 0
	.section	.text._ZN7rocprim17ROCPRIM_304000_NS6detail25onesweep_iteration_kernelINS1_34wrapped_radix_sort_onesweep_configINS0_14default_configE6__halfN2at4cuda3cub6detail10OpaqueTypeILi8EEEEELb0EPKS5_PS5_PKSB_PSB_mNS0_19identity_decomposerEEEvT1_T2_T3_T4_jPT5_SP_PNS1_23onesweep_lookback_stateET6_jjj,"axG",@progbits,_ZN7rocprim17ROCPRIM_304000_NS6detail25onesweep_iteration_kernelINS1_34wrapped_radix_sort_onesweep_configINS0_14default_configE6__halfN2at4cuda3cub6detail10OpaqueTypeILi8EEEEELb0EPKS5_PS5_PKSB_PSB_mNS0_19identity_decomposerEEEvT1_T2_T3_T4_jPT5_SP_PNS1_23onesweep_lookback_stateET6_jjj,comdat
	.protected	_ZN7rocprim17ROCPRIM_304000_NS6detail25onesweep_iteration_kernelINS1_34wrapped_radix_sort_onesweep_configINS0_14default_configE6__halfN2at4cuda3cub6detail10OpaqueTypeILi8EEEEELb0EPKS5_PS5_PKSB_PSB_mNS0_19identity_decomposerEEEvT1_T2_T3_T4_jPT5_SP_PNS1_23onesweep_lookback_stateET6_jjj ; -- Begin function _ZN7rocprim17ROCPRIM_304000_NS6detail25onesweep_iteration_kernelINS1_34wrapped_radix_sort_onesweep_configINS0_14default_configE6__halfN2at4cuda3cub6detail10OpaqueTypeILi8EEEEELb0EPKS5_PS5_PKSB_PSB_mNS0_19identity_decomposerEEEvT1_T2_T3_T4_jPT5_SP_PNS1_23onesweep_lookback_stateET6_jjj
	.globl	_ZN7rocprim17ROCPRIM_304000_NS6detail25onesweep_iteration_kernelINS1_34wrapped_radix_sort_onesweep_configINS0_14default_configE6__halfN2at4cuda3cub6detail10OpaqueTypeILi8EEEEELb0EPKS5_PS5_PKSB_PSB_mNS0_19identity_decomposerEEEvT1_T2_T3_T4_jPT5_SP_PNS1_23onesweep_lookback_stateET6_jjj
	.p2align	8
	.type	_ZN7rocprim17ROCPRIM_304000_NS6detail25onesweep_iteration_kernelINS1_34wrapped_radix_sort_onesweep_configINS0_14default_configE6__halfN2at4cuda3cub6detail10OpaqueTypeILi8EEEEELb0EPKS5_PS5_PKSB_PSB_mNS0_19identity_decomposerEEEvT1_T2_T3_T4_jPT5_SP_PNS1_23onesweep_lookback_stateET6_jjj,@function
_ZN7rocprim17ROCPRIM_304000_NS6detail25onesweep_iteration_kernelINS1_34wrapped_radix_sort_onesweep_configINS0_14default_configE6__halfN2at4cuda3cub6detail10OpaqueTypeILi8EEEEELb0EPKS5_PS5_PKSB_PSB_mNS0_19identity_decomposerEEEvT1_T2_T3_T4_jPT5_SP_PNS1_23onesweep_lookback_stateET6_jjj: ; @_ZN7rocprim17ROCPRIM_304000_NS6detail25onesweep_iteration_kernelINS1_34wrapped_radix_sort_onesweep_configINS0_14default_configE6__halfN2at4cuda3cub6detail10OpaqueTypeILi8EEEEELb0EPKS5_PS5_PKSB_PSB_mNS0_19identity_decomposerEEEvT1_T2_T3_T4_jPT5_SP_PNS1_23onesweep_lookback_stateET6_jjj
; %bb.0:
	s_load_dwordx8 s[56:63], s[0:1], 0x0
	s_load_dwordx4 s[68:71], s[0:1], 0x44
	s_load_dwordx4 s[64:67], s[0:1], 0x28
	s_load_dwordx2 s[72:73], s[0:1], 0x38
	s_mov_b32 s3, s2
	s_mov_b64 s[4:5], -1
	s_waitcnt lgkmcnt(0)
	s_cmp_ge_u32 s2, s70
	s_mul_i32 s54, s2, 0xc00
	v_mbcnt_lo_u32_b32 v1, -1, 0
	s_cbranch_scc0 .LBB198_152
; %bb.1:
	s_load_dword s6, s[0:1], 0x20
	s_mulk_i32 s70, 0xf400
	s_mov_b32 s55, 0
	s_lshl_b64 s[4:5], s[54:55], 1
	v_mbcnt_hi_u32_b32 v3, -1, v1
	s_waitcnt lgkmcnt(0)
	s_add_i32 s70, s70, s6
	s_add_u32 s4, s56, s4
	v_and_b32_e32 v8, 0xc0, v0
	s_addc_u32 s5, s57, s5
	v_mul_u32_u24_e32 v14, 12, v8
	v_mov_b32_e32 v5, 0
	v_lshlrev_b32_e32 v4, 1, v3
	v_lshl_add_u64 v[6:7], s[4:5], 0, v[4:5]
	v_lshlrev_b32_e32 v4, 1, v14
	v_lshl_add_u64 v[4:5], v[6:7], 0, v[4:5]
	v_or_b32_e32 v7, v3, v14
	v_cmp_gt_u32_e32 vcc, s70, v7
	v_mov_b32_e32 v11, 0x7fff
	v_mov_b32_e32 v6, 0x7fff
	s_and_saveexec_b64 s[4:5], vcc
	s_cbranch_execz .LBB198_3
; %bb.2:
	global_load_ushort v6, v[4:5], off
.LBB198_3:
	s_or_b64 exec, exec, s[4:5]
	v_add_u32_e32 v2, 64, v7
	v_cmp_gt_u32_e64 s[50:51], s70, v2
	s_and_saveexec_b64 s[4:5], s[50:51]
	s_cbranch_execz .LBB198_5
; %bb.4:
	global_load_ushort v11, v[4:5], off offset:128
.LBB198_5:
	s_or_b64 exec, exec, s[4:5]
	v_add_u32_e32 v2, 0x80, v7
	v_cmp_gt_u32_e64 s[4:5], s70, v2
	v_mov_b32_e32 v23, 0x7fff
	v_mov_b32_e32 v19, 0x7fff
	s_and_saveexec_b64 s[6:7], s[4:5]
	s_cbranch_execz .LBB198_7
; %bb.6:
	global_load_ushort v19, v[4:5], off offset:256
.LBB198_7:
	s_or_b64 exec, exec, s[6:7]
	v_add_u32_e32 v2, 0xc0, v7
	v_cmp_gt_u32_e64 s[6:7], s70, v2
	s_and_saveexec_b64 s[8:9], s[6:7]
	s_cbranch_execz .LBB198_9
; %bb.8:
	global_load_ushort v23, v[4:5], off offset:384
.LBB198_9:
	s_or_b64 exec, exec, s[8:9]
	v_add_u32_e32 v2, 0x100, v7
	v_cmp_gt_u32_e64 s[8:9], s70, v2
	v_mov_b32_e32 v35, 0x7fff
	v_mov_b32_e32 v29, 0x7fff
	s_and_saveexec_b64 s[10:11], s[8:9]
	s_cbranch_execz .LBB198_11
; %bb.10:
	global_load_ushort v29, v[4:5], off offset:512
.LBB198_11:
	;; [unrolled: 18-line block ×5, first 2 shown]
	s_or_b64 exec, exec, s[10:11]
	v_add_u32_e32 v7, 0x2c0, v7
	v_and_b32_e32 v2, 0x3ff, v0
	v_cmp_gt_u32_e64 s[10:11], s70, v7
	s_and_saveexec_b64 s[24:25], s[10:11]
	s_cbranch_execz .LBB198_25
; %bb.24:
	global_load_ushort v16, v[4:5], off offset:1408
.LBB198_25:
	s_or_b64 exec, exec, s[24:25]
	s_load_dword s24, s[0:1], 0x5c
	s_load_dword s33, s[0:1], 0x50
	s_add_u32 s25, s0, 0x50
	s_addc_u32 s26, s1, 0
	v_mov_b32_e32 v5, 0
	s_waitcnt lgkmcnt(0)
	s_lshr_b32 s27, s24, 16
	s_cmp_lt_u32 s2, s33
	s_cselect_b32 s24, 12, 18
	s_add_u32 s24, s25, s24
	s_addc_u32 s25, s26, 0
	global_load_ushort v17, v5, s[24:25]
	v_mov_b32_e32 v15, 0xffff8000
	s_waitcnt vmcnt(1)
	v_cmp_lt_i16_e64 s[24:25], -1, v6
	s_movk_i32 s40, 0x7fff
	v_bfe_u32 v4, v0, 10, 10
	v_cndmask_b32_e64 v10, -1, v15, s[24:25]
	v_xor_b32_e32 v10, v10, v6
	v_cmp_ne_u16_e64 s[24:25], s40, v10
	v_bfe_u32 v7, v0, 20, 10
	v_mad_u32_u24 v18, v7, s27, v4
	v_cndmask_b32_e64 v6, v15, v10, s[24:25]
	v_lshrrev_b32_sdwa v6, s68, v6 dst_sel:DWORD dst_unused:UNUSED_PAD src0_sel:DWORD src1_sel:WORD_0
	s_lshl_b32 s24, -1, s69
	v_bitop3_b32 v20, v6, s24, v6 bitop3:0x30
	v_and_b32_e32 v4, 1, v20
	v_lshlrev_b32_e32 v13, 30, v20
	v_mov_b32_e32 v12, v5
	v_mov_b32_e32 v24, v5
	s_not_b32 s74, s24
	v_lshlrev_b32_e32 v25, 29, v20
	v_lshlrev_b32_e32 v43, 25, v20
	v_lshl_add_u64 v[6:7], v[4:5], 0, -1
	v_cmp_ne_u32_e64 s[24:25], 0, v4
	v_not_b32_e32 v4, v13
	v_lshlrev_b32_e32 v33, 28, v20
	v_cmp_gt_i64_e64 s[26:27], 0, v[12:13]
	v_cmp_gt_i64_e64 s[28:29], 0, v[24:25]
	v_not_b32_e32 v12, v25
	v_not_b32_e32 v25, v43
	v_xor_b32_e32 v7, s25, v7
	v_ashrrev_i32_e32 v4, 31, v4
	v_mov_b32_e32 v32, v5
	v_lshlrev_b32_e32 v37, 27, v20
	v_not_b32_e32 v13, v33
	v_xor_b32_e32 v6, s24, v6
	v_ashrrev_i32_e32 v12, 31, v12
	v_ashrrev_i32_e32 v27, 31, v25
	v_and_b32_e32 v7, exec_hi, v7
	v_xor_b32_e32 v25, s27, v4
	v_mov_b32_e32 v36, v5
	v_lshlrev_b32_e32 v41, 26, v20
	v_cmp_gt_i64_e64 s[30:31], 0, v[32:33]
	v_not_b32_e32 v22, v37
	v_ashrrev_i32_e32 v13, 31, v13
	v_and_b32_e32 v6, exec_lo, v6
	v_xor_b32_e32 v4, s26, v4
	v_xor_b32_e32 v28, s29, v12
	v_and_b32_e32 v7, v7, v25
	v_mov_b32_e32 v40, v5
	v_cmp_gt_i64_e64 s[34:35], 0, v[36:37]
	v_not_b32_e32 v24, v41
	v_ashrrev_i32_e32 v22, 31, v22
	v_xor_b32_e32 v30, s31, v13
	v_and_b32_e32 v4, v6, v4
	v_and_b32_e32 v6, v7, v28
	v_cmp_gt_i64_e64 s[36:37], 0, v[40:41]
	v_ashrrev_i32_e32 v24, 31, v24
	v_xor_b32_e32 v12, s28, v12
	v_xor_b32_e32 v32, s35, v22
	v_and_b32_e32 v6, v6, v30
	v_xor_b32_e32 v13, s30, v13
	v_xor_b32_e32 v33, s37, v24
	v_and_b32_e32 v4, v4, v12
	v_and_b32_e32 v6, v6, v32
	v_mov_b32_e32 v42, v5
	v_xor_b32_e32 v22, s34, v22
	v_and_b32_e32 v4, v4, v13
	v_and_b32_e32 v12, v6, v33
	v_cmp_gt_i64_e64 s[38:39], 0, v[42:43]
	v_xor_b32_e32 v24, s36, v24
	v_and_b32_e32 v4, v4, v22
	v_and_b32_e32 v4, v4, v24
	v_mul_u32_u24_e32 v9, 20, v2
	ds_write2_b32 v9, v5, v5 offset0:4 offset1:5
	ds_write2_b32 v9, v5, v5 offset0:6 offset1:7
	ds_write_b32 v9, v5 offset:32
	s_waitcnt lgkmcnt(0)
	s_barrier
	s_waitcnt vmcnt(0)
	; wave barrier
	v_mad_u64_u32 v[6:7], s[24:25], v18, v17, v[2:3]
	v_lshrrev_b32_e32 v6, 6, v6
	v_lshlrev_b32_e32 v25, 2, v6
	v_xor_b32_e32 v6, s39, v27
	v_xor_b32_e32 v7, s38, v27
	v_and_b32_e32 v12, v12, v6
	v_and_b32_e32 v4, v4, v7
	v_lshlrev_b32_e32 v7, 24, v20
	v_mov_b32_e32 v6, v5
	v_cmp_gt_i64_e64 s[24:25], 0, v[6:7]
	v_not_b32_e32 v6, v7
	v_ashrrev_i32_e32 v6, 31, v6
	v_xor_b32_e32 v7, s25, v6
	v_xor_b32_e32 v6, s24, v6
	v_and_b32_e32 v6, v4, v6
	v_and_b32_e32 v7, v12, v7
	v_mbcnt_lo_u32_b32 v4, v6, 0
	v_mbcnt_hi_u32_b32 v12, v7, v4
	v_cmp_eq_u32_e64 s[24:25], 0, v12
	v_cmp_ne_u64_e64 s[26:27], 0, v[6:7]
	v_mad_u32_u24 v13, v20, 20, v25
	s_and_b64 s[26:27], s[26:27], s[24:25]
	s_and_saveexec_b64 s[24:25], s[26:27]
; %bb.26:
	v_bcnt_u32_b32 v4, v6, 0
	v_bcnt_u32_b32 v4, v7, v4
	ds_write_b32 v13, v4 offset:16
; %bb.27:
	s_or_b64 exec, exec, s[24:25]
	v_cmp_lt_i16_e64 s[24:25], -1, v11
	; wave barrier
	s_nop 1
	v_cndmask_b32_e64 v4, -1, v15, s[24:25]
	v_xor_b32_e32 v11, v4, v11
	v_cmp_ne_u16_e64 s[24:25], s40, v11
	s_nop 1
	v_cndmask_b32_e64 v4, v15, v11, s[24:25]
	v_lshrrev_b32_sdwa v4, s68, v4 dst_sel:DWORD dst_unused:UNUSED_PAD src0_sel:DWORD src1_sel:WORD_0
	v_and_b32_e32 v18, s74, v4
	v_and_b32_e32 v4, 1, v18
	v_lshl_add_u64 v[6:7], v[4:5], 0, -1
	v_cmp_ne_u32_e64 s[24:25], 0, v4
	v_mad_u32_u24 v17, v18, 20, v25
	ds_read_b32 v15, v17 offset:16
	v_xor_b32_e32 v6, s24, v6
	v_xor_b32_e32 v4, s25, v7
	v_and_b32_e32 v20, exec_lo, v6
	v_lshlrev_b32_e32 v7, 30, v18
	v_mov_b32_e32 v6, v5
	v_cmp_gt_i64_e64 s[24:25], 0, v[6:7]
	v_not_b32_e32 v6, v7
	v_ashrrev_i32_e32 v6, 31, v6
	v_and_b32_e32 v4, exec_hi, v4
	v_xor_b32_e32 v7, s25, v6
	v_xor_b32_e32 v6, s24, v6
	v_and_b32_e32 v4, v4, v7
	v_and_b32_e32 v20, v20, v6
	v_lshlrev_b32_e32 v7, 29, v18
	v_mov_b32_e32 v6, v5
	v_cmp_gt_i64_e64 s[24:25], 0, v[6:7]
	v_not_b32_e32 v6, v7
	v_ashrrev_i32_e32 v6, 31, v6
	v_xor_b32_e32 v7, s25, v6
	v_xor_b32_e32 v6, s24, v6
	v_and_b32_e32 v4, v4, v7
	v_and_b32_e32 v20, v20, v6
	v_lshlrev_b32_e32 v7, 28, v18
	v_mov_b32_e32 v6, v5
	v_cmp_gt_i64_e64 s[24:25], 0, v[6:7]
	v_not_b32_e32 v6, v7
	v_ashrrev_i32_e32 v6, 31, v6
	;; [unrolled: 9-line block ×5, first 2 shown]
	v_xor_b32_e32 v7, s25, v6
	v_xor_b32_e32 v6, s24, v6
	v_and_b32_e32 v4, v4, v7
	v_lshlrev_b32_e32 v7, 24, v18
	v_and_b32_e32 v20, v20, v6
	v_mov_b32_e32 v6, v5
	v_not_b32_e32 v5, v7
	v_cmp_gt_i64_e64 s[24:25], 0, v[6:7]
	v_ashrrev_i32_e32 v5, 31, v5
	s_nop 0
	v_xor_b32_e32 v6, s25, v5
	v_xor_b32_e32 v7, s24, v5
	v_and_b32_e32 v5, v4, v6
	v_and_b32_e32 v4, v20, v7
	v_mbcnt_lo_u32_b32 v6, v4, 0
	v_mbcnt_hi_u32_b32 v18, v5, v6
	v_cmp_eq_u32_e64 s[24:25], 0, v18
	v_cmp_ne_u64_e64 s[26:27], 0, v[4:5]
	s_and_b64 s[26:27], s[26:27], s[24:25]
	; wave barrier
	s_and_saveexec_b64 s[24:25], s[26:27]
	s_cbranch_execz .LBB198_29
; %bb.28:
	v_bcnt_u32_b32 v4, v4, 0
	v_bcnt_u32_b32 v4, v5, v4
	s_waitcnt lgkmcnt(0)
	v_add_u32_e32 v4, v15, v4
	ds_write_b32 v17, v4 offset:16
.LBB198_29:
	s_or_b64 exec, exec, s[24:25]
	v_mov_b32_e32 v27, 0xffff8000
	v_cmp_lt_i16_e64 s[24:25], -1, v19
	s_movk_i32 s28, 0x7fff
	v_mov_b32_e32 v5, 0
	v_cndmask_b32_e64 v4, -1, v27, s[24:25]
	v_xor_b32_e32 v19, v4, v19
	v_cmp_ne_u16_e64 s[24:25], s28, v19
	; wave barrier
	s_nop 1
	v_cndmask_b32_e64 v4, v27, v19, s[24:25]
	v_lshrrev_b32_sdwa v4, s68, v4 dst_sel:DWORD dst_unused:UNUSED_PAD src0_sel:DWORD src1_sel:WORD_0
	v_and_b32_e32 v24, s74, v4
	v_and_b32_e32 v4, 1, v24
	v_lshl_add_u64 v[6:7], v[4:5], 0, -1
	v_cmp_ne_u32_e64 s[24:25], 0, v4
	v_mad_u32_u24 v22, v24, 20, v25
	ds_read_b32 v20, v22 offset:16
	v_xor_b32_e32 v6, s24, v6
	v_xor_b32_e32 v4, s25, v7
	v_and_b32_e32 v28, exec_lo, v6
	v_lshlrev_b32_e32 v7, 30, v24
	v_mov_b32_e32 v6, v5
	v_cmp_gt_i64_e64 s[24:25], 0, v[6:7]
	v_not_b32_e32 v6, v7
	v_ashrrev_i32_e32 v6, 31, v6
	v_and_b32_e32 v4, exec_hi, v4
	v_xor_b32_e32 v7, s25, v6
	v_xor_b32_e32 v6, s24, v6
	v_and_b32_e32 v4, v4, v7
	v_and_b32_e32 v28, v28, v6
	v_lshlrev_b32_e32 v7, 29, v24
	v_mov_b32_e32 v6, v5
	v_cmp_gt_i64_e64 s[24:25], 0, v[6:7]
	v_not_b32_e32 v6, v7
	v_ashrrev_i32_e32 v6, 31, v6
	v_xor_b32_e32 v7, s25, v6
	v_xor_b32_e32 v6, s24, v6
	v_and_b32_e32 v4, v4, v7
	v_and_b32_e32 v28, v28, v6
	v_lshlrev_b32_e32 v7, 28, v24
	v_mov_b32_e32 v6, v5
	v_cmp_gt_i64_e64 s[24:25], 0, v[6:7]
	v_not_b32_e32 v6, v7
	v_ashrrev_i32_e32 v6, 31, v6
	v_xor_b32_e32 v7, s25, v6
	v_xor_b32_e32 v6, s24, v6
	v_and_b32_e32 v4, v4, v7
	v_and_b32_e32 v28, v28, v6
	v_lshlrev_b32_e32 v7, 27, v24
	v_mov_b32_e32 v6, v5
	v_cmp_gt_i64_e64 s[24:25], 0, v[6:7]
	v_not_b32_e32 v6, v7
	v_ashrrev_i32_e32 v6, 31, v6
	v_xor_b32_e32 v7, s25, v6
	v_xor_b32_e32 v6, s24, v6
	v_and_b32_e32 v4, v4, v7
	v_and_b32_e32 v28, v28, v6
	v_lshlrev_b32_e32 v7, 26, v24
	v_mov_b32_e32 v6, v5
	v_cmp_gt_i64_e64 s[24:25], 0, v[6:7]
	v_not_b32_e32 v6, v7
	v_ashrrev_i32_e32 v6, 31, v6
	v_xor_b32_e32 v7, s25, v6
	v_xor_b32_e32 v6, s24, v6
	v_and_b32_e32 v4, v4, v7
	v_and_b32_e32 v28, v28, v6
	v_lshlrev_b32_e32 v7, 25, v24
	v_mov_b32_e32 v6, v5
	v_cmp_gt_i64_e64 s[24:25], 0, v[6:7]
	v_not_b32_e32 v6, v7
	v_ashrrev_i32_e32 v6, 31, v6
	v_xor_b32_e32 v7, s25, v6
	v_xor_b32_e32 v6, s24, v6
	v_and_b32_e32 v4, v4, v7
	v_and_b32_e32 v28, v28, v6
	v_lshlrev_b32_e32 v7, 24, v24
	v_mov_b32_e32 v6, v5
	v_cmp_gt_i64_e64 s[24:25], 0, v[6:7]
	v_not_b32_e32 v6, v7
	v_ashrrev_i32_e32 v6, 31, v6
	v_xor_b32_e32 v7, s25, v6
	v_xor_b32_e32 v6, s24, v6
	v_and_b32_e32 v6, v28, v6
	v_and_b32_e32 v7, v4, v7
	v_mbcnt_lo_u32_b32 v4, v6, 0
	v_mbcnt_hi_u32_b32 v24, v7, v4
	v_cmp_eq_u32_e64 s[24:25], 0, v24
	v_cmp_ne_u64_e64 s[26:27], 0, v[6:7]
	s_and_b64 s[26:27], s[26:27], s[24:25]
	; wave barrier
	s_and_saveexec_b64 s[24:25], s[26:27]
	s_cbranch_execz .LBB198_31
; %bb.30:
	v_bcnt_u32_b32 v4, v6, 0
	v_bcnt_u32_b32 v4, v7, v4
	s_waitcnt lgkmcnt(0)
	v_add_u32_e32 v4, v20, v4
	ds_write_b32 v22, v4 offset:16
.LBB198_31:
	s_or_b64 exec, exec, s[24:25]
	v_cmp_lt_i16_e64 s[24:25], -1, v23
	; wave barrier
	s_nop 1
	v_cndmask_b32_e64 v4, -1, v27, s[24:25]
	v_xor_b32_e32 v23, v4, v23
	v_cmp_ne_u16_e64 s[24:25], s28, v23
	s_nop 1
	v_cndmask_b32_e64 v4, v27, v23, s[24:25]
	v_lshrrev_b32_sdwa v4, s68, v4 dst_sel:DWORD dst_unused:UNUSED_PAD src0_sel:DWORD src1_sel:WORD_0
	v_and_b32_e32 v30, s74, v4
	v_and_b32_e32 v4, 1, v30
	v_lshl_add_u64 v[6:7], v[4:5], 0, -1
	v_cmp_ne_u32_e64 s[24:25], 0, v4
	v_mad_u32_u24 v28, v30, 20, v25
	ds_read_b32 v27, v28 offset:16
	v_xor_b32_e32 v6, s24, v6
	v_xor_b32_e32 v4, s25, v7
	v_and_b32_e32 v32, exec_lo, v6
	v_lshlrev_b32_e32 v7, 30, v30
	v_mov_b32_e32 v6, v5
	v_cmp_gt_i64_e64 s[24:25], 0, v[6:7]
	v_not_b32_e32 v6, v7
	v_ashrrev_i32_e32 v6, 31, v6
	v_and_b32_e32 v4, exec_hi, v4
	v_xor_b32_e32 v7, s25, v6
	v_xor_b32_e32 v6, s24, v6
	v_and_b32_e32 v4, v4, v7
	v_and_b32_e32 v32, v32, v6
	v_lshlrev_b32_e32 v7, 29, v30
	v_mov_b32_e32 v6, v5
	v_cmp_gt_i64_e64 s[24:25], 0, v[6:7]
	v_not_b32_e32 v6, v7
	v_ashrrev_i32_e32 v6, 31, v6
	v_xor_b32_e32 v7, s25, v6
	v_xor_b32_e32 v6, s24, v6
	v_and_b32_e32 v4, v4, v7
	v_and_b32_e32 v32, v32, v6
	v_lshlrev_b32_e32 v7, 28, v30
	v_mov_b32_e32 v6, v5
	v_cmp_gt_i64_e64 s[24:25], 0, v[6:7]
	v_not_b32_e32 v6, v7
	v_ashrrev_i32_e32 v6, 31, v6
	;; [unrolled: 9-line block ×5, first 2 shown]
	v_xor_b32_e32 v7, s25, v6
	v_xor_b32_e32 v6, s24, v6
	v_and_b32_e32 v4, v4, v7
	v_lshlrev_b32_e32 v7, 24, v30
	v_and_b32_e32 v32, v32, v6
	v_mov_b32_e32 v6, v5
	v_not_b32_e32 v5, v7
	v_cmp_gt_i64_e64 s[24:25], 0, v[6:7]
	v_ashrrev_i32_e32 v5, 31, v5
	s_nop 0
	v_xor_b32_e32 v6, s25, v5
	v_xor_b32_e32 v7, s24, v5
	v_and_b32_e32 v5, v4, v6
	v_and_b32_e32 v4, v32, v7
	v_mbcnt_lo_u32_b32 v6, v4, 0
	v_mbcnt_hi_u32_b32 v30, v5, v6
	v_cmp_eq_u32_e64 s[24:25], 0, v30
	v_cmp_ne_u64_e64 s[26:27], 0, v[4:5]
	s_and_b64 s[26:27], s[26:27], s[24:25]
	; wave barrier
	s_and_saveexec_b64 s[24:25], s[26:27]
	s_cbranch_execz .LBB198_33
; %bb.32:
	v_bcnt_u32_b32 v4, v4, 0
	v_bcnt_u32_b32 v4, v5, v4
	s_waitcnt lgkmcnt(0)
	v_add_u32_e32 v4, v27, v4
	ds_write_b32 v28, v4 offset:16
.LBB198_33:
	s_or_b64 exec, exec, s[24:25]
	v_mov_b32_e32 v37, 0xffff8000
	v_cmp_lt_i16_e64 s[24:25], -1, v29
	v_mov_b32_e32 v5, 0
	s_nop 0
	v_cndmask_b32_e64 v4, -1, v37, s[24:25]
	v_xor_b32_e32 v29, v4, v29
	v_cmp_ne_u16_e64 s[24:25], s28, v29
	; wave barrier
	s_nop 1
	v_cndmask_b32_e64 v4, v37, v29, s[24:25]
	v_lshrrev_b32_sdwa v4, s68, v4 dst_sel:DWORD dst_unused:UNUSED_PAD src0_sel:DWORD src1_sel:WORD_0
	v_and_b32_e32 v36, s74, v4
	v_and_b32_e32 v4, 1, v36
	v_lshl_add_u64 v[6:7], v[4:5], 0, -1
	v_cmp_ne_u32_e64 s[24:25], 0, v4
	v_mad_u32_u24 v33, v36, 20, v25
	ds_read_b32 v32, v33 offset:16
	v_xor_b32_e32 v6, s24, v6
	v_xor_b32_e32 v4, s25, v7
	v_and_b32_e32 v38, exec_lo, v6
	v_lshlrev_b32_e32 v7, 30, v36
	v_mov_b32_e32 v6, v5
	v_cmp_gt_i64_e64 s[24:25], 0, v[6:7]
	v_not_b32_e32 v6, v7
	v_ashrrev_i32_e32 v6, 31, v6
	v_and_b32_e32 v4, exec_hi, v4
	v_xor_b32_e32 v7, s25, v6
	v_xor_b32_e32 v6, s24, v6
	v_and_b32_e32 v4, v4, v7
	v_and_b32_e32 v38, v38, v6
	v_lshlrev_b32_e32 v7, 29, v36
	v_mov_b32_e32 v6, v5
	v_cmp_gt_i64_e64 s[24:25], 0, v[6:7]
	v_not_b32_e32 v6, v7
	v_ashrrev_i32_e32 v6, 31, v6
	v_xor_b32_e32 v7, s25, v6
	v_xor_b32_e32 v6, s24, v6
	v_and_b32_e32 v4, v4, v7
	v_and_b32_e32 v38, v38, v6
	v_lshlrev_b32_e32 v7, 28, v36
	v_mov_b32_e32 v6, v5
	v_cmp_gt_i64_e64 s[24:25], 0, v[6:7]
	v_not_b32_e32 v6, v7
	v_ashrrev_i32_e32 v6, 31, v6
	;; [unrolled: 9-line block ×6, first 2 shown]
	v_xor_b32_e32 v7, s25, v6
	v_xor_b32_e32 v6, s24, v6
	v_and_b32_e32 v6, v38, v6
	v_and_b32_e32 v7, v4, v7
	v_mbcnt_lo_u32_b32 v4, v6, 0
	v_mbcnt_hi_u32_b32 v36, v7, v4
	v_cmp_eq_u32_e64 s[24:25], 0, v36
	v_cmp_ne_u64_e64 s[26:27], 0, v[6:7]
	s_and_b64 s[26:27], s[26:27], s[24:25]
	; wave barrier
	s_and_saveexec_b64 s[24:25], s[26:27]
	s_cbranch_execz .LBB198_35
; %bb.34:
	v_bcnt_u32_b32 v4, v6, 0
	v_bcnt_u32_b32 v4, v7, v4
	s_waitcnt lgkmcnt(0)
	v_add_u32_e32 v4, v32, v4
	ds_write_b32 v33, v4 offset:16
.LBB198_35:
	s_or_b64 exec, exec, s[24:25]
	v_cmp_lt_i16_e64 s[24:25], -1, v35
	; wave barrier
	s_nop 1
	v_cndmask_b32_e64 v4, -1, v37, s[24:25]
	v_xor_b32_e32 v35, v4, v35
	v_cmp_ne_u16_e64 s[24:25], s28, v35
	s_nop 1
	v_cndmask_b32_e64 v4, v37, v35, s[24:25]
	v_lshrrev_b32_sdwa v4, s68, v4 dst_sel:DWORD dst_unused:UNUSED_PAD src0_sel:DWORD src1_sel:WORD_0
	v_and_b32_e32 v40, s74, v4
	v_and_b32_e32 v4, 1, v40
	v_lshl_add_u64 v[6:7], v[4:5], 0, -1
	v_cmp_ne_u32_e64 s[24:25], 0, v4
	v_mad_u32_u24 v38, v40, 20, v25
	ds_read_b32 v37, v38 offset:16
	v_xor_b32_e32 v6, s24, v6
	v_xor_b32_e32 v4, s25, v7
	v_and_b32_e32 v41, exec_lo, v6
	v_lshlrev_b32_e32 v7, 30, v40
	v_mov_b32_e32 v6, v5
	v_cmp_gt_i64_e64 s[24:25], 0, v[6:7]
	v_not_b32_e32 v6, v7
	v_ashrrev_i32_e32 v6, 31, v6
	v_and_b32_e32 v4, exec_hi, v4
	v_xor_b32_e32 v7, s25, v6
	v_xor_b32_e32 v6, s24, v6
	v_and_b32_e32 v4, v4, v7
	v_and_b32_e32 v41, v41, v6
	v_lshlrev_b32_e32 v7, 29, v40
	v_mov_b32_e32 v6, v5
	v_cmp_gt_i64_e64 s[24:25], 0, v[6:7]
	v_not_b32_e32 v6, v7
	v_ashrrev_i32_e32 v6, 31, v6
	v_xor_b32_e32 v7, s25, v6
	v_xor_b32_e32 v6, s24, v6
	v_and_b32_e32 v4, v4, v7
	v_and_b32_e32 v41, v41, v6
	v_lshlrev_b32_e32 v7, 28, v40
	v_mov_b32_e32 v6, v5
	v_cmp_gt_i64_e64 s[24:25], 0, v[6:7]
	v_not_b32_e32 v6, v7
	v_ashrrev_i32_e32 v6, 31, v6
	;; [unrolled: 9-line block ×5, first 2 shown]
	v_xor_b32_e32 v7, s25, v6
	v_xor_b32_e32 v6, s24, v6
	v_and_b32_e32 v4, v4, v7
	v_lshlrev_b32_e32 v7, 24, v40
	v_and_b32_e32 v41, v41, v6
	v_mov_b32_e32 v6, v5
	v_not_b32_e32 v5, v7
	v_cmp_gt_i64_e64 s[24:25], 0, v[6:7]
	v_ashrrev_i32_e32 v5, 31, v5
	s_nop 0
	v_xor_b32_e32 v6, s25, v5
	v_xor_b32_e32 v7, s24, v5
	v_and_b32_e32 v5, v4, v6
	v_and_b32_e32 v4, v41, v7
	v_mbcnt_lo_u32_b32 v6, v4, 0
	v_mbcnt_hi_u32_b32 v40, v5, v6
	v_cmp_eq_u32_e64 s[24:25], 0, v40
	v_cmp_ne_u64_e64 s[26:27], 0, v[4:5]
	s_and_b64 s[26:27], s[26:27], s[24:25]
	; wave barrier
	s_and_saveexec_b64 s[24:25], s[26:27]
	s_cbranch_execz .LBB198_37
; %bb.36:
	v_bcnt_u32_b32 v4, v4, 0
	v_bcnt_u32_b32 v4, v5, v4
	s_waitcnt lgkmcnt(0)
	v_add_u32_e32 v4, v37, v4
	ds_write_b32 v38, v4 offset:16
.LBB198_37:
	s_or_b64 exec, exec, s[24:25]
	v_mov_b32_e32 v44, 0xffff8000
	v_cmp_lt_i16_e64 s[24:25], -1, v39
	v_mov_b32_e32 v5, 0
	s_nop 0
	v_cndmask_b32_e64 v4, -1, v44, s[24:25]
	v_xor_b32_e32 v39, v4, v39
	v_cmp_ne_u16_e64 s[24:25], s28, v39
	; wave barrier
	s_nop 1
	v_cndmask_b32_e64 v4, v44, v39, s[24:25]
	v_lshrrev_b32_sdwa v4, s68, v4 dst_sel:DWORD dst_unused:UNUSED_PAD src0_sel:DWORD src1_sel:WORD_0
	v_and_b32_e32 v43, s74, v4
	v_and_b32_e32 v4, 1, v43
	v_lshl_add_u64 v[6:7], v[4:5], 0, -1
	v_cmp_ne_u32_e64 s[24:25], 0, v4
	v_mad_u32_u24 v42, v43, 20, v25
	ds_read_b32 v41, v42 offset:16
	v_xor_b32_e32 v6, s24, v6
	v_xor_b32_e32 v4, s25, v7
	v_and_b32_e32 v45, exec_lo, v6
	v_lshlrev_b32_e32 v7, 30, v43
	v_mov_b32_e32 v6, v5
	v_cmp_gt_i64_e64 s[24:25], 0, v[6:7]
	v_not_b32_e32 v6, v7
	v_ashrrev_i32_e32 v6, 31, v6
	v_and_b32_e32 v4, exec_hi, v4
	v_xor_b32_e32 v7, s25, v6
	v_xor_b32_e32 v6, s24, v6
	v_and_b32_e32 v4, v4, v7
	v_and_b32_e32 v45, v45, v6
	v_lshlrev_b32_e32 v7, 29, v43
	v_mov_b32_e32 v6, v5
	v_cmp_gt_i64_e64 s[24:25], 0, v[6:7]
	v_not_b32_e32 v6, v7
	v_ashrrev_i32_e32 v6, 31, v6
	v_xor_b32_e32 v7, s25, v6
	v_xor_b32_e32 v6, s24, v6
	v_and_b32_e32 v4, v4, v7
	v_and_b32_e32 v45, v45, v6
	v_lshlrev_b32_e32 v7, 28, v43
	v_mov_b32_e32 v6, v5
	v_cmp_gt_i64_e64 s[24:25], 0, v[6:7]
	v_not_b32_e32 v6, v7
	v_ashrrev_i32_e32 v6, 31, v6
	;; [unrolled: 9-line block ×6, first 2 shown]
	v_xor_b32_e32 v7, s25, v6
	v_xor_b32_e32 v6, s24, v6
	v_and_b32_e32 v6, v45, v6
	v_and_b32_e32 v7, v4, v7
	v_mbcnt_lo_u32_b32 v4, v6, 0
	v_mbcnt_hi_u32_b32 v43, v7, v4
	v_cmp_eq_u32_e64 s[24:25], 0, v43
	v_cmp_ne_u64_e64 s[26:27], 0, v[6:7]
	s_and_b64 s[26:27], s[26:27], s[24:25]
	; wave barrier
	s_and_saveexec_b64 s[24:25], s[26:27]
	s_cbranch_execz .LBB198_39
; %bb.38:
	v_bcnt_u32_b32 v4, v6, 0
	v_bcnt_u32_b32 v4, v7, v4
	s_waitcnt lgkmcnt(0)
	v_add_u32_e32 v4, v41, v4
	ds_write_b32 v42, v4 offset:16
.LBB198_39:
	s_or_b64 exec, exec, s[24:25]
	v_cmp_lt_i16_e64 s[24:25], -1, v34
	; wave barrier
	s_nop 1
	v_cndmask_b32_e64 v4, -1, v44, s[24:25]
	v_xor_b32_e32 v34, v4, v34
	v_cmp_ne_u16_e64 s[24:25], s28, v34
	s_nop 1
	v_cndmask_b32_e64 v4, v44, v34, s[24:25]
	v_lshrrev_b32_sdwa v4, s68, v4 dst_sel:DWORD dst_unused:UNUSED_PAD src0_sel:DWORD src1_sel:WORD_0
	v_and_b32_e32 v46, s74, v4
	v_and_b32_e32 v4, 1, v46
	v_lshl_add_u64 v[6:7], v[4:5], 0, -1
	v_cmp_ne_u32_e64 s[24:25], 0, v4
	v_mad_u32_u24 v45, v46, 20, v25
	ds_read_b32 v44, v45 offset:16
	v_xor_b32_e32 v6, s24, v6
	v_xor_b32_e32 v4, s25, v7
	v_and_b32_e32 v47, exec_lo, v6
	v_lshlrev_b32_e32 v7, 30, v46
	v_mov_b32_e32 v6, v5
	v_cmp_gt_i64_e64 s[24:25], 0, v[6:7]
	v_not_b32_e32 v6, v7
	v_ashrrev_i32_e32 v6, 31, v6
	v_and_b32_e32 v4, exec_hi, v4
	v_xor_b32_e32 v7, s25, v6
	v_xor_b32_e32 v6, s24, v6
	v_and_b32_e32 v4, v4, v7
	v_and_b32_e32 v47, v47, v6
	v_lshlrev_b32_e32 v7, 29, v46
	v_mov_b32_e32 v6, v5
	v_cmp_gt_i64_e64 s[24:25], 0, v[6:7]
	v_not_b32_e32 v6, v7
	v_ashrrev_i32_e32 v6, 31, v6
	v_xor_b32_e32 v7, s25, v6
	v_xor_b32_e32 v6, s24, v6
	v_and_b32_e32 v4, v4, v7
	v_and_b32_e32 v47, v47, v6
	v_lshlrev_b32_e32 v7, 28, v46
	v_mov_b32_e32 v6, v5
	v_cmp_gt_i64_e64 s[24:25], 0, v[6:7]
	v_not_b32_e32 v6, v7
	v_ashrrev_i32_e32 v6, 31, v6
	;; [unrolled: 9-line block ×5, first 2 shown]
	v_xor_b32_e32 v7, s25, v6
	v_xor_b32_e32 v6, s24, v6
	v_and_b32_e32 v4, v4, v7
	v_lshlrev_b32_e32 v7, 24, v46
	v_and_b32_e32 v47, v47, v6
	v_mov_b32_e32 v6, v5
	v_not_b32_e32 v5, v7
	v_cmp_gt_i64_e64 s[24:25], 0, v[6:7]
	v_ashrrev_i32_e32 v5, 31, v5
	s_nop 0
	v_xor_b32_e32 v6, s25, v5
	v_xor_b32_e32 v7, s24, v5
	v_and_b32_e32 v5, v4, v6
	v_and_b32_e32 v4, v47, v7
	v_mbcnt_lo_u32_b32 v6, v4, 0
	v_mbcnt_hi_u32_b32 v46, v5, v6
	v_cmp_eq_u32_e64 s[24:25], 0, v46
	v_cmp_ne_u64_e64 s[26:27], 0, v[4:5]
	s_and_b64 s[26:27], s[26:27], s[24:25]
	; wave barrier
	s_and_saveexec_b64 s[24:25], s[26:27]
	s_cbranch_execz .LBB198_41
; %bb.40:
	v_bcnt_u32_b32 v4, v4, 0
	v_bcnt_u32_b32 v4, v5, v4
	s_waitcnt lgkmcnt(0)
	v_add_u32_e32 v4, v44, v4
	ds_write_b32 v45, v4 offset:16
.LBB198_41:
	s_or_b64 exec, exec, s[24:25]
	v_mov_b32_e32 v51, 0xffff8000
	v_cmp_lt_i16_e64 s[24:25], -1, v31
	v_mov_b32_e32 v5, 0
	s_nop 0
	v_cndmask_b32_e64 v4, -1, v51, s[24:25]
	v_xor_b32_e32 v31, v4, v31
	v_cmp_ne_u16_e64 s[24:25], s28, v31
	; wave barrier
	s_nop 1
	v_cndmask_b32_e64 v4, v51, v31, s[24:25]
	v_lshrrev_b32_sdwa v4, s68, v4 dst_sel:DWORD dst_unused:UNUSED_PAD src0_sel:DWORD src1_sel:WORD_0
	v_and_b32_e32 v49, s74, v4
	v_and_b32_e32 v4, 1, v49
	v_lshl_add_u64 v[6:7], v[4:5], 0, -1
	v_cmp_ne_u32_e64 s[24:25], 0, v4
	v_mad_u32_u24 v48, v49, 20, v25
	ds_read_b32 v47, v48 offset:16
	v_xor_b32_e32 v6, s24, v6
	v_xor_b32_e32 v4, s25, v7
	v_and_b32_e32 v50, exec_lo, v6
	v_lshlrev_b32_e32 v7, 30, v49
	v_mov_b32_e32 v6, v5
	v_cmp_gt_i64_e64 s[24:25], 0, v[6:7]
	v_not_b32_e32 v6, v7
	v_ashrrev_i32_e32 v6, 31, v6
	v_and_b32_e32 v4, exec_hi, v4
	v_xor_b32_e32 v7, s25, v6
	v_xor_b32_e32 v6, s24, v6
	v_and_b32_e32 v4, v4, v7
	v_and_b32_e32 v50, v50, v6
	v_lshlrev_b32_e32 v7, 29, v49
	v_mov_b32_e32 v6, v5
	v_cmp_gt_i64_e64 s[24:25], 0, v[6:7]
	v_not_b32_e32 v6, v7
	v_ashrrev_i32_e32 v6, 31, v6
	v_xor_b32_e32 v7, s25, v6
	v_xor_b32_e32 v6, s24, v6
	v_and_b32_e32 v4, v4, v7
	v_and_b32_e32 v50, v50, v6
	v_lshlrev_b32_e32 v7, 28, v49
	v_mov_b32_e32 v6, v5
	v_cmp_gt_i64_e64 s[24:25], 0, v[6:7]
	v_not_b32_e32 v6, v7
	v_ashrrev_i32_e32 v6, 31, v6
	;; [unrolled: 9-line block ×6, first 2 shown]
	v_xor_b32_e32 v7, s25, v6
	v_xor_b32_e32 v6, s24, v6
	v_and_b32_e32 v6, v50, v6
	v_and_b32_e32 v7, v4, v7
	v_mbcnt_lo_u32_b32 v4, v6, 0
	v_mbcnt_hi_u32_b32 v50, v7, v4
	v_cmp_eq_u32_e64 s[24:25], 0, v50
	v_cmp_ne_u64_e64 s[26:27], 0, v[6:7]
	s_and_b64 s[26:27], s[26:27], s[24:25]
	; wave barrier
	s_and_saveexec_b64 s[24:25], s[26:27]
	s_cbranch_execz .LBB198_43
; %bb.42:
	v_bcnt_u32_b32 v4, v6, 0
	v_bcnt_u32_b32 v4, v7, v4
	s_waitcnt lgkmcnt(0)
	v_add_u32_e32 v4, v47, v4
	ds_write_b32 v48, v4 offset:16
.LBB198_43:
	s_or_b64 exec, exec, s[24:25]
	v_cmp_lt_i16_e64 s[24:25], -1, v26
	; wave barrier
	s_nop 1
	v_cndmask_b32_e64 v4, -1, v51, s[24:25]
	v_xor_b32_e32 v49, v4, v26
	v_cmp_ne_u16_e64 s[24:25], s28, v49
	s_nop 1
	v_cndmask_b32_e64 v4, v51, v49, s[24:25]
	v_lshrrev_b32_sdwa v4, s68, v4 dst_sel:DWORD dst_unused:UNUSED_PAD src0_sel:DWORD src1_sel:WORD_0
	v_and_b32_e32 v52, s74, v4
	v_and_b32_e32 v4, 1, v52
	v_lshl_add_u64 v[6:7], v[4:5], 0, -1
	v_cmp_ne_u32_e64 s[24:25], 0, v4
	v_mad_u32_u24 v26, v52, 20, v25
	ds_read_b32 v51, v26 offset:16
	v_xor_b32_e32 v6, s24, v6
	v_xor_b32_e32 v4, s25, v7
	v_and_b32_e32 v53, exec_lo, v6
	v_lshlrev_b32_e32 v7, 30, v52
	v_mov_b32_e32 v6, v5
	v_cmp_gt_i64_e64 s[24:25], 0, v[6:7]
	v_not_b32_e32 v6, v7
	v_ashrrev_i32_e32 v6, 31, v6
	v_and_b32_e32 v4, exec_hi, v4
	v_xor_b32_e32 v7, s25, v6
	v_xor_b32_e32 v6, s24, v6
	v_and_b32_e32 v4, v4, v7
	v_and_b32_e32 v53, v53, v6
	v_lshlrev_b32_e32 v7, 29, v52
	v_mov_b32_e32 v6, v5
	v_cmp_gt_i64_e64 s[24:25], 0, v[6:7]
	v_not_b32_e32 v6, v7
	v_ashrrev_i32_e32 v6, 31, v6
	v_xor_b32_e32 v7, s25, v6
	v_xor_b32_e32 v6, s24, v6
	v_and_b32_e32 v4, v4, v7
	v_and_b32_e32 v53, v53, v6
	v_lshlrev_b32_e32 v7, 28, v52
	v_mov_b32_e32 v6, v5
	v_cmp_gt_i64_e64 s[24:25], 0, v[6:7]
	v_not_b32_e32 v6, v7
	v_ashrrev_i32_e32 v6, 31, v6
	;; [unrolled: 9-line block ×5, first 2 shown]
	v_xor_b32_e32 v7, s25, v6
	v_xor_b32_e32 v6, s24, v6
	v_and_b32_e32 v4, v4, v7
	v_lshlrev_b32_e32 v7, 24, v52
	v_and_b32_e32 v53, v53, v6
	v_mov_b32_e32 v6, v5
	v_not_b32_e32 v5, v7
	v_cmp_gt_i64_e64 s[24:25], 0, v[6:7]
	v_ashrrev_i32_e32 v5, 31, v5
	s_nop 0
	v_xor_b32_e32 v6, s25, v5
	v_xor_b32_e32 v7, s24, v5
	v_and_b32_e32 v5, v4, v6
	v_and_b32_e32 v4, v53, v7
	v_mbcnt_lo_u32_b32 v6, v4, 0
	v_mbcnt_hi_u32_b32 v53, v5, v6
	v_cmp_eq_u32_e64 s[24:25], 0, v53
	v_cmp_ne_u64_e64 s[26:27], 0, v[4:5]
	s_and_b64 s[26:27], s[26:27], s[24:25]
	; wave barrier
	s_and_saveexec_b64 s[24:25], s[26:27]
	s_cbranch_execz .LBB198_45
; %bb.44:
	v_bcnt_u32_b32 v4, v4, 0
	v_bcnt_u32_b32 v4, v5, v4
	s_waitcnt lgkmcnt(0)
	v_add_u32_e32 v4, v51, v4
	ds_write_b32 v26, v4 offset:16
.LBB198_45:
	s_or_b64 exec, exec, s[24:25]
	v_mov_b32_e32 v57, 0xffff8000
	v_cmp_lt_i16_e64 s[24:25], -1, v21
	v_mov_b32_e32 v5, 0
	s_nop 0
	v_cndmask_b32_e64 v4, -1, v57, s[24:25]
	v_xor_b32_e32 v52, v4, v21
	v_cmp_ne_u16_e64 s[24:25], s28, v52
	; wave barrier
	s_nop 1
	v_cndmask_b32_e64 v4, v57, v52, s[24:25]
	v_lshrrev_b32_sdwa v4, s68, v4 dst_sel:DWORD dst_unused:UNUSED_PAD src0_sel:DWORD src1_sel:WORD_0
	v_and_b32_e32 v55, s74, v4
	v_and_b32_e32 v4, 1, v55
	v_lshl_add_u64 v[6:7], v[4:5], 0, -1
	v_cmp_ne_u32_e64 s[24:25], 0, v4
	v_mad_u32_u24 v21, v55, 20, v25
	ds_read_b32 v54, v21 offset:16
	v_xor_b32_e32 v6, s24, v6
	v_xor_b32_e32 v4, s25, v7
	v_and_b32_e32 v56, exec_lo, v6
	v_lshlrev_b32_e32 v7, 30, v55
	v_mov_b32_e32 v6, v5
	v_cmp_gt_i64_e64 s[24:25], 0, v[6:7]
	v_not_b32_e32 v6, v7
	v_ashrrev_i32_e32 v6, 31, v6
	v_and_b32_e32 v4, exec_hi, v4
	v_xor_b32_e32 v7, s25, v6
	v_xor_b32_e32 v6, s24, v6
	v_and_b32_e32 v4, v4, v7
	v_and_b32_e32 v56, v56, v6
	v_lshlrev_b32_e32 v7, 29, v55
	v_mov_b32_e32 v6, v5
	v_cmp_gt_i64_e64 s[24:25], 0, v[6:7]
	v_not_b32_e32 v6, v7
	v_ashrrev_i32_e32 v6, 31, v6
	v_xor_b32_e32 v7, s25, v6
	v_xor_b32_e32 v6, s24, v6
	v_and_b32_e32 v4, v4, v7
	v_and_b32_e32 v56, v56, v6
	v_lshlrev_b32_e32 v7, 28, v55
	v_mov_b32_e32 v6, v5
	v_cmp_gt_i64_e64 s[24:25], 0, v[6:7]
	v_not_b32_e32 v6, v7
	v_ashrrev_i32_e32 v6, 31, v6
	;; [unrolled: 9-line block ×6, first 2 shown]
	v_xor_b32_e32 v7, s25, v6
	v_xor_b32_e32 v6, s24, v6
	v_and_b32_e32 v6, v56, v6
	v_and_b32_e32 v7, v4, v7
	v_mbcnt_lo_u32_b32 v4, v6, 0
	v_mbcnt_hi_u32_b32 v56, v7, v4
	v_cmp_eq_u32_e64 s[24:25], 0, v56
	v_cmp_ne_u64_e64 s[26:27], 0, v[6:7]
	s_and_b64 s[26:27], s[26:27], s[24:25]
	; wave barrier
	s_and_saveexec_b64 s[24:25], s[26:27]
	s_cbranch_execz .LBB198_47
; %bb.46:
	v_bcnt_u32_b32 v4, v6, 0
	v_bcnt_u32_b32 v4, v7, v4
	s_waitcnt lgkmcnt(0)
	v_add_u32_e32 v4, v54, v4
	ds_write_b32 v21, v4 offset:16
.LBB198_47:
	s_or_b64 exec, exec, s[24:25]
	v_cmp_lt_i16_e64 s[24:25], -1, v16
	; wave barrier
	s_nop 1
	v_cndmask_b32_e64 v4, -1, v57, s[24:25]
	v_xor_b32_e32 v55, v4, v16
	v_cmp_ne_u16_e64 s[24:25], s28, v55
	s_nop 1
	v_cndmask_b32_e64 v4, v57, v55, s[24:25]
	v_lshrrev_b32_sdwa v4, s68, v4 dst_sel:DWORD dst_unused:UNUSED_PAD src0_sel:DWORD src1_sel:WORD_0
	v_and_b32_e32 v58, s74, v4
	v_and_b32_e32 v4, 1, v58
	v_lshl_add_u64 v[6:7], v[4:5], 0, -1
	v_cmp_ne_u32_e64 s[24:25], 0, v4
	v_mad_u32_u24 v16, v58, 20, v25
	ds_read_b32 v57, v16 offset:16
	v_xor_b32_e32 v6, s24, v6
	v_xor_b32_e32 v4, s25, v7
	v_and_b32_e32 v25, exec_lo, v6
	v_lshlrev_b32_e32 v7, 30, v58
	v_mov_b32_e32 v6, v5
	v_cmp_gt_i64_e64 s[24:25], 0, v[6:7]
	v_not_b32_e32 v6, v7
	v_ashrrev_i32_e32 v6, 31, v6
	v_and_b32_e32 v4, exec_hi, v4
	v_xor_b32_e32 v7, s25, v6
	v_xor_b32_e32 v6, s24, v6
	v_and_b32_e32 v4, v4, v7
	v_and_b32_e32 v25, v25, v6
	v_lshlrev_b32_e32 v7, 29, v58
	v_mov_b32_e32 v6, v5
	v_cmp_gt_i64_e64 s[24:25], 0, v[6:7]
	v_not_b32_e32 v6, v7
	v_ashrrev_i32_e32 v6, 31, v6
	v_xor_b32_e32 v7, s25, v6
	v_xor_b32_e32 v6, s24, v6
	v_and_b32_e32 v4, v4, v7
	v_and_b32_e32 v25, v25, v6
	v_lshlrev_b32_e32 v7, 28, v58
	v_mov_b32_e32 v6, v5
	v_cmp_gt_i64_e64 s[24:25], 0, v[6:7]
	v_not_b32_e32 v6, v7
	v_ashrrev_i32_e32 v6, 31, v6
	;; [unrolled: 9-line block ×5, first 2 shown]
	v_xor_b32_e32 v7, s25, v6
	v_xor_b32_e32 v6, s24, v6
	v_and_b32_e32 v4, v4, v7
	v_lshlrev_b32_e32 v7, 24, v58
	v_and_b32_e32 v25, v25, v6
	v_mov_b32_e32 v6, v5
	v_not_b32_e32 v5, v7
	v_cmp_gt_i64_e64 s[24:25], 0, v[6:7]
	v_ashrrev_i32_e32 v5, 31, v5
	s_nop 0
	v_xor_b32_e32 v6, s25, v5
	v_xor_b32_e32 v7, s24, v5
	v_and_b32_e32 v5, v4, v6
	v_and_b32_e32 v4, v25, v7
	v_mbcnt_lo_u32_b32 v6, v4, 0
	v_mbcnt_hi_u32_b32 v58, v5, v6
	v_cmp_eq_u32_e64 s[24:25], 0, v58
	v_cmp_ne_u64_e64 s[26:27], 0, v[4:5]
	s_and_b64 s[26:27], s[26:27], s[24:25]
	; wave barrier
	s_and_saveexec_b64 s[24:25], s[26:27]
	s_cbranch_execz .LBB198_49
; %bb.48:
	v_bcnt_u32_b32 v4, v4, 0
	v_bcnt_u32_b32 v4, v5, v4
	s_waitcnt lgkmcnt(0)
	v_add_u32_e32 v4, v57, v4
	ds_write_b32 v16, v4 offset:16
.LBB198_49:
	s_or_b64 exec, exec, s[24:25]
	; wave barrier
	s_waitcnt lgkmcnt(0)
	s_barrier
	ds_read2_b32 v[6:7], v9 offset0:4 offset1:5
	ds_read2_b32 v[4:5], v9 offset0:6 offset1:7
	ds_read_b32 v25, v9 offset:32
	v_min_u32_e32 v8, 0xc0, v8
	v_or_b32_e32 v8, 63, v8
	s_waitcnt lgkmcnt(1)
	v_add3_u32 v59, v7, v6, v4
	s_waitcnt lgkmcnt(0)
	v_add3_u32 v25, v59, v5, v25
	v_and_b32_e32 v59, 15, v3
	v_cmp_ne_u32_e64 s[24:25], 0, v59
	v_mov_b32_dpp v60, v25 row_shr:1 row_mask:0xf bank_mask:0xf
	s_nop 0
	v_cndmask_b32_e64 v60, 0, v60, s[24:25]
	v_add_u32_e32 v25, v60, v25
	v_cmp_lt_u32_e64 s[24:25], 1, v59
	s_nop 0
	v_mov_b32_dpp v60, v25 row_shr:2 row_mask:0xf bank_mask:0xf
	v_cndmask_b32_e64 v60, 0, v60, s[24:25]
	v_add_u32_e32 v25, v25, v60
	v_cmp_lt_u32_e64 s[24:25], 3, v59
	s_nop 0
	v_mov_b32_dpp v60, v25 row_shr:4 row_mask:0xf bank_mask:0xf
	;; [unrolled: 5-line block ×3, first 2 shown]
	v_cndmask_b32_e64 v59, 0, v60, s[24:25]
	v_add_u32_e32 v25, v25, v59
	v_bfe_i32 v60, v3, 4, 1
	v_cmp_lt_u32_e64 s[24:25], 31, v3
	v_mov_b32_dpp v59, v25 row_bcast:15 row_mask:0xf bank_mask:0xf
	v_and_b32_e32 v59, v60, v59
	v_add_u32_e32 v25, v25, v59
	s_nop 1
	v_mov_b32_dpp v59, v25 row_bcast:31 row_mask:0xf bank_mask:0xf
	v_cndmask_b32_e64 v59, 0, v59, s[24:25]
	v_add_u32_e32 v25, v25, v59
	v_lshrrev_b32_e32 v59, 6, v2
	v_cmp_eq_u32_e64 s[24:25], v2, v8
	s_and_saveexec_b64 s[26:27], s[24:25]
; %bb.50:
	v_lshlrev_b32_e32 v8, 2, v59
	ds_write_b32 v8, v25
; %bb.51:
	s_or_b64 exec, exec, s[26:27]
	v_cmp_gt_u32_e64 s[24:25], 4, v2
	s_waitcnt lgkmcnt(0)
	s_barrier
	s_and_saveexec_b64 s[26:27], s[24:25]
	s_cbranch_execz .LBB198_53
; %bb.52:
	v_lshlrev_b32_e32 v8, 2, v2
	ds_read_b32 v60, v8
	v_and_b32_e32 v61, 3, v3
	v_cmp_ne_u32_e64 s[24:25], 0, v61
	s_waitcnt lgkmcnt(0)
	v_mov_b32_dpp v62, v60 row_shr:1 row_mask:0xf bank_mask:0xf
	v_cndmask_b32_e64 v62, 0, v62, s[24:25]
	v_add_u32_e32 v60, v62, v60
	v_cmp_lt_u32_e64 s[24:25], 1, v61
	s_nop 0
	v_mov_b32_dpp v62, v60 row_shr:2 row_mask:0xf bank_mask:0xf
	v_cndmask_b32_e64 v61, 0, v62, s[24:25]
	v_add_u32_e32 v60, v60, v61
	ds_write_b32 v8, v60
.LBB198_53:
	s_or_b64 exec, exec, s[26:27]
	v_cmp_lt_u32_e64 s[24:25], 63, v2
	v_mov_b32_e32 v8, 0
	s_waitcnt lgkmcnt(0)
	s_barrier
	s_and_saveexec_b64 s[26:27], s[24:25]
; %bb.54:
	v_lshl_add_u32 v8, v59, 2, -4
	ds_read_b32 v8, v8
; %bb.55:
	s_or_b64 exec, exec, s[26:27]
	v_add_u32_e32 v59, -1, v3
	v_and_b32_e32 v60, 64, v3
	v_cmp_lt_i32_e64 s[24:25], v59, v60
	s_waitcnt lgkmcnt(0)
	v_add_u32_e32 v25, v8, v25
	v_cndmask_b32_e64 v59, v59, v3, s[24:25]
	v_lshlrev_b32_e32 v59, 2, v59
	ds_bpermute_b32 v25, v59, v25
	v_cmp_eq_u32_e64 s[24:25], 0, v3
	s_waitcnt lgkmcnt(0)
	s_nop 0
	v_cndmask_b32_e64 v8, v25, v8, s[24:25]
	v_cmp_ne_u32_e64 s[24:25], 0, v2
	s_nop 1
	v_cndmask_b32_e64 v8, 0, v8, s[24:25]
	v_add_u32_e32 v6, v8, v6
	v_add_u32_e32 v7, v6, v7
	;; [unrolled: 1-line block ×4, first 2 shown]
	ds_write2_b32 v9, v8, v6 offset0:4 offset1:5
	ds_write2_b32 v9, v7, v4 offset0:6 offset1:7
	ds_write_b32 v9, v5 offset:32
	s_waitcnt lgkmcnt(0)
	s_barrier
	ds_read_b32 v6, v45 offset:16
	ds_read_b32 v7, v48 offset:16
	;; [unrolled: 1-line block ×13, first 2 shown]
	v_add_u32_e32 v9, 1, v2
	s_movk_i32 s24, 0x100
	v_cmp_ne_u32_e64 s[24:25], s24, v9
	v_mov_b32_e32 v5, 0xc00
	s_and_saveexec_b64 s[26:27], s[24:25]
; %bb.56:
	v_mul_u32_u24_e32 v5, 20, v9
	ds_read_b32 v5, v5 offset:16
; %bb.57:
	s_or_b64 exec, exec, s[26:27]
	s_waitcnt lgkmcnt(7)
	v_add_u32_e32 v28, v13, v12
	s_waitcnt lgkmcnt(6)
	v_add3_u32 v26, v18, v15, v16
	v_add3_u32 v18, v46, v44, v6
	v_lshlrev_b32_e32 v6, 1, v28
	s_waitcnt lgkmcnt(5)
	v_add3_u32 v25, v24, v20, v17
	s_waitcnt lgkmcnt(0)
	s_barrier
	ds_write_b16 v6, v10 offset:2048
	v_lshlrev_b32_e32 v6, 1, v26
	v_add3_u32 v24, v30, v27, v21
	ds_write_b16 v6, v11 offset:2048
	v_lshlrev_b32_e32 v6, 1, v25
	v_add3_u32 v22, v36, v32, v22
	;; [unrolled: 3-line block ×4, first 2 shown]
	ds_write_b16 v6, v29 offset:2048
	v_lshlrev_b32_e32 v6, 1, v21
	ds_write_b16 v6, v35 offset:2048
	v_lshlrev_b32_e32 v6, 1, v20
	v_add3_u32 v17, v50, v47, v7
	ds_write_b16 v6, v39 offset:2048
	v_lshlrev_b32_e32 v6, 1, v18
	v_add3_u32 v16, v53, v51, v8
	;; [unrolled: 3-line block ×4, first 2 shown]
	ds_write_b16 v6, v49 offset:2048
	v_lshlrev_b32_e32 v6, 1, v15
	ds_write_b16 v6, v52 offset:2048
	v_lshlrev_b32_e32 v6, 1, v7
	ds_write_b16 v6, v55 offset:2048
	v_sub_u32_e32 v6, v5, v4
	v_lshl_add_u32 v8, s2, 8, v2
	v_mov_b32_e32 v9, 0
	v_lshl_add_u64 v[10:11], v[8:9], 2, s[72:73]
	v_or_b32_e32 v5, 2.0, v6
	s_mov_b64 s[26:27], 0
	s_brev_b32 s34, -4
	s_mov_b32 s35, s3
	v_mov_b32_e32 v19, 0
	s_waitcnt lgkmcnt(0)
	s_barrier
	global_store_dword v[10:11], v5, off sc1
                                        ; implicit-def: $sgpr24_sgpr25
	s_branch .LBB198_60
.LBB198_58:                             ;   in Loop: Header=BB198_60 Depth=1
	s_or_b64 exec, exec, s[30:31]
.LBB198_59:                             ;   in Loop: Header=BB198_60 Depth=1
	s_or_b64 exec, exec, s[28:29]
	v_and_b32_e32 v8, 0x3fffffff, v5
	v_add_u32_e32 v19, v8, v19
	v_cmp_gt_i32_e64 s[24:25], -2.0, v5
	s_and_b64 s[28:29], exec, s[24:25]
	s_or_b64 s[26:27], s[28:29], s[26:27]
	s_andn2_b64 exec, exec, s[26:27]
	s_cbranch_execz .LBB198_65
.LBB198_60:                             ; =>This Loop Header: Depth=1
                                        ;     Child Loop BB198_63 Depth 2
	s_or_b64 s[24:25], s[24:25], exec
	s_cmp_eq_u32 s35, 0
	s_cbranch_scc1 .LBB198_64
; %bb.61:                               ;   in Loop: Header=BB198_60 Depth=1
	s_add_i32 s35, s35, -1
	v_lshl_add_u32 v8, s35, 8, v2
	v_lshl_add_u64 v[12:13], v[8:9], 2, s[72:73]
	global_load_dword v5, v[12:13], off sc1
	s_waitcnt vmcnt(0)
	v_cmp_gt_u32_e64 s[24:25], 2.0, v5
	s_and_saveexec_b64 s[28:29], s[24:25]
	s_cbranch_execz .LBB198_59
; %bb.62:                               ;   in Loop: Header=BB198_60 Depth=1
	s_mov_b64 s[30:31], 0
.LBB198_63:                             ;   Parent Loop BB198_60 Depth=1
                                        ; =>  This Inner Loop Header: Depth=2
	global_load_dword v5, v[12:13], off sc1
	s_waitcnt vmcnt(0)
	v_cmp_lt_u32_e64 s[24:25], s34, v5
	s_or_b64 s[30:31], s[24:25], s[30:31]
	s_andn2_b64 exec, exec, s[30:31]
	s_cbranch_execnz .LBB198_63
	s_branch .LBB198_58
.LBB198_64:                             ;   in Loop: Header=BB198_60 Depth=1
                                        ; implicit-def: $sgpr35
	s_and_b64 s[28:29], exec, s[24:25]
	s_or_b64 s[26:27], s[28:29], s[26:27]
	s_andn2_b64 exec, exec, s[26:27]
	s_cbranch_execnz .LBB198_60
.LBB198_65:
	s_or_b64 exec, exec, s[26:27]
	v_add_u32_e32 v5, v19, v6
	v_or_b32_e32 v5, 0x80000000, v5
	v_lshlrev_b32_e32 v8, 3, v2
	global_store_dword v[10:11], v5, off sc1
	global_load_dwordx2 v[10:11], v8, s[64:65]
	v_sub_co_u32_e64 v12, s[24:25], v19, v4
	v_mov_b32_e32 v5, 0
	s_nop 0
	v_subb_co_u32_e64 v13, s[24:25], 0, 0, s[24:25]
	v_cmp_gt_u32_e64 s[24:25], s70, v2
	s_waitcnt vmcnt(0)
	v_lshl_add_u64 v[10:11], v[12:13], 0, v[10:11]
	ds_write_b64 v8, v[10:11]
	s_waitcnt lgkmcnt(0)
	s_barrier
	s_and_saveexec_b64 s[28:29], s[24:25]
	s_cbranch_execz .LBB198_67
; %bb.66:
	v_mad_i32_i24 v9, v2, -6, v8
	ds_read_u16 v9, v9 offset:2048
	s_movk_i32 s26, 0x7fff
	v_mov_b32_e32 v13, 0xffff8000
	v_lshlrev_b32_e32 v12, 1, v2
	s_waitcnt lgkmcnt(0)
	v_cmp_ne_u16_e64 s[26:27], s26, v9
	s_nop 1
	v_cndmask_b32_e64 v10, v13, v9, s[26:27]
	v_lshrrev_b32_sdwa v10, s68, v10 dst_sel:DWORD dst_unused:UNUSED_PAD src0_sel:DWORD src1_sel:WORD_0
	v_and_b32_e32 v10, s74, v10
	v_lshlrev_b32_e32 v10, 3, v10
	ds_read_b64 v[10:11], v10
	v_cmp_lt_i16_e64 s[26:27], -1, v9
	s_waitcnt lgkmcnt(0)
	v_lshl_add_u64 v[10:11], v[10:11], 1, s[58:59]
	v_cndmask_b32_e64 v13, v13, -1, s[26:27]
	v_xor_b32_e32 v9, v13, v9
	v_mov_b32_e32 v13, v5
	v_lshl_add_u64 v[10:11], v[10:11], 0, v[12:13]
	global_store_short v[10:11], v9, off
.LBB198_67:
	s_or_b64 exec, exec, s[28:29]
	v_add_u32_e32 v9, 0x100, v2
	v_cmp_gt_u32_e64 s[26:27], s70, v9
	s_and_saveexec_b64 s[30:31], s[26:27]
	s_cbranch_execz .LBB198_69
; %bb.68:
	v_mad_i32_i24 v9, v2, -6, v8
	ds_read_u16 v9, v9 offset:2560
	s_movk_i32 s28, 0x7fff
	v_mov_b32_e32 v13, 0xffff8000
	v_lshlrev_b32_e32 v12, 1, v2
	s_waitcnt lgkmcnt(0)
	v_cmp_ne_u16_e64 s[28:29], s28, v9
	s_nop 1
	v_cndmask_b32_e64 v10, v13, v9, s[28:29]
	v_lshrrev_b32_sdwa v10, s68, v10 dst_sel:DWORD dst_unused:UNUSED_PAD src0_sel:DWORD src1_sel:WORD_0
	v_and_b32_e32 v10, s74, v10
	v_lshlrev_b32_e32 v10, 3, v10
	ds_read_b64 v[10:11], v10
	v_cmp_lt_i16_e64 s[28:29], -1, v9
	s_waitcnt lgkmcnt(0)
	v_lshl_add_u64 v[10:11], v[10:11], 1, s[58:59]
	v_cndmask_b32_e64 v13, v13, -1, s[28:29]
	v_xor_b32_e32 v9, v13, v9
	v_mov_b32_e32 v13, 0
	v_lshl_add_u64 v[10:11], v[10:11], 0, v[12:13]
	global_store_short v[10:11], v9, off offset:512
.LBB198_69:
	s_or_b64 exec, exec, s[30:31]
	v_add_u32_e32 v12, 0x200, v2
	v_cmp_gt_u32_e64 s[28:29], s70, v12
	s_and_saveexec_b64 s[34:35], s[28:29]
	s_cbranch_execz .LBB198_71
; %bb.70:
	v_mad_i32_i24 v9, v2, -6, v8
	ds_read_u16 v9, v9 offset:3072
	s_movk_i32 s30, 0x7fff
	v_mov_b32_e32 v13, 0xffff8000
	v_lshlrev_b32_e32 v30, 1, v2
	v_mov_b32_e32 v31, 0
	s_waitcnt lgkmcnt(0)
	v_cmp_ne_u16_e64 s[30:31], s30, v9
	s_nop 1
	v_cndmask_b32_e64 v10, v13, v9, s[30:31]
	v_lshrrev_b32_sdwa v10, s68, v10 dst_sel:DWORD dst_unused:UNUSED_PAD src0_sel:DWORD src1_sel:WORD_0
	v_and_b32_e32 v10, s74, v10
	v_lshlrev_b32_e32 v10, 3, v10
	ds_read_b64 v[10:11], v10
	v_cmp_lt_i16_e64 s[30:31], -1, v9
	s_waitcnt lgkmcnt(0)
	v_lshl_add_u64 v[10:11], v[10:11], 1, s[58:59]
	v_cndmask_b32_e64 v13, v13, -1, s[30:31]
	v_xor_b32_e32 v9, v13, v9
	v_lshl_add_u64 v[10:11], v[10:11], 0, v[30:31]
	global_store_short v[10:11], v9, off offset:1024
.LBB198_71:
	s_or_b64 exec, exec, s[34:35]
	v_add_u32_e32 v13, 0x300, v2
	v_cmp_gt_u32_e64 s[30:31], s70, v13
	s_and_saveexec_b64 s[36:37], s[30:31]
	s_cbranch_execz .LBB198_73
; %bb.72:
	v_mad_i32_i24 v9, v2, -6, v8
	ds_read_u16 v9, v9 offset:3584
	s_movk_i32 s34, 0x7fff
	v_mov_b32_e32 v19, 0xffff8000
	v_lshlrev_b32_e32 v30, 1, v2
	v_mov_b32_e32 v31, 0
	s_waitcnt lgkmcnt(0)
	v_cmp_ne_u16_e64 s[34:35], s34, v9
	s_nop 1
	v_cndmask_b32_e64 v10, v19, v9, s[34:35]
	v_lshrrev_b32_sdwa v10, s68, v10 dst_sel:DWORD dst_unused:UNUSED_PAD src0_sel:DWORD src1_sel:WORD_0
	v_and_b32_e32 v10, s74, v10
	v_lshlrev_b32_e32 v10, 3, v10
	ds_read_b64 v[10:11], v10
	v_cmp_lt_i16_e64 s[34:35], -1, v9
	s_waitcnt lgkmcnt(0)
	v_lshl_add_u64 v[10:11], v[10:11], 1, s[58:59]
	v_cndmask_b32_e64 v19, v19, -1, s[34:35]
	v_xor_b32_e32 v9, v19, v9
	v_lshl_add_u64 v[10:11], v[10:11], 0, v[30:31]
	global_store_short v[10:11], v9, off offset:1536
.LBB198_73:
	s_or_b64 exec, exec, s[36:37]
	v_or_b32_e32 v19, 0x400, v2
	v_cmp_gt_u32_e64 s[34:35], s70, v19
	s_and_saveexec_b64 s[38:39], s[34:35]
	s_cbranch_execz .LBB198_75
; %bb.74:
	v_mad_i32_i24 v9, v2, -6, v8
	ds_read_u16 v9, v9 offset:4096
	s_movk_i32 s36, 0x7fff
	v_mov_b32_e32 v23, 0xffff8000
	v_lshlrev_b32_e32 v30, 1, v2
	v_mov_b32_e32 v31, 0
	s_waitcnt lgkmcnt(0)
	v_cmp_ne_u16_e64 s[36:37], s36, v9
	s_nop 1
	v_cndmask_b32_e64 v10, v23, v9, s[36:37]
	v_lshrrev_b32_sdwa v10, s68, v10 dst_sel:DWORD dst_unused:UNUSED_PAD src0_sel:DWORD src1_sel:WORD_0
	v_and_b32_e32 v10, s74, v10
	v_lshlrev_b32_e32 v10, 3, v10
	ds_read_b64 v[10:11], v10
	v_cmp_lt_i16_e64 s[36:37], -1, v9
	s_waitcnt lgkmcnt(0)
	v_lshl_add_u64 v[10:11], v[10:11], 1, s[58:59]
	v_cndmask_b32_e64 v23, v23, -1, s[36:37]
	v_xor_b32_e32 v9, v23, v9
	v_lshl_add_u64 v[10:11], v[10:11], 0, v[30:31]
	global_store_short v[10:11], v9, off offset:2048
.LBB198_75:
	s_or_b64 exec, exec, s[38:39]
	v_add_u32_e32 v23, 0x500, v2
	v_cmp_gt_u32_e64 s[36:37], s70, v23
	s_and_saveexec_b64 s[40:41], s[36:37]
	s_cbranch_execz .LBB198_77
; %bb.76:
	v_mad_i32_i24 v9, v2, -6, v8
	ds_read_u16 v9, v9 offset:4608
	s_movk_i32 s38, 0x7fff
	v_mov_b32_e32 v27, 0xffff8000
	v_lshlrev_b32_e32 v30, 1, v2
	v_mov_b32_e32 v31, 0
	s_waitcnt lgkmcnt(0)
	v_cmp_ne_u16_e64 s[38:39], s38, v9
	s_nop 1
	v_cndmask_b32_e64 v10, v27, v9, s[38:39]
	v_lshrrev_b32_sdwa v10, s68, v10 dst_sel:DWORD dst_unused:UNUSED_PAD src0_sel:DWORD src1_sel:WORD_0
	v_and_b32_e32 v10, s74, v10
	v_lshlrev_b32_e32 v10, 3, v10
	ds_read_b64 v[10:11], v10
	v_cmp_lt_i16_e64 s[38:39], -1, v9
	s_waitcnt lgkmcnt(0)
	v_lshl_add_u64 v[10:11], v[10:11], 1, s[58:59]
	v_cndmask_b32_e64 v27, v27, -1, s[38:39]
	v_xor_b32_e32 v9, v27, v9
	v_lshl_add_u64 v[10:11], v[10:11], 0, v[30:31]
	global_store_short v[10:11], v9, off offset:2560
.LBB198_77:
	s_or_b64 exec, exec, s[40:41]
	v_add_u32_e32 v27, 0x600, v2
	;; [unrolled: 28-line block ×3, first 2 shown]
	v_cmp_gt_u32_e64 s[40:41], s70, v29
	s_and_saveexec_b64 s[44:45], s[40:41]
	s_cbranch_execz .LBB198_81
; %bb.80:
	v_lshlrev_b32_e32 v10, 1, v2
	ds_read_u16 v9, v10 offset:5632
	s_movk_i32 s42, 0x7fff
	v_mov_b32_e32 v11, 0xffff8000
	s_waitcnt lgkmcnt(0)
	v_cmp_ne_u16_e64 s[42:43], s42, v9
	s_nop 1
	v_cndmask_b32_e64 v30, v11, v9, s[42:43]
	v_lshrrev_b32_sdwa v30, s68, v30 dst_sel:DWORD dst_unused:UNUSED_PAD src0_sel:DWORD src1_sel:WORD_0
	v_and_b32_e32 v30, s74, v30
	v_lshlrev_b32_e32 v30, 3, v30
	ds_read_b64 v[30:31], v30
	v_cmp_lt_i16_e64 s[42:43], -1, v9
	s_waitcnt lgkmcnt(0)
	v_lshl_add_u64 v[30:31], v[30:31], 1, s[58:59]
	v_cndmask_b32_e64 v11, v11, -1, s[42:43]
	v_xor_b32_e32 v9, v11, v9
	v_mov_b32_e32 v11, 0
	v_lshl_add_u64 v[10:11], v[30:31], 0, v[10:11]
	global_store_short v[10:11], v9, off offset:3584
.LBB198_81:
	s_or_b64 exec, exec, s[44:45]
	v_or_b32_e32 v30, 0x800, v2
	v_cmp_gt_u32_e64 s[42:43], s70, v30
	s_and_saveexec_b64 s[46:47], s[42:43]
	s_cbranch_execz .LBB198_83
; %bb.82:
	v_lshlrev_b32_e32 v9, 1, v2
	ds_read_u16 v9, v9 offset:6144
	s_movk_i32 s44, 0x7fff
	v_mov_b32_e32 v31, 0xffff8000
	v_lshlrev_b32_e32 v32, 1, v30
	v_mov_b32_e32 v33, 0
	s_waitcnt lgkmcnt(0)
	v_cmp_ne_u16_e64 s[44:45], s44, v9
	s_nop 1
	v_cndmask_b32_e64 v10, v31, v9, s[44:45]
	v_lshrrev_b32_sdwa v10, s68, v10 dst_sel:DWORD dst_unused:UNUSED_PAD src0_sel:DWORD src1_sel:WORD_0
	v_and_b32_e32 v10, s74, v10
	v_lshlrev_b32_e32 v10, 3, v10
	ds_read_b64 v[10:11], v10
	v_cmp_lt_i16_e64 s[44:45], -1, v9
	s_waitcnt lgkmcnt(0)
	v_lshl_add_u64 v[10:11], v[10:11], 1, s[58:59]
	v_cndmask_b32_e64 v31, v31, -1, s[44:45]
	v_xor_b32_e32 v9, v31, v9
	v_lshl_add_u64 v[10:11], v[10:11], 0, v[32:33]
	global_store_short v[10:11], v9, off
.LBB198_83:
	s_or_b64 exec, exec, s[46:47]
	v_add_u32_e32 v31, 0x900, v2
	v_cmp_gt_u32_e64 s[44:45], s70, v31
	s_and_saveexec_b64 s[48:49], s[44:45]
	s_cbranch_execz .LBB198_85
; %bb.84:
	v_lshlrev_b32_e32 v9, 1, v2
	ds_read_u16 v9, v9 offset:6656
	s_movk_i32 s46, 0x7fff
	v_mov_b32_e32 v33, 0xffff8000
	v_lshlrev_b32_e32 v32, 1, v31
	s_waitcnt lgkmcnt(0)
	v_cmp_ne_u16_e64 s[46:47], s46, v9
	s_nop 1
	v_cndmask_b32_e64 v10, v33, v9, s[46:47]
	v_lshrrev_b32_sdwa v10, s68, v10 dst_sel:DWORD dst_unused:UNUSED_PAD src0_sel:DWORD src1_sel:WORD_0
	v_and_b32_e32 v10, s74, v10
	v_lshlrev_b32_e32 v10, 3, v10
	ds_read_b64 v[10:11], v10
	v_cmp_lt_i16_e64 s[46:47], -1, v9
	s_waitcnt lgkmcnt(0)
	v_lshl_add_u64 v[10:11], v[10:11], 1, s[58:59]
	v_cndmask_b32_e64 v33, v33, -1, s[46:47]
	v_xor_b32_e32 v9, v33, v9
	v_mov_b32_e32 v33, 0
	v_lshl_add_u64 v[10:11], v[10:11], 0, v[32:33]
	global_store_short v[10:11], v9, off
.LBB198_85:
	s_or_b64 exec, exec, s[48:49]
	v_add_u32_e32 v32, 0xa00, v2
	v_cmp_gt_u32_e64 s[46:47], s70, v32
	s_and_saveexec_b64 s[52:53], s[46:47]
	s_cbranch_execz .LBB198_87
; %bb.86:
	v_lshlrev_b32_e32 v9, 1, v2
	ds_read_u16 v9, v9 offset:7168
	s_movk_i32 s48, 0x7fff
	v_mov_b32_e32 v33, 0xffff8000
	v_lshlrev_b32_e32 v34, 1, v32
	v_mov_b32_e32 v35, 0
	s_waitcnt lgkmcnt(0)
	v_cmp_ne_u16_e64 s[48:49], s48, v9
	s_nop 1
	v_cndmask_b32_e64 v10, v33, v9, s[48:49]
	v_lshrrev_b32_sdwa v10, s68, v10 dst_sel:DWORD dst_unused:UNUSED_PAD src0_sel:DWORD src1_sel:WORD_0
	v_and_b32_e32 v10, s74, v10
	v_lshlrev_b32_e32 v10, 3, v10
	ds_read_b64 v[10:11], v10
	v_cmp_lt_i16_e64 s[48:49], -1, v9
	s_waitcnt lgkmcnt(0)
	v_lshl_add_u64 v[10:11], v[10:11], 1, s[58:59]
	v_cndmask_b32_e64 v33, v33, -1, s[48:49]
	v_xor_b32_e32 v9, v33, v9
	v_lshl_add_u64 v[10:11], v[10:11], 0, v[34:35]
	global_store_short v[10:11], v9, off
.LBB198_87:
	s_or_b64 exec, exec, s[52:53]
	v_add_u32_e32 v33, 0xb00, v2
	v_cmp_gt_u32_e64 s[48:49], s70, v33
	s_and_saveexec_b64 s[70:71], s[48:49]
	s_cbranch_execz .LBB198_89
; %bb.88:
	v_lshlrev_b32_e32 v9, 1, v2
	ds_read_u16 v9, v9 offset:7680
	s_movk_i32 s52, 0x7fff
	v_mov_b32_e32 v35, 0xffff8000
	v_lshlrev_b32_e32 v34, 1, v33
	s_waitcnt lgkmcnt(0)
	v_cmp_ne_u16_e64 s[52:53], s52, v9
	s_nop 1
	v_cndmask_b32_e64 v10, v35, v9, s[52:53]
	v_lshrrev_b32_sdwa v10, s68, v10 dst_sel:DWORD dst_unused:UNUSED_PAD src0_sel:DWORD src1_sel:WORD_0
	v_and_b32_e32 v10, s74, v10
	v_lshlrev_b32_e32 v10, 3, v10
	ds_read_b64 v[10:11], v10
	v_cmp_lt_i16_e64 s[52:53], -1, v9
	s_waitcnt lgkmcnt(0)
	v_lshl_add_u64 v[10:11], v[10:11], 1, s[58:59]
	v_cndmask_b32_e64 v35, v35, -1, s[52:53]
	v_xor_b32_e32 v9, v35, v9
	v_mov_b32_e32 v35, 0
	v_lshl_add_u64 v[10:11], v[10:11], 0, v[34:35]
	global_store_short v[10:11], v9, off
.LBB198_89:
	s_or_b64 exec, exec, s[70:71]
	s_lshl_b64 s[52:53], s[54:55], 3
	s_add_u32 s52, s60, s52
	s_addc_u32 s53, s61, s53
	v_lshlrev_b32_e32 v10, 3, v3
	v_mov_b32_e32 v11, 0
	v_lshl_add_u64 v[34:35], s[52:53], 0, v[10:11]
	v_lshlrev_b32_e32 v10, 3, v14
	v_lshl_add_u64 v[10:11], v[34:35], 0, v[10:11]
                                        ; implicit-def: $vgpr42_vgpr43
	s_and_saveexec_b64 s[52:53], vcc
	s_xor_b64 s[52:53], exec, s[52:53]
	s_cbranch_execz .LBB198_101
; %bb.90:
	global_load_dwordx2 v[42:43], v[10:11], off
	s_or_b64 exec, exec, s[52:53]
                                        ; implicit-def: $vgpr44_vgpr45
	s_and_saveexec_b64 s[52:53], s[50:51]
	s_cbranch_execnz .LBB198_102
.LBB198_91:
	s_or_b64 exec, exec, s[52:53]
                                        ; implicit-def: $vgpr46_vgpr47
	s_and_saveexec_b64 s[50:51], s[4:5]
	s_cbranch_execz .LBB198_103
.LBB198_92:
	global_load_dwordx2 v[46:47], v[10:11], off offset:1024
	s_or_b64 exec, exec, s[50:51]
                                        ; implicit-def: $vgpr48_vgpr49
	s_and_saveexec_b64 s[4:5], s[6:7]
	s_cbranch_execnz .LBB198_104
.LBB198_93:
	s_or_b64 exec, exec, s[4:5]
                                        ; implicit-def: $vgpr50_vgpr51
	s_and_saveexec_b64 s[4:5], s[8:9]
	s_cbranch_execz .LBB198_105
.LBB198_94:
	global_load_dwordx2 v[50:51], v[10:11], off offset:2048
	s_or_b64 exec, exec, s[4:5]
                                        ; implicit-def: $vgpr52_vgpr53
	s_and_saveexec_b64 s[4:5], s[12:13]
	s_cbranch_execnz .LBB198_106
.LBB198_95:
	s_or_b64 exec, exec, s[4:5]
                                        ; implicit-def: $vgpr54_vgpr55
	s_and_saveexec_b64 s[4:5], s[16:17]
	s_cbranch_execz .LBB198_107
.LBB198_96:
	global_load_dwordx2 v[54:55], v[10:11], off offset:3072
	s_or_b64 exec, exec, s[4:5]
                                        ; implicit-def: $vgpr56_vgpr57
	s_and_saveexec_b64 s[4:5], s[20:21]
	s_cbranch_execnz .LBB198_108
.LBB198_97:
	s_or_b64 exec, exec, s[4:5]
                                        ; implicit-def: $vgpr58_vgpr59
	s_and_saveexec_b64 s[4:5], s[22:23]
	s_cbranch_execz .LBB198_109
.LBB198_98:
	v_add_co_u32_e32 v34, vcc, 0x1000, v10
	s_nop 1
	v_addc_co_u32_e32 v35, vcc, 0, v11, vcc
	global_load_dwordx2 v[58:59], v[34:35], off
	s_or_b64 exec, exec, s[4:5]
                                        ; implicit-def: $vgpr60_vgpr61
	s_and_saveexec_b64 s[4:5], s[18:19]
	s_cbranch_execnz .LBB198_110
.LBB198_99:
	s_or_b64 exec, exec, s[4:5]
                                        ; implicit-def: $vgpr62_vgpr63
	s_and_saveexec_b64 s[4:5], s[14:15]
	s_cbranch_execz .LBB198_111
.LBB198_100:
	v_add_co_u32_e32 v34, vcc, 0x1000, v10
	s_nop 1
	v_addc_co_u32_e32 v35, vcc, 0, v11, vcc
	global_load_dwordx2 v[62:63], v[34:35], off offset:1024
	s_or_b64 exec, exec, s[4:5]
                                        ; implicit-def: $vgpr64_vgpr65
	s_and_saveexec_b64 s[4:5], s[10:11]
	s_cbranch_execnz .LBB198_112
	s_branch .LBB198_113
.LBB198_101:
	s_or_b64 exec, exec, s[52:53]
                                        ; implicit-def: $vgpr44_vgpr45
	s_and_saveexec_b64 s[52:53], s[50:51]
	s_cbranch_execz .LBB198_91
.LBB198_102:
	global_load_dwordx2 v[44:45], v[10:11], off offset:512
	s_or_b64 exec, exec, s[52:53]
                                        ; implicit-def: $vgpr46_vgpr47
	s_and_saveexec_b64 s[50:51], s[4:5]
	s_cbranch_execnz .LBB198_92
.LBB198_103:
	s_or_b64 exec, exec, s[50:51]
                                        ; implicit-def: $vgpr48_vgpr49
	s_and_saveexec_b64 s[4:5], s[6:7]
	s_cbranch_execz .LBB198_93
.LBB198_104:
	global_load_dwordx2 v[48:49], v[10:11], off offset:1536
	s_or_b64 exec, exec, s[4:5]
                                        ; implicit-def: $vgpr50_vgpr51
	s_and_saveexec_b64 s[4:5], s[8:9]
	s_cbranch_execnz .LBB198_94
.LBB198_105:
	s_or_b64 exec, exec, s[4:5]
                                        ; implicit-def: $vgpr52_vgpr53
	s_and_saveexec_b64 s[4:5], s[12:13]
	s_cbranch_execz .LBB198_95
.LBB198_106:
	global_load_dwordx2 v[52:53], v[10:11], off offset:2560
	s_or_b64 exec, exec, s[4:5]
                                        ; implicit-def: $vgpr54_vgpr55
	s_and_saveexec_b64 s[4:5], s[16:17]
	s_cbranch_execnz .LBB198_96
.LBB198_107:
	s_or_b64 exec, exec, s[4:5]
                                        ; implicit-def: $vgpr56_vgpr57
	s_and_saveexec_b64 s[4:5], s[20:21]
	s_cbranch_execz .LBB198_97
.LBB198_108:
	global_load_dwordx2 v[56:57], v[10:11], off offset:3584
	s_or_b64 exec, exec, s[4:5]
                                        ; implicit-def: $vgpr58_vgpr59
	s_and_saveexec_b64 s[4:5], s[22:23]
	s_cbranch_execnz .LBB198_98
.LBB198_109:
	s_or_b64 exec, exec, s[4:5]
                                        ; implicit-def: $vgpr60_vgpr61
	s_and_saveexec_b64 s[4:5], s[18:19]
	s_cbranch_execz .LBB198_99
.LBB198_110:
	v_add_co_u32_e32 v34, vcc, 0x1000, v10
	s_nop 1
	v_addc_co_u32_e32 v35, vcc, 0, v11, vcc
	global_load_dwordx2 v[60:61], v[34:35], off offset:512
	s_or_b64 exec, exec, s[4:5]
                                        ; implicit-def: $vgpr62_vgpr63
	s_and_saveexec_b64 s[4:5], s[14:15]
	s_cbranch_execnz .LBB198_100
.LBB198_111:
	s_or_b64 exec, exec, s[4:5]
                                        ; implicit-def: $vgpr64_vgpr65
	s_and_saveexec_b64 s[4:5], s[10:11]
	s_cbranch_execz .LBB198_113
.LBB198_112:
	v_add_co_u32_e32 v10, vcc, 0x1000, v10
	s_nop 1
	v_addc_co_u32_e32 v11, vcc, 0, v11, vcc
	global_load_dwordx2 v[64:65], v[10:11], off offset:1536
.LBB198_113:
	s_or_b64 exec, exec, s[4:5]
	v_mov_b32_e32 v3, 0
	v_mov_b32_e32 v9, 0
	s_and_saveexec_b64 s[4:5], s[24:25]
	s_cbranch_execz .LBB198_115
; %bb.114:
	v_lshlrev_b32_e32 v9, 1, v2
	ds_read_u16 v9, v9 offset:2048
	s_movk_i32 s6, 0x7fff
	v_mov_b32_e32 v10, 0xffff8000
	s_waitcnt lgkmcnt(0)
	v_cmp_ne_u16_e32 vcc, s6, v9
	s_nop 1
	v_cndmask_b32_e32 v9, v10, v9, vcc
	v_lshrrev_b32_sdwa v9, s68, v9 dst_sel:DWORD dst_unused:UNUSED_PAD src0_sel:DWORD src1_sel:WORD_0
	v_and_b32_e32 v9, s74, v9
.LBB198_115:
	s_or_b64 exec, exec, s[4:5]
	s_and_saveexec_b64 s[4:5], s[26:27]
	s_cbranch_execz .LBB198_117
; %bb.116:
	v_lshlrev_b32_e32 v3, 1, v2
	ds_read_u16 v3, v3 offset:2560
	s_movk_i32 s6, 0x7fff
	v_mov_b32_e32 v10, 0xffff8000
	s_waitcnt lgkmcnt(0)
	v_cmp_ne_u16_e32 vcc, s6, v3
	s_nop 1
	v_cndmask_b32_e32 v3, v10, v3, vcc
	v_lshrrev_b32_sdwa v3, s68, v3 dst_sel:DWORD dst_unused:UNUSED_PAD src0_sel:DWORD src1_sel:WORD_0
	v_and_b32_e32 v3, s74, v3
.LBB198_117:
	s_or_b64 exec, exec, s[4:5]
	v_mov_b32_e32 v10, 0
	v_mov_b32_e32 v36, 0
	s_and_saveexec_b64 s[4:5], s[28:29]
	s_cbranch_execz .LBB198_119
; %bb.118:
	v_lshlrev_b32_e32 v11, 1, v2
	ds_read_u16 v11, v11 offset:3072
	s_movk_i32 s6, 0x7fff
	v_mov_b32_e32 v14, 0xffff8000
	s_waitcnt lgkmcnt(0)
	v_cmp_ne_u16_e32 vcc, s6, v11
	s_nop 1
	v_cndmask_b32_e32 v11, v14, v11, vcc
	v_lshrrev_b32_sdwa v11, s68, v11 dst_sel:DWORD dst_unused:UNUSED_PAD src0_sel:DWORD src1_sel:WORD_0
	v_and_b32_e32 v36, s74, v11
.LBB198_119:
	s_or_b64 exec, exec, s[4:5]
	s_and_saveexec_b64 s[4:5], s[30:31]
	s_cbranch_execz .LBB198_121
; %bb.120:
	v_lshlrev_b32_e32 v10, 1, v2
	ds_read_u16 v10, v10 offset:3584
	s_movk_i32 s6, 0x7fff
	v_mov_b32_e32 v11, 0xffff8000
	s_waitcnt lgkmcnt(0)
	v_cmp_ne_u16_e32 vcc, s6, v10
	s_nop 1
	v_cndmask_b32_e32 v10, v11, v10, vcc
	v_lshrrev_b32_sdwa v10, s68, v10 dst_sel:DWORD dst_unused:UNUSED_PAD src0_sel:DWORD src1_sel:WORD_0
	v_and_b32_e32 v10, s74, v10
.LBB198_121:
	;; [unrolled: 32-line block ×6, first 2 shown]
	s_or_b64 exec, exec, s[4:5]
	v_lshlrev_b32_e32 v2, 3, v28
	s_barrier
	s_waitcnt vmcnt(0)
	ds_write_b64 v2, v[42:43] offset:2048
	v_lshlrev_b32_e32 v2, 3, v26
	ds_write_b64 v2, v[44:45] offset:2048
	v_lshlrev_b32_e32 v2, 3, v25
	ds_write_b64 v2, v[46:47] offset:2048
	v_lshlrev_b32_e32 v2, 3, v24
	ds_write_b64 v2, v[48:49] offset:2048
	v_lshlrev_b32_e32 v2, 3, v22
	ds_write_b64 v2, v[50:51] offset:2048
	v_lshlrev_b32_e32 v2, 3, v21
	ds_write_b64 v2, v[52:53] offset:2048
	v_lshlrev_b32_e32 v2, 3, v20
	ds_write_b64 v2, v[54:55] offset:2048
	v_lshlrev_b32_e32 v2, 3, v18
	ds_write_b64 v2, v[56:57] offset:2048
	v_lshlrev_b32_e32 v2, 3, v17
	ds_write_b64 v2, v[58:59] offset:2048
	v_lshlrev_b32_e32 v2, 3, v16
	ds_write_b64 v2, v[60:61] offset:2048
	v_lshlrev_b32_e32 v2, 3, v15
	ds_write_b64 v2, v[62:63] offset:2048
	v_lshlrev_b32_e32 v2, 3, v7
	ds_write_b64 v2, v[64:65] offset:2048
	s_waitcnt lgkmcnt(0)
	s_barrier
	s_and_saveexec_b64 s[4:5], s[24:25]
	s_cbranch_execz .LBB198_196
; %bb.138:
	v_lshlrev_b32_e32 v2, 3, v9
	ds_read_b64 v[16:17], v2
	ds_read_b64 v[20:21], v8 offset:2048
	v_mov_b32_e32 v9, 0
	s_waitcnt lgkmcnt(1)
	v_lshl_add_u64 v[16:17], v[16:17], 3, s[62:63]
	v_lshl_add_u64 v[16:17], v[16:17], 0, v[8:9]
	s_waitcnt lgkmcnt(0)
	global_store_dwordx2 v[16:17], v[20:21], off
	s_or_b64 exec, exec, s[4:5]
	s_and_saveexec_b64 s[4:5], s[26:27]
	s_cbranch_execnz .LBB198_197
.LBB198_139:
	s_or_b64 exec, exec, s[4:5]
	s_and_saveexec_b64 s[4:5], s[28:29]
	s_cbranch_execz .LBB198_198
.LBB198_140:
	v_lshlrev_b32_e32 v2, 3, v36
	ds_read_b64 v[2:3], v2
	ds_read_b64 v[16:17], v8 offset:6144
	v_lshlrev_b32_e32 v20, 3, v12
	v_mov_b32_e32 v21, 0
	s_waitcnt lgkmcnt(1)
	v_lshl_add_u64 v[2:3], v[2:3], 3, s[62:63]
	v_lshl_add_u64 v[2:3], v[2:3], 0, v[20:21]
	s_waitcnt lgkmcnt(0)
	global_store_dwordx2 v[2:3], v[16:17], off
	s_or_b64 exec, exec, s[4:5]
	s_and_saveexec_b64 s[4:5], s[30:31]
	s_cbranch_execnz .LBB198_199
.LBB198_141:
	s_or_b64 exec, exec, s[4:5]
	s_and_saveexec_b64 s[4:5], s[34:35]
	s_cbranch_execz .LBB198_200
.LBB198_142:
	v_lshlrev_b32_e32 v2, 3, v37
	ds_read_b64 v[2:3], v2
	ds_read_b64 v[12:13], v8 offset:10240
	v_lshlrev_b32_e32 v16, 3, v19
	v_mov_b32_e32 v17, 0
	s_waitcnt lgkmcnt(1)
	v_lshl_add_u64 v[2:3], v[2:3], 3, s[62:63]
	v_lshl_add_u64 v[2:3], v[2:3], 0, v[16:17]
	s_waitcnt lgkmcnt(0)
	global_store_dwordx2 v[2:3], v[12:13], off
	s_or_b64 exec, exec, s[4:5]
	s_and_saveexec_b64 s[4:5], s[36:37]
	s_cbranch_execnz .LBB198_201
.LBB198_143:
	s_or_b64 exec, exec, s[4:5]
	s_and_saveexec_b64 s[4:5], s[38:39]
	s_cbranch_execz .LBB198_202
.LBB198_144:
	v_lshlrev_b32_e32 v2, 3, v38
	ds_read_b64 v[2:3], v2
	ds_read_b64 v[10:11], v8 offset:14336
	v_lshlrev_b32_e32 v12, 3, v27
	v_mov_b32_e32 v13, 0
	s_waitcnt lgkmcnt(1)
	v_lshl_add_u64 v[2:3], v[2:3], 3, s[62:63]
	v_lshl_add_u64 v[2:3], v[2:3], 0, v[12:13]
	s_waitcnt lgkmcnt(0)
	global_store_dwordx2 v[2:3], v[10:11], off
	s_or_b64 exec, exec, s[4:5]
	s_and_saveexec_b64 s[4:5], s[40:41]
	s_cbranch_execnz .LBB198_203
.LBB198_145:
	s_or_b64 exec, exec, s[4:5]
	s_and_saveexec_b64 s[4:5], s[42:43]
	s_cbranch_execz .LBB198_204
.LBB198_146:
	v_lshlrev_b32_e32 v2, 3, v39
	ds_read_b64 v[2:3], v2
	ds_read_b64 v[10:11], v8 offset:18432
	v_lshlrev_b32_e32 v12, 3, v30
	v_mov_b32_e32 v13, 0
	s_waitcnt lgkmcnt(1)
	v_lshl_add_u64 v[2:3], v[2:3], 3, s[62:63]
	v_lshl_add_u64 v[2:3], v[2:3], 0, v[12:13]
	s_waitcnt lgkmcnt(0)
	global_store_dwordx2 v[2:3], v[10:11], off
	s_or_b64 exec, exec, s[4:5]
	s_and_saveexec_b64 s[4:5], s[44:45]
	s_cbranch_execnz .LBB198_205
.LBB198_147:
	s_or_b64 exec, exec, s[4:5]
	s_and_saveexec_b64 s[4:5], s[46:47]
	s_cbranch_execz .LBB198_206
.LBB198_148:
	v_lshlrev_b32_e32 v2, 3, v40
	ds_read_b64 v[2:3], v2
	ds_read_b64 v[10:11], v8 offset:22528
	v_lshlrev_b32_e32 v12, 3, v32
	v_mov_b32_e32 v13, 0
	s_waitcnt lgkmcnt(1)
	v_lshl_add_u64 v[2:3], v[2:3], 3, s[62:63]
	v_lshl_add_u64 v[2:3], v[2:3], 0, v[12:13]
	s_waitcnt lgkmcnt(0)
	global_store_dwordx2 v[2:3], v[10:11], off
	s_or_b64 exec, exec, s[4:5]
	s_and_saveexec_b64 s[4:5], s[48:49]
	s_cbranch_execnz .LBB198_207
.LBB198_149:
	s_or_b64 exec, exec, s[4:5]
	s_add_i32 s33, s33, -1
	s_cmp_eq_u32 s2, s33
	s_cbranch_scc0 .LBB198_151
.LBB198_150:
	ds_read_b64 v[2:3], v8
	v_mov_b32_e32 v7, 0
	v_lshl_add_u64 v[4:5], v[6:7], 0, v[4:5]
	s_waitcnt lgkmcnt(0)
	v_lshl_add_u64 v[2:3], v[4:5], 0, v[2:3]
	global_store_dwordx2 v8, v[2:3], s[66:67]
.LBB198_151:
	s_mov_b64 s[4:5], 0
.LBB198_152:
	s_and_b64 vcc, exec, s[4:5]
	s_cbranch_vccz .LBB198_195
; %bb.153:
	s_mov_b32 s55, 0
	s_lshl_b64 s[4:5], s[54:55], 1
	s_add_u32 s4, s56, s4
	v_mbcnt_hi_u32_b32 v12, -1, v1
	s_addc_u32 s5, s57, s5
	v_and_b32_e32 v7, 0xc0, v0
	v_mov_b32_e32 v5, 0
	v_lshlrev_b32_e32 v4, 1, v12
	v_mul_u32_u24_e32 v3, 12, v7
	v_lshl_add_u64 v[8:9], s[4:5], 0, v[4:5]
	s_load_dword s10, s[0:1], 0x50
	s_load_dword s4, s[0:1], 0x5c
	v_lshlrev_b32_e32 v4, 1, v3
	v_lshl_add_u64 v[8:9], v[8:9], 0, v[4:5]
	global_load_ushort v1, v[8:9], off
	s_add_u32 s0, s0, 0x50
	s_addc_u32 s1, s1, 0
	s_waitcnt lgkmcnt(0)
	s_lshr_b32 s4, s4, 16
	s_cmp_lt_u32 s2, s10
	s_cselect_b32 s5, 12, 18
	s_add_u32 s0, s0, s5
	s_addc_u32 s1, s1, 0
	global_load_ushort v4, v5, s[0:1]
	v_and_b32_e32 v2, 0x3ff, v0
	v_mul_u32_u24_e32 v6, 20, v2
	ds_write2_b32 v6, v5, v5 offset0:4 offset1:5
	ds_write2_b32 v6, v5, v5 offset0:6 offset1:7
	ds_write_b32 v6, v5 offset:32
	global_load_ushort v11, v[8:9], off offset:128
	global_load_ushort v16, v[8:9], off offset:256
	;; [unrolled: 1-line block ×11, first 2 shown]
	v_mov_b32_e32 v13, 0xffff8000
	s_movk_i32 s12, 0x7fff
	v_bfe_u32 v10, v0, 10, 10
	v_bfe_u32 v15, v0, 20, 10
	v_mad_u32_u24 v9, v15, s4, v10
	s_lshl_b32 s4, -1, s69
	v_mov_b32_e32 v0, v5
	v_mov_b32_e32 v14, v5
	s_not_b32 s11, s4
	v_mov_b32_e32 v22, v5
	v_mov_b32_e32 v28, v5
	s_waitcnt lgkmcnt(0)
	s_barrier
	s_waitcnt vmcnt(12)
	; wave barrier
	v_cmp_lt_i16_e32 vcc, -1, v1
	s_nop 1
	v_cndmask_b32_e32 v8, -1, v13, vcc
	v_xor_b32_e32 v8, v8, v1
	v_cmp_ne_u16_e32 vcc, s12, v8
	s_waitcnt vmcnt(11)
	v_mad_u64_u32 v[32:33], s[0:1], v9, v4, v[2:3]
	v_cndmask_b32_e32 v1, v13, v8, vcc
	v_lshrrev_b32_sdwa v1, s68, v1 dst_sel:DWORD dst_unused:UNUSED_PAD src0_sel:DWORD src1_sel:WORD_0
	v_bitop3_b32 v10, v1, s4, v1 bitop3:0x30
	v_and_b32_e32 v4, 1, v10
	v_lshlrev_b32_e32 v1, 30, v10
	v_lshrrev_b32_e32 v9, 6, v32
	v_lshlrev_b32_e32 v15, 29, v10
	v_lshl_add_u64 v[32:33], v[4:5], 0, -1
	v_cmp_ne_u32_e32 vcc, 0, v4
	v_cmp_gt_i64_e64 s[0:1], 0, v[0:1]
	v_not_b32_e32 v0, v1
	v_lshlrev_b32_e32 v23, 28, v10
	v_cmp_gt_i64_e64 s[4:5], 0, v[14:15]
	v_not_b32_e32 v1, v15
	v_xor_b32_e32 v15, vcc_lo, v32
	v_ashrrev_i32_e32 v0, 31, v0
	v_not_b32_e32 v4, v23
	v_ashrrev_i32_e32 v1, 31, v1
	v_and_b32_e32 v15, exec_lo, v15
	v_xor_b32_e32 v17, s1, v0
	v_xor_b32_e32 v0, s0, v0
	v_cmp_gt_i64_e64 s[6:7], 0, v[22:23]
	v_xor_b32_e32 v14, vcc_hi, v33
	v_ashrrev_i32_e32 v4, 31, v4
	v_xor_b32_e32 v18, s5, v1
	v_xor_b32_e32 v1, s4, v1
	v_and_b32_e32 v0, v15, v0
	v_lshlrev_b32_e32 v29, 27, v10
	v_and_b32_e32 v14, exec_hi, v14
	v_xor_b32_e32 v22, s7, v4
	v_xor_b32_e32 v4, s6, v4
	v_and_b32_e32 v0, v0, v1
	v_and_b32_e32 v14, v14, v17
	;; [unrolled: 1-line block ×3, first 2 shown]
	v_not_b32_e32 v4, v29
	v_cmp_gt_i64_e64 s[8:9], 0, v[28:29]
	v_and_b32_e32 v14, v14, v18
	v_ashrrev_i32_e32 v4, 31, v4
	v_and_b32_e32 v1, v14, v22
	v_xor_b32_e32 v14, s9, v4
	v_xor_b32_e32 v4, s8, v4
	v_and_b32_e32 v14, v1, v14
	v_and_b32_e32 v4, v0, v4
	v_lshlrev_b32_e32 v1, 26, v10
	v_mov_b32_e32 v0, v5
	v_cmp_gt_i64_e32 vcc, 0, v[0:1]
	v_not_b32_e32 v0, v1
	v_ashrrev_i32_e32 v0, 31, v0
	v_xor_b32_e32 v1, vcc_hi, v0
	v_xor_b32_e32 v0, vcc_lo, v0
	v_and_b32_e32 v14, v14, v1
	v_and_b32_e32 v4, v4, v0
	v_lshlrev_b32_e32 v1, 25, v10
	v_mov_b32_e32 v0, v5
	v_cmp_gt_i64_e32 vcc, 0, v[0:1]
	v_not_b32_e32 v0, v1
	v_ashrrev_i32_e32 v0, 31, v0
	v_xor_b32_e32 v1, vcc_hi, v0
	v_xor_b32_e32 v0, vcc_lo, v0
	;; [unrolled: 9-line block ×3, first 2 shown]
	v_and_b32_e32 v0, v4, v0
	v_lshlrev_b32_e32 v20, 2, v9
	v_and_b32_e32 v1, v14, v1
	v_mbcnt_lo_u32_b32 v4, v0, 0
	v_mad_u32_u24 v9, v10, 20, v20
	v_mbcnt_hi_u32_b32 v10, v1, v4
	v_cmp_eq_u32_e32 vcc, 0, v10
	v_cmp_ne_u64_e64 s[0:1], 0, v[0:1]
	s_and_b64 s[4:5], s[0:1], vcc
	s_and_saveexec_b64 s[0:1], s[4:5]
; %bb.154:
	v_bcnt_u32_b32 v0, v0, 0
	v_bcnt_u32_b32 v0, v1, v0
	ds_write_b32 v9, v0 offset:16
; %bb.155:
	s_or_b64 exec, exec, s[0:1]
	s_waitcnt vmcnt(10)
	v_cmp_lt_i16_e32 vcc, -1, v11
	; wave barrier
	s_nop 1
	v_cndmask_b32_e32 v0, -1, v13, vcc
	v_xor_b32_e32 v11, v0, v11
	v_cmp_ne_u16_e32 vcc, s12, v11
	s_nop 1
	v_cndmask_b32_e32 v0, v13, v11, vcc
	v_lshrrev_b32_sdwa v0, s68, v0 dst_sel:DWORD dst_unused:UNUSED_PAD src0_sel:DWORD src1_sel:WORD_0
	v_and_b32_e32 v15, s11, v0
	v_and_b32_e32 v4, 1, v15
	v_lshl_add_u64 v[0:1], v[4:5], 0, -1
	v_cmp_ne_u32_e32 vcc, 0, v4
	v_mad_u32_u24 v14, v15, 20, v20
	ds_read_b32 v13, v14 offset:16
	v_xor_b32_e32 v1, vcc_hi, v1
	v_xor_b32_e32 v0, vcc_lo, v0
	v_and_b32_e32 v4, exec_hi, v1
	v_and_b32_e32 v17, exec_lo, v0
	v_lshlrev_b32_e32 v1, 30, v15
	v_mov_b32_e32 v0, v5
	v_cmp_gt_i64_e32 vcc, 0, v[0:1]
	v_not_b32_e32 v0, v1
	v_ashrrev_i32_e32 v0, 31, v0
	v_xor_b32_e32 v1, vcc_hi, v0
	v_xor_b32_e32 v0, vcc_lo, v0
	v_and_b32_e32 v4, v4, v1
	v_and_b32_e32 v17, v17, v0
	v_lshlrev_b32_e32 v1, 29, v15
	v_mov_b32_e32 v0, v5
	v_cmp_gt_i64_e32 vcc, 0, v[0:1]
	v_not_b32_e32 v0, v1
	v_ashrrev_i32_e32 v0, 31, v0
	v_xor_b32_e32 v1, vcc_hi, v0
	v_xor_b32_e32 v0, vcc_lo, v0
	v_and_b32_e32 v4, v4, v1
	v_and_b32_e32 v17, v17, v0
	;; [unrolled: 9-line block ×7, first 2 shown]
	v_mbcnt_lo_u32_b32 v4, v0, 0
	v_mbcnt_hi_u32_b32 v15, v1, v4
	v_cmp_eq_u32_e32 vcc, 0, v15
	v_cmp_ne_u64_e64 s[0:1], 0, v[0:1]
	s_and_b64 s[4:5], s[0:1], vcc
	; wave barrier
	s_and_saveexec_b64 s[0:1], s[4:5]
	s_cbranch_execz .LBB198_157
; %bb.156:
	v_bcnt_u32_b32 v0, v0, 0
	v_bcnt_u32_b32 v0, v1, v0
	s_waitcnt lgkmcnt(0)
	v_add_u32_e32 v0, v13, v0
	ds_write_b32 v14, v0 offset:16
.LBB198_157:
	s_or_b64 exec, exec, s[0:1]
	v_mov_b32_e32 v23, 0xffff8000
	s_waitcnt vmcnt(9)
	v_cmp_lt_i16_e32 vcc, -1, v16
	s_movk_i32 s4, 0x7fff
	v_mov_b32_e32 v1, 0
	v_cndmask_b32_e32 v0, -1, v23, vcc
	v_xor_b32_e32 v16, v0, v16
	v_cmp_ne_u16_e32 vcc, s4, v16
	; wave barrier
	s_nop 1
	v_cndmask_b32_e32 v0, v23, v16, vcc
	v_lshrrev_b32_sdwa v0, s68, v0 dst_sel:DWORD dst_unused:UNUSED_PAD src0_sel:DWORD src1_sel:WORD_0
	v_and_b32_e32 v22, s11, v0
	v_and_b32_e32 v0, 1, v22
	v_lshl_add_u64 v[4:5], v[0:1], 0, -1
	v_cmp_ne_u32_e32 vcc, 0, v0
	v_mad_u32_u24 v18, v22, 20, v20
	ds_read_b32 v17, v18 offset:16
	v_xor_b32_e32 v4, vcc_lo, v4
	v_xor_b32_e32 v0, vcc_hi, v5
	v_and_b32_e32 v24, exec_lo, v4
	v_lshlrev_b32_e32 v5, 30, v22
	v_mov_b32_e32 v4, v1
	v_cmp_gt_i64_e32 vcc, 0, v[4:5]
	v_not_b32_e32 v4, v5
	v_ashrrev_i32_e32 v4, 31, v4
	v_and_b32_e32 v0, exec_hi, v0
	v_xor_b32_e32 v5, vcc_hi, v4
	v_xor_b32_e32 v4, vcc_lo, v4
	v_and_b32_e32 v0, v0, v5
	v_and_b32_e32 v24, v24, v4
	v_lshlrev_b32_e32 v5, 29, v22
	v_mov_b32_e32 v4, v1
	v_cmp_gt_i64_e32 vcc, 0, v[4:5]
	v_not_b32_e32 v4, v5
	v_ashrrev_i32_e32 v4, 31, v4
	v_xor_b32_e32 v5, vcc_hi, v4
	v_xor_b32_e32 v4, vcc_lo, v4
	v_and_b32_e32 v0, v0, v5
	v_and_b32_e32 v24, v24, v4
	v_lshlrev_b32_e32 v5, 28, v22
	v_mov_b32_e32 v4, v1
	v_cmp_gt_i64_e32 vcc, 0, v[4:5]
	v_not_b32_e32 v4, v5
	v_ashrrev_i32_e32 v4, 31, v4
	;; [unrolled: 9-line block ×6, first 2 shown]
	v_xor_b32_e32 v5, vcc_hi, v4
	v_xor_b32_e32 v4, vcc_lo, v4
	v_and_b32_e32 v4, v24, v4
	v_and_b32_e32 v5, v0, v5
	v_mbcnt_lo_u32_b32 v0, v4, 0
	v_mbcnt_hi_u32_b32 v22, v5, v0
	v_cmp_eq_u32_e32 vcc, 0, v22
	v_cmp_ne_u64_e64 s[0:1], 0, v[4:5]
	s_and_b64 s[6:7], s[0:1], vcc
	; wave barrier
	s_and_saveexec_b64 s[0:1], s[6:7]
	s_cbranch_execz .LBB198_159
; %bb.158:
	v_bcnt_u32_b32 v0, v4, 0
	v_bcnt_u32_b32 v0, v5, v0
	s_waitcnt lgkmcnt(0)
	v_add_u32_e32 v0, v17, v0
	ds_write_b32 v18, v0 offset:16
.LBB198_159:
	s_or_b64 exec, exec, s[0:1]
	s_waitcnt vmcnt(8)
	v_cmp_lt_i16_e32 vcc, -1, v21
	; wave barrier
	s_nop 1
	v_cndmask_b32_e32 v0, -1, v23, vcc
	v_xor_b32_e32 v21, v0, v21
	v_cmp_ne_u16_e32 vcc, s4, v21
	s_nop 1
	v_cndmask_b32_e32 v0, v23, v21, vcc
	v_lshrrev_b32_sdwa v0, s68, v0 dst_sel:DWORD dst_unused:UNUSED_PAD src0_sel:DWORD src1_sel:WORD_0
	v_and_b32_e32 v27, s11, v0
	v_and_b32_e32 v0, 1, v27
	v_lshl_add_u64 v[4:5], v[0:1], 0, -1
	v_cmp_ne_u32_e32 vcc, 0, v0
	v_mad_u32_u24 v24, v27, 20, v20
	ds_read_b32 v23, v24 offset:16
	v_xor_b32_e32 v4, vcc_lo, v4
	v_xor_b32_e32 v0, vcc_hi, v5
	v_and_b32_e32 v28, exec_lo, v4
	v_lshlrev_b32_e32 v5, 30, v27
	v_mov_b32_e32 v4, v1
	v_cmp_gt_i64_e32 vcc, 0, v[4:5]
	v_not_b32_e32 v4, v5
	v_ashrrev_i32_e32 v4, 31, v4
	v_and_b32_e32 v0, exec_hi, v0
	v_xor_b32_e32 v5, vcc_hi, v4
	v_xor_b32_e32 v4, vcc_lo, v4
	v_and_b32_e32 v0, v0, v5
	v_and_b32_e32 v28, v28, v4
	v_lshlrev_b32_e32 v5, 29, v27
	v_mov_b32_e32 v4, v1
	v_cmp_gt_i64_e32 vcc, 0, v[4:5]
	v_not_b32_e32 v4, v5
	v_ashrrev_i32_e32 v4, 31, v4
	v_xor_b32_e32 v5, vcc_hi, v4
	v_xor_b32_e32 v4, vcc_lo, v4
	v_and_b32_e32 v0, v0, v5
	v_and_b32_e32 v28, v28, v4
	v_lshlrev_b32_e32 v5, 28, v27
	v_mov_b32_e32 v4, v1
	v_cmp_gt_i64_e32 vcc, 0, v[4:5]
	v_not_b32_e32 v4, v5
	v_ashrrev_i32_e32 v4, 31, v4
	;; [unrolled: 9-line block ×5, first 2 shown]
	v_xor_b32_e32 v5, vcc_hi, v4
	v_xor_b32_e32 v4, vcc_lo, v4
	v_and_b32_e32 v0, v0, v5
	v_lshlrev_b32_e32 v5, 24, v27
	v_and_b32_e32 v28, v28, v4
	v_mov_b32_e32 v4, v1
	v_not_b32_e32 v1, v5
	v_cmp_gt_i64_e32 vcc, 0, v[4:5]
	v_ashrrev_i32_e32 v1, 31, v1
	s_nop 0
	v_xor_b32_e32 v4, vcc_hi, v1
	v_xor_b32_e32 v5, vcc_lo, v1
	v_and_b32_e32 v1, v0, v4
	v_and_b32_e32 v0, v28, v5
	v_mbcnt_lo_u32_b32 v4, v0, 0
	v_mbcnt_hi_u32_b32 v27, v1, v4
	v_cmp_eq_u32_e32 vcc, 0, v27
	v_cmp_ne_u64_e64 s[0:1], 0, v[0:1]
	s_and_b64 s[4:5], s[0:1], vcc
	; wave barrier
	s_and_saveexec_b64 s[0:1], s[4:5]
	s_cbranch_execz .LBB198_161
; %bb.160:
	v_bcnt_u32_b32 v0, v0, 0
	v_bcnt_u32_b32 v0, v1, v0
	s_waitcnt lgkmcnt(0)
	v_add_u32_e32 v0, v23, v0
	ds_write_b32 v24, v0 offset:16
.LBB198_161:
	s_or_b64 exec, exec, s[0:1]
	v_mov_b32_e32 v33, 0xffff8000
	s_waitcnt vmcnt(7)
	v_cmp_lt_i16_e32 vcc, -1, v26
	s_movk_i32 s4, 0x7fff
	v_mov_b32_e32 v1, 0
	v_cndmask_b32_e32 v0, -1, v33, vcc
	v_xor_b32_e32 v26, v0, v26
	v_cmp_ne_u16_e32 vcc, s4, v26
	; wave barrier
	s_nop 1
	v_cndmask_b32_e32 v0, v33, v26, vcc
	v_lshrrev_b32_sdwa v0, s68, v0 dst_sel:DWORD dst_unused:UNUSED_PAD src0_sel:DWORD src1_sel:WORD_0
	v_and_b32_e32 v32, s11, v0
	v_and_b32_e32 v0, 1, v32
	v_lshl_add_u64 v[4:5], v[0:1], 0, -1
	v_cmp_ne_u32_e32 vcc, 0, v0
	v_mad_u32_u24 v29, v32, 20, v20
	ds_read_b32 v28, v29 offset:16
	v_xor_b32_e32 v4, vcc_lo, v4
	v_xor_b32_e32 v0, vcc_hi, v5
	v_and_b32_e32 v34, exec_lo, v4
	v_lshlrev_b32_e32 v5, 30, v32
	v_mov_b32_e32 v4, v1
	v_cmp_gt_i64_e32 vcc, 0, v[4:5]
	v_not_b32_e32 v4, v5
	v_ashrrev_i32_e32 v4, 31, v4
	v_and_b32_e32 v0, exec_hi, v0
	v_xor_b32_e32 v5, vcc_hi, v4
	v_xor_b32_e32 v4, vcc_lo, v4
	v_and_b32_e32 v0, v0, v5
	v_and_b32_e32 v34, v34, v4
	v_lshlrev_b32_e32 v5, 29, v32
	v_mov_b32_e32 v4, v1
	v_cmp_gt_i64_e32 vcc, 0, v[4:5]
	v_not_b32_e32 v4, v5
	v_ashrrev_i32_e32 v4, 31, v4
	v_xor_b32_e32 v5, vcc_hi, v4
	v_xor_b32_e32 v4, vcc_lo, v4
	v_and_b32_e32 v0, v0, v5
	v_and_b32_e32 v34, v34, v4
	v_lshlrev_b32_e32 v5, 28, v32
	v_mov_b32_e32 v4, v1
	v_cmp_gt_i64_e32 vcc, 0, v[4:5]
	v_not_b32_e32 v4, v5
	v_ashrrev_i32_e32 v4, 31, v4
	;; [unrolled: 9-line block ×6, first 2 shown]
	v_xor_b32_e32 v5, vcc_hi, v4
	v_xor_b32_e32 v4, vcc_lo, v4
	v_and_b32_e32 v4, v34, v4
	v_and_b32_e32 v5, v0, v5
	v_mbcnt_lo_u32_b32 v0, v4, 0
	v_mbcnt_hi_u32_b32 v32, v5, v0
	v_cmp_eq_u32_e32 vcc, 0, v32
	v_cmp_ne_u64_e64 s[0:1], 0, v[4:5]
	s_and_b64 s[6:7], s[0:1], vcc
	; wave barrier
	s_and_saveexec_b64 s[0:1], s[6:7]
	s_cbranch_execz .LBB198_163
; %bb.162:
	v_bcnt_u32_b32 v0, v4, 0
	v_bcnt_u32_b32 v0, v5, v0
	s_waitcnt lgkmcnt(0)
	v_add_u32_e32 v0, v28, v0
	ds_write_b32 v29, v0 offset:16
.LBB198_163:
	s_or_b64 exec, exec, s[0:1]
	s_waitcnt vmcnt(6)
	v_cmp_lt_i16_e32 vcc, -1, v31
	; wave barrier
	s_nop 1
	v_cndmask_b32_e32 v0, -1, v33, vcc
	v_xor_b32_e32 v31, v0, v31
	v_cmp_ne_u16_e32 vcc, s4, v31
	s_nop 1
	v_cndmask_b32_e32 v0, v33, v31, vcc
	v_lshrrev_b32_sdwa v0, s68, v0 dst_sel:DWORD dst_unused:UNUSED_PAD src0_sel:DWORD src1_sel:WORD_0
	v_and_b32_e32 v37, s11, v0
	v_and_b32_e32 v0, 1, v37
	v_lshl_add_u64 v[4:5], v[0:1], 0, -1
	v_cmp_ne_u32_e32 vcc, 0, v0
	v_mad_u32_u24 v34, v37, 20, v20
	ds_read_b32 v33, v34 offset:16
	v_xor_b32_e32 v4, vcc_lo, v4
	v_xor_b32_e32 v0, vcc_hi, v5
	v_and_b32_e32 v38, exec_lo, v4
	v_lshlrev_b32_e32 v5, 30, v37
	v_mov_b32_e32 v4, v1
	v_cmp_gt_i64_e32 vcc, 0, v[4:5]
	v_not_b32_e32 v4, v5
	v_ashrrev_i32_e32 v4, 31, v4
	v_and_b32_e32 v0, exec_hi, v0
	v_xor_b32_e32 v5, vcc_hi, v4
	v_xor_b32_e32 v4, vcc_lo, v4
	v_and_b32_e32 v0, v0, v5
	v_and_b32_e32 v38, v38, v4
	v_lshlrev_b32_e32 v5, 29, v37
	v_mov_b32_e32 v4, v1
	v_cmp_gt_i64_e32 vcc, 0, v[4:5]
	v_not_b32_e32 v4, v5
	v_ashrrev_i32_e32 v4, 31, v4
	v_xor_b32_e32 v5, vcc_hi, v4
	v_xor_b32_e32 v4, vcc_lo, v4
	v_and_b32_e32 v0, v0, v5
	v_and_b32_e32 v38, v38, v4
	v_lshlrev_b32_e32 v5, 28, v37
	v_mov_b32_e32 v4, v1
	v_cmp_gt_i64_e32 vcc, 0, v[4:5]
	v_not_b32_e32 v4, v5
	v_ashrrev_i32_e32 v4, 31, v4
	;; [unrolled: 9-line block ×5, first 2 shown]
	v_xor_b32_e32 v5, vcc_hi, v4
	v_xor_b32_e32 v4, vcc_lo, v4
	v_and_b32_e32 v0, v0, v5
	v_lshlrev_b32_e32 v5, 24, v37
	v_and_b32_e32 v38, v38, v4
	v_mov_b32_e32 v4, v1
	v_not_b32_e32 v1, v5
	v_cmp_gt_i64_e32 vcc, 0, v[4:5]
	v_ashrrev_i32_e32 v1, 31, v1
	s_nop 0
	v_xor_b32_e32 v4, vcc_hi, v1
	v_xor_b32_e32 v5, vcc_lo, v1
	v_and_b32_e32 v1, v0, v4
	v_and_b32_e32 v0, v38, v5
	v_mbcnt_lo_u32_b32 v4, v0, 0
	v_mbcnt_hi_u32_b32 v37, v1, v4
	v_cmp_eq_u32_e32 vcc, 0, v37
	v_cmp_ne_u64_e64 s[0:1], 0, v[0:1]
	s_and_b64 s[4:5], s[0:1], vcc
	; wave barrier
	s_and_saveexec_b64 s[0:1], s[4:5]
	s_cbranch_execz .LBB198_165
; %bb.164:
	v_bcnt_u32_b32 v0, v0, 0
	v_bcnt_u32_b32 v0, v1, v0
	s_waitcnt lgkmcnt(0)
	v_add_u32_e32 v0, v33, v0
	ds_write_b32 v34, v0 offset:16
.LBB198_165:
	s_or_b64 exec, exec, s[0:1]
	v_mov_b32_e32 v42, 0xffff8000
	s_waitcnt vmcnt(5)
	v_cmp_lt_i16_e32 vcc, -1, v36
	s_movk_i32 s4, 0x7fff
	v_mov_b32_e32 v1, 0
	v_cndmask_b32_e32 v0, -1, v42, vcc
	v_xor_b32_e32 v36, v0, v36
	v_cmp_ne_u16_e32 vcc, s4, v36
	; wave barrier
	s_nop 1
	v_cndmask_b32_e32 v0, v42, v36, vcc
	v_lshrrev_b32_sdwa v0, s68, v0 dst_sel:DWORD dst_unused:UNUSED_PAD src0_sel:DWORD src1_sel:WORD_0
	v_and_b32_e32 v41, s11, v0
	v_and_b32_e32 v0, 1, v41
	v_lshl_add_u64 v[4:5], v[0:1], 0, -1
	v_cmp_ne_u32_e32 vcc, 0, v0
	v_mad_u32_u24 v39, v41, 20, v20
	ds_read_b32 v38, v39 offset:16
	v_xor_b32_e32 v4, vcc_lo, v4
	v_xor_b32_e32 v0, vcc_hi, v5
	v_and_b32_e32 v43, exec_lo, v4
	v_lshlrev_b32_e32 v5, 30, v41
	v_mov_b32_e32 v4, v1
	v_cmp_gt_i64_e32 vcc, 0, v[4:5]
	v_not_b32_e32 v4, v5
	v_ashrrev_i32_e32 v4, 31, v4
	v_and_b32_e32 v0, exec_hi, v0
	v_xor_b32_e32 v5, vcc_hi, v4
	v_xor_b32_e32 v4, vcc_lo, v4
	v_and_b32_e32 v0, v0, v5
	v_and_b32_e32 v43, v43, v4
	v_lshlrev_b32_e32 v5, 29, v41
	v_mov_b32_e32 v4, v1
	v_cmp_gt_i64_e32 vcc, 0, v[4:5]
	v_not_b32_e32 v4, v5
	v_ashrrev_i32_e32 v4, 31, v4
	v_xor_b32_e32 v5, vcc_hi, v4
	v_xor_b32_e32 v4, vcc_lo, v4
	v_and_b32_e32 v0, v0, v5
	v_and_b32_e32 v43, v43, v4
	v_lshlrev_b32_e32 v5, 28, v41
	v_mov_b32_e32 v4, v1
	v_cmp_gt_i64_e32 vcc, 0, v[4:5]
	v_not_b32_e32 v4, v5
	v_ashrrev_i32_e32 v4, 31, v4
	;; [unrolled: 9-line block ×6, first 2 shown]
	v_xor_b32_e32 v5, vcc_hi, v4
	v_xor_b32_e32 v4, vcc_lo, v4
	v_and_b32_e32 v4, v43, v4
	v_and_b32_e32 v5, v0, v5
	v_mbcnt_lo_u32_b32 v0, v4, 0
	v_mbcnt_hi_u32_b32 v41, v5, v0
	v_cmp_eq_u32_e32 vcc, 0, v41
	v_cmp_ne_u64_e64 s[0:1], 0, v[4:5]
	s_and_b64 s[6:7], s[0:1], vcc
	; wave barrier
	s_and_saveexec_b64 s[0:1], s[6:7]
	s_cbranch_execz .LBB198_167
; %bb.166:
	v_bcnt_u32_b32 v0, v4, 0
	v_bcnt_u32_b32 v0, v5, v0
	s_waitcnt lgkmcnt(0)
	v_add_u32_e32 v0, v38, v0
	ds_write_b32 v39, v0 offset:16
.LBB198_167:
	s_or_b64 exec, exec, s[0:1]
	s_waitcnt vmcnt(4)
	v_cmp_lt_i16_e32 vcc, -1, v40
	; wave barrier
	s_nop 1
	v_cndmask_b32_e32 v0, -1, v42, vcc
	v_xor_b32_e32 v40, v0, v40
	v_cmp_ne_u16_e32 vcc, s4, v40
	s_nop 1
	v_cndmask_b32_e32 v0, v42, v40, vcc
	v_lshrrev_b32_sdwa v0, s68, v0 dst_sel:DWORD dst_unused:UNUSED_PAD src0_sel:DWORD src1_sel:WORD_0
	v_and_b32_e32 v44, s11, v0
	v_and_b32_e32 v0, 1, v44
	v_lshl_add_u64 v[4:5], v[0:1], 0, -1
	v_cmp_ne_u32_e32 vcc, 0, v0
	v_mad_u32_u24 v43, v44, 20, v20
	ds_read_b32 v42, v43 offset:16
	v_xor_b32_e32 v4, vcc_lo, v4
	v_xor_b32_e32 v0, vcc_hi, v5
	v_and_b32_e32 v45, exec_lo, v4
	v_lshlrev_b32_e32 v5, 30, v44
	v_mov_b32_e32 v4, v1
	v_cmp_gt_i64_e32 vcc, 0, v[4:5]
	v_not_b32_e32 v4, v5
	v_ashrrev_i32_e32 v4, 31, v4
	v_and_b32_e32 v0, exec_hi, v0
	v_xor_b32_e32 v5, vcc_hi, v4
	v_xor_b32_e32 v4, vcc_lo, v4
	v_and_b32_e32 v0, v0, v5
	v_and_b32_e32 v45, v45, v4
	v_lshlrev_b32_e32 v5, 29, v44
	v_mov_b32_e32 v4, v1
	v_cmp_gt_i64_e32 vcc, 0, v[4:5]
	v_not_b32_e32 v4, v5
	v_ashrrev_i32_e32 v4, 31, v4
	v_xor_b32_e32 v5, vcc_hi, v4
	v_xor_b32_e32 v4, vcc_lo, v4
	v_and_b32_e32 v0, v0, v5
	v_and_b32_e32 v45, v45, v4
	v_lshlrev_b32_e32 v5, 28, v44
	v_mov_b32_e32 v4, v1
	v_cmp_gt_i64_e32 vcc, 0, v[4:5]
	v_not_b32_e32 v4, v5
	v_ashrrev_i32_e32 v4, 31, v4
	;; [unrolled: 9-line block ×5, first 2 shown]
	v_xor_b32_e32 v5, vcc_hi, v4
	v_xor_b32_e32 v4, vcc_lo, v4
	v_and_b32_e32 v0, v0, v5
	v_lshlrev_b32_e32 v5, 24, v44
	v_and_b32_e32 v45, v45, v4
	v_mov_b32_e32 v4, v1
	v_not_b32_e32 v1, v5
	v_cmp_gt_i64_e32 vcc, 0, v[4:5]
	v_ashrrev_i32_e32 v1, 31, v1
	s_nop 0
	v_xor_b32_e32 v4, vcc_hi, v1
	v_xor_b32_e32 v5, vcc_lo, v1
	v_and_b32_e32 v1, v0, v4
	v_and_b32_e32 v0, v45, v5
	v_mbcnt_lo_u32_b32 v4, v0, 0
	v_mbcnt_hi_u32_b32 v44, v1, v4
	v_cmp_eq_u32_e32 vcc, 0, v44
	v_cmp_ne_u64_e64 s[0:1], 0, v[0:1]
	s_and_b64 s[4:5], s[0:1], vcc
	; wave barrier
	s_and_saveexec_b64 s[0:1], s[4:5]
	s_cbranch_execz .LBB198_169
; %bb.168:
	v_bcnt_u32_b32 v0, v0, 0
	v_bcnt_u32_b32 v0, v1, v0
	s_waitcnt lgkmcnt(0)
	v_add_u32_e32 v0, v42, v0
	ds_write_b32 v43, v0 offset:16
.LBB198_169:
	s_or_b64 exec, exec, s[0:1]
	v_mov_b32_e32 v48, 0xffff8000
	s_waitcnt vmcnt(3)
	v_cmp_lt_i16_e32 vcc, -1, v35
	s_movk_i32 s4, 0x7fff
	v_mov_b32_e32 v1, 0
	v_cndmask_b32_e32 v0, -1, v48, vcc
	v_xor_b32_e32 v35, v0, v35
	v_cmp_ne_u16_e32 vcc, s4, v35
	; wave barrier
	s_nop 1
	v_cndmask_b32_e32 v0, v48, v35, vcc
	v_lshrrev_b32_sdwa v0, s68, v0 dst_sel:DWORD dst_unused:UNUSED_PAD src0_sel:DWORD src1_sel:WORD_0
	v_and_b32_e32 v47, s11, v0
	v_and_b32_e32 v0, 1, v47
	v_lshl_add_u64 v[4:5], v[0:1], 0, -1
	v_cmp_ne_u32_e32 vcc, 0, v0
	v_mad_u32_u24 v46, v47, 20, v20
	ds_read_b32 v45, v46 offset:16
	v_xor_b32_e32 v4, vcc_lo, v4
	v_xor_b32_e32 v0, vcc_hi, v5
	v_and_b32_e32 v49, exec_lo, v4
	v_lshlrev_b32_e32 v5, 30, v47
	v_mov_b32_e32 v4, v1
	v_cmp_gt_i64_e32 vcc, 0, v[4:5]
	v_not_b32_e32 v4, v5
	v_ashrrev_i32_e32 v4, 31, v4
	v_and_b32_e32 v0, exec_hi, v0
	v_xor_b32_e32 v5, vcc_hi, v4
	v_xor_b32_e32 v4, vcc_lo, v4
	v_and_b32_e32 v0, v0, v5
	v_and_b32_e32 v49, v49, v4
	v_lshlrev_b32_e32 v5, 29, v47
	v_mov_b32_e32 v4, v1
	v_cmp_gt_i64_e32 vcc, 0, v[4:5]
	v_not_b32_e32 v4, v5
	v_ashrrev_i32_e32 v4, 31, v4
	v_xor_b32_e32 v5, vcc_hi, v4
	v_xor_b32_e32 v4, vcc_lo, v4
	v_and_b32_e32 v0, v0, v5
	v_and_b32_e32 v49, v49, v4
	v_lshlrev_b32_e32 v5, 28, v47
	v_mov_b32_e32 v4, v1
	v_cmp_gt_i64_e32 vcc, 0, v[4:5]
	v_not_b32_e32 v4, v5
	v_ashrrev_i32_e32 v4, 31, v4
	;; [unrolled: 9-line block ×6, first 2 shown]
	v_xor_b32_e32 v5, vcc_hi, v4
	v_xor_b32_e32 v4, vcc_lo, v4
	v_and_b32_e32 v4, v49, v4
	v_and_b32_e32 v5, v0, v5
	v_mbcnt_lo_u32_b32 v0, v4, 0
	v_mbcnt_hi_u32_b32 v47, v5, v0
	v_cmp_eq_u32_e32 vcc, 0, v47
	v_cmp_ne_u64_e64 s[0:1], 0, v[4:5]
	s_and_b64 s[6:7], s[0:1], vcc
	; wave barrier
	s_and_saveexec_b64 s[0:1], s[6:7]
	s_cbranch_execz .LBB198_171
; %bb.170:
	v_bcnt_u32_b32 v0, v4, 0
	v_bcnt_u32_b32 v0, v5, v0
	s_waitcnt lgkmcnt(0)
	v_add_u32_e32 v0, v45, v0
	ds_write_b32 v46, v0 offset:16
.LBB198_171:
	s_or_b64 exec, exec, s[0:1]
	s_waitcnt vmcnt(2)
	v_cmp_lt_i16_e32 vcc, -1, v30
	; wave barrier
	s_nop 1
	v_cndmask_b32_e32 v0, -1, v48, vcc
	v_xor_b32_e32 v30, v0, v30
	v_cmp_ne_u16_e32 vcc, s4, v30
	s_nop 1
	v_cndmask_b32_e32 v0, v48, v30, vcc
	v_lshrrev_b32_sdwa v0, s68, v0 dst_sel:DWORD dst_unused:UNUSED_PAD src0_sel:DWORD src1_sel:WORD_0
	v_and_b32_e32 v50, s11, v0
	v_and_b32_e32 v0, 1, v50
	v_lshl_add_u64 v[4:5], v[0:1], 0, -1
	v_cmp_ne_u32_e32 vcc, 0, v0
	v_mad_u32_u24 v49, v50, 20, v20
	ds_read_b32 v48, v49 offset:16
	v_xor_b32_e32 v4, vcc_lo, v4
	v_xor_b32_e32 v0, vcc_hi, v5
	v_and_b32_e32 v51, exec_lo, v4
	v_lshlrev_b32_e32 v5, 30, v50
	v_mov_b32_e32 v4, v1
	v_cmp_gt_i64_e32 vcc, 0, v[4:5]
	v_not_b32_e32 v4, v5
	v_ashrrev_i32_e32 v4, 31, v4
	v_and_b32_e32 v0, exec_hi, v0
	v_xor_b32_e32 v5, vcc_hi, v4
	v_xor_b32_e32 v4, vcc_lo, v4
	v_and_b32_e32 v0, v0, v5
	v_and_b32_e32 v51, v51, v4
	v_lshlrev_b32_e32 v5, 29, v50
	v_mov_b32_e32 v4, v1
	v_cmp_gt_i64_e32 vcc, 0, v[4:5]
	v_not_b32_e32 v4, v5
	v_ashrrev_i32_e32 v4, 31, v4
	v_xor_b32_e32 v5, vcc_hi, v4
	v_xor_b32_e32 v4, vcc_lo, v4
	v_and_b32_e32 v0, v0, v5
	v_and_b32_e32 v51, v51, v4
	v_lshlrev_b32_e32 v5, 28, v50
	v_mov_b32_e32 v4, v1
	v_cmp_gt_i64_e32 vcc, 0, v[4:5]
	v_not_b32_e32 v4, v5
	v_ashrrev_i32_e32 v4, 31, v4
	;; [unrolled: 9-line block ×5, first 2 shown]
	v_xor_b32_e32 v5, vcc_hi, v4
	v_xor_b32_e32 v4, vcc_lo, v4
	v_and_b32_e32 v0, v0, v5
	v_lshlrev_b32_e32 v5, 24, v50
	v_and_b32_e32 v51, v51, v4
	v_mov_b32_e32 v4, v1
	v_not_b32_e32 v1, v5
	v_cmp_gt_i64_e32 vcc, 0, v[4:5]
	v_ashrrev_i32_e32 v1, 31, v1
	s_nop 0
	v_xor_b32_e32 v4, vcc_hi, v1
	v_xor_b32_e32 v5, vcc_lo, v1
	v_and_b32_e32 v1, v0, v4
	v_and_b32_e32 v0, v51, v5
	v_mbcnt_lo_u32_b32 v4, v0, 0
	v_mbcnt_hi_u32_b32 v51, v1, v4
	v_cmp_eq_u32_e32 vcc, 0, v51
	v_cmp_ne_u64_e64 s[0:1], 0, v[0:1]
	s_and_b64 s[4:5], s[0:1], vcc
	; wave barrier
	s_and_saveexec_b64 s[0:1], s[4:5]
	s_cbranch_execz .LBB198_173
; %bb.172:
	v_bcnt_u32_b32 v0, v0, 0
	v_bcnt_u32_b32 v0, v1, v0
	s_waitcnt lgkmcnt(0)
	v_add_u32_e32 v0, v48, v0
	ds_write_b32 v49, v0 offset:16
.LBB198_173:
	s_or_b64 exec, exec, s[0:1]
	v_mov_b32_e32 v55, 0xffff8000
	s_waitcnt vmcnt(1)
	v_cmp_lt_i16_e32 vcc, -1, v25
	s_movk_i32 s4, 0x7fff
	v_mov_b32_e32 v1, 0
	v_cndmask_b32_e32 v0, -1, v55, vcc
	v_xor_b32_e32 v50, v0, v25
	v_cmp_ne_u16_e32 vcc, s4, v50
	; wave barrier
	s_nop 1
	v_cndmask_b32_e32 v0, v55, v50, vcc
	v_lshrrev_b32_sdwa v0, s68, v0 dst_sel:DWORD dst_unused:UNUSED_PAD src0_sel:DWORD src1_sel:WORD_0
	v_and_b32_e32 v53, s11, v0
	v_and_b32_e32 v0, 1, v53
	v_lshl_add_u64 v[4:5], v[0:1], 0, -1
	v_cmp_ne_u32_e32 vcc, 0, v0
	v_mad_u32_u24 v25, v53, 20, v20
	ds_read_b32 v52, v25 offset:16
	v_xor_b32_e32 v4, vcc_lo, v4
	v_xor_b32_e32 v0, vcc_hi, v5
	v_and_b32_e32 v54, exec_lo, v4
	v_lshlrev_b32_e32 v5, 30, v53
	v_mov_b32_e32 v4, v1
	v_cmp_gt_i64_e32 vcc, 0, v[4:5]
	v_not_b32_e32 v4, v5
	v_ashrrev_i32_e32 v4, 31, v4
	v_and_b32_e32 v0, exec_hi, v0
	v_xor_b32_e32 v5, vcc_hi, v4
	v_xor_b32_e32 v4, vcc_lo, v4
	v_and_b32_e32 v0, v0, v5
	v_and_b32_e32 v54, v54, v4
	v_lshlrev_b32_e32 v5, 29, v53
	v_mov_b32_e32 v4, v1
	v_cmp_gt_i64_e32 vcc, 0, v[4:5]
	v_not_b32_e32 v4, v5
	v_ashrrev_i32_e32 v4, 31, v4
	v_xor_b32_e32 v5, vcc_hi, v4
	v_xor_b32_e32 v4, vcc_lo, v4
	v_and_b32_e32 v0, v0, v5
	v_and_b32_e32 v54, v54, v4
	v_lshlrev_b32_e32 v5, 28, v53
	v_mov_b32_e32 v4, v1
	v_cmp_gt_i64_e32 vcc, 0, v[4:5]
	v_not_b32_e32 v4, v5
	v_ashrrev_i32_e32 v4, 31, v4
	;; [unrolled: 9-line block ×6, first 2 shown]
	v_xor_b32_e32 v5, vcc_hi, v4
	v_xor_b32_e32 v4, vcc_lo, v4
	v_and_b32_e32 v4, v54, v4
	v_and_b32_e32 v5, v0, v5
	v_mbcnt_lo_u32_b32 v0, v4, 0
	v_mbcnt_hi_u32_b32 v54, v5, v0
	v_cmp_eq_u32_e32 vcc, 0, v54
	v_cmp_ne_u64_e64 s[0:1], 0, v[4:5]
	s_and_b64 s[6:7], s[0:1], vcc
	; wave barrier
	s_and_saveexec_b64 s[0:1], s[6:7]
	s_cbranch_execz .LBB198_175
; %bb.174:
	v_bcnt_u32_b32 v0, v4, 0
	v_bcnt_u32_b32 v0, v5, v0
	s_waitcnt lgkmcnt(0)
	v_add_u32_e32 v0, v52, v0
	ds_write_b32 v25, v0 offset:16
.LBB198_175:
	s_or_b64 exec, exec, s[0:1]
	s_waitcnt vmcnt(0)
	v_cmp_lt_i16_e32 vcc, -1, v19
	; wave barrier
	s_nop 1
	v_cndmask_b32_e32 v0, -1, v55, vcc
	v_xor_b32_e32 v53, v0, v19
	v_cmp_ne_u16_e32 vcc, s4, v53
	s_nop 1
	v_cndmask_b32_e32 v0, v55, v53, vcc
	v_lshrrev_b32_sdwa v0, s68, v0 dst_sel:DWORD dst_unused:UNUSED_PAD src0_sel:DWORD src1_sel:WORD_0
	v_and_b32_e32 v56, s11, v0
	v_and_b32_e32 v0, 1, v56
	v_lshl_add_u64 v[4:5], v[0:1], 0, -1
	v_cmp_ne_u32_e32 vcc, 0, v0
	v_mad_u32_u24 v19, v56, 20, v20
	ds_read_b32 v55, v19 offset:16
	v_xor_b32_e32 v4, vcc_lo, v4
	v_xor_b32_e32 v0, vcc_hi, v5
	v_and_b32_e32 v20, exec_lo, v4
	v_lshlrev_b32_e32 v5, 30, v56
	v_mov_b32_e32 v4, v1
	v_cmp_gt_i64_e32 vcc, 0, v[4:5]
	v_not_b32_e32 v4, v5
	v_ashrrev_i32_e32 v4, 31, v4
	v_and_b32_e32 v0, exec_hi, v0
	v_xor_b32_e32 v5, vcc_hi, v4
	v_xor_b32_e32 v4, vcc_lo, v4
	v_and_b32_e32 v0, v0, v5
	v_and_b32_e32 v20, v20, v4
	v_lshlrev_b32_e32 v5, 29, v56
	v_mov_b32_e32 v4, v1
	v_cmp_gt_i64_e32 vcc, 0, v[4:5]
	v_not_b32_e32 v4, v5
	v_ashrrev_i32_e32 v4, 31, v4
	v_xor_b32_e32 v5, vcc_hi, v4
	v_xor_b32_e32 v4, vcc_lo, v4
	v_and_b32_e32 v0, v0, v5
	v_and_b32_e32 v20, v20, v4
	v_lshlrev_b32_e32 v5, 28, v56
	v_mov_b32_e32 v4, v1
	v_cmp_gt_i64_e32 vcc, 0, v[4:5]
	v_not_b32_e32 v4, v5
	v_ashrrev_i32_e32 v4, 31, v4
	;; [unrolled: 9-line block ×5, first 2 shown]
	v_xor_b32_e32 v5, vcc_hi, v4
	v_xor_b32_e32 v4, vcc_lo, v4
	v_and_b32_e32 v0, v0, v5
	v_lshlrev_b32_e32 v5, 24, v56
	v_and_b32_e32 v20, v20, v4
	v_mov_b32_e32 v4, v1
	v_not_b32_e32 v1, v5
	v_cmp_gt_i64_e32 vcc, 0, v[4:5]
	v_ashrrev_i32_e32 v1, 31, v1
	s_nop 0
	v_xor_b32_e32 v4, vcc_hi, v1
	v_xor_b32_e32 v5, vcc_lo, v1
	v_and_b32_e32 v1, v0, v4
	v_and_b32_e32 v0, v20, v5
	v_mbcnt_lo_u32_b32 v4, v0, 0
	v_mbcnt_hi_u32_b32 v56, v1, v4
	v_cmp_eq_u32_e32 vcc, 0, v56
	v_cmp_ne_u64_e64 s[0:1], 0, v[0:1]
	s_and_b64 s[4:5], s[0:1], vcc
	; wave barrier
	s_and_saveexec_b64 s[0:1], s[4:5]
	s_cbranch_execz .LBB198_177
; %bb.176:
	v_bcnt_u32_b32 v0, v0, 0
	v_bcnt_u32_b32 v0, v1, v0
	s_waitcnt lgkmcnt(0)
	v_add_u32_e32 v0, v55, v0
	ds_write_b32 v19, v0 offset:16
.LBB198_177:
	s_or_b64 exec, exec, s[0:1]
	; wave barrier
	s_waitcnt lgkmcnt(0)
	s_barrier
	ds_read2_b32 v[4:5], v6 offset0:4 offset1:5
	ds_read2_b32 v[0:1], v6 offset0:6 offset1:7
	ds_read_b32 v20, v6 offset:32
	v_min_u32_e32 v7, 0xc0, v7
	v_or_b32_e32 v7, 63, v7
	s_waitcnt lgkmcnt(1)
	v_add3_u32 v57, v5, v4, v0
	s_waitcnt lgkmcnt(0)
	v_add3_u32 v20, v57, v1, v20
	v_and_b32_e32 v57, 15, v12
	v_cmp_ne_u32_e32 vcc, 0, v57
	v_mov_b32_dpp v58, v20 row_shr:1 row_mask:0xf bank_mask:0xf
	s_nop 0
	v_cndmask_b32_e32 v58, 0, v58, vcc
	v_add_u32_e32 v20, v58, v20
	v_cmp_lt_u32_e32 vcc, 1, v57
	s_nop 0
	v_mov_b32_dpp v58, v20 row_shr:2 row_mask:0xf bank_mask:0xf
	v_cndmask_b32_e32 v58, 0, v58, vcc
	v_add_u32_e32 v20, v20, v58
	v_cmp_lt_u32_e32 vcc, 3, v57
	s_nop 0
	v_mov_b32_dpp v58, v20 row_shr:4 row_mask:0xf bank_mask:0xf
	;; [unrolled: 5-line block ×3, first 2 shown]
	v_cndmask_b32_e32 v57, 0, v58, vcc
	v_add_u32_e32 v20, v20, v57
	v_bfe_i32 v58, v12, 4, 1
	v_cmp_lt_u32_e32 vcc, 31, v12
	v_mov_b32_dpp v57, v20 row_bcast:15 row_mask:0xf bank_mask:0xf
	v_and_b32_e32 v57, v58, v57
	v_add_u32_e32 v20, v20, v57
	s_nop 1
	v_mov_b32_dpp v57, v20 row_bcast:31 row_mask:0xf bank_mask:0xf
	v_cndmask_b32_e32 v57, 0, v57, vcc
	v_add_u32_e32 v20, v20, v57
	v_lshrrev_b32_e32 v57, 6, v2
	v_cmp_eq_u32_e32 vcc, v2, v7
	s_and_saveexec_b64 s[0:1], vcc
; %bb.178:
	v_lshlrev_b32_e32 v7, 2, v57
	ds_write_b32 v7, v20
; %bb.179:
	s_or_b64 exec, exec, s[0:1]
	v_cmp_gt_u32_e32 vcc, 4, v2
	s_waitcnt lgkmcnt(0)
	s_barrier
	s_and_saveexec_b64 s[0:1], vcc
	s_cbranch_execz .LBB198_181
; %bb.180:
	v_lshlrev_b32_e32 v7, 2, v2
	ds_read_b32 v58, v7
	v_and_b32_e32 v59, 3, v12
	v_cmp_ne_u32_e32 vcc, 0, v59
	s_waitcnt lgkmcnt(0)
	v_mov_b32_dpp v60, v58 row_shr:1 row_mask:0xf bank_mask:0xf
	v_cndmask_b32_e32 v60, 0, v60, vcc
	v_add_u32_e32 v58, v60, v58
	v_cmp_lt_u32_e32 vcc, 1, v59
	s_nop 0
	v_mov_b32_dpp v60, v58 row_shr:2 row_mask:0xf bank_mask:0xf
	v_cndmask_b32_e32 v59, 0, v60, vcc
	v_add_u32_e32 v58, v58, v59
	ds_write_b32 v7, v58
.LBB198_181:
	s_or_b64 exec, exec, s[0:1]
	v_cmp_lt_u32_e32 vcc, 63, v2
	v_mov_b32_e32 v7, 0
	s_waitcnt lgkmcnt(0)
	s_barrier
	s_and_saveexec_b64 s[0:1], vcc
; %bb.182:
	v_lshl_add_u32 v7, v57, 2, -4
	ds_read_b32 v7, v7
; %bb.183:
	s_or_b64 exec, exec, s[0:1]
	v_add_u32_e32 v57, -1, v12
	v_and_b32_e32 v58, 64, v12
	v_cmp_lt_i32_e32 vcc, v57, v58
	s_waitcnt lgkmcnt(0)
	v_add_u32_e32 v20, v7, v20
	s_movk_i32 s0, 0x100
	v_cndmask_b32_e32 v57, v57, v12, vcc
	v_lshlrev_b32_e32 v57, 2, v57
	ds_bpermute_b32 v20, v57, v20
	v_cmp_eq_u32_e32 vcc, 0, v12
	s_waitcnt lgkmcnt(0)
	s_nop 0
	v_cndmask_b32_e32 v7, v20, v7, vcc
	v_cmp_ne_u32_e32 vcc, 0, v2
	s_nop 1
	v_cndmask_b32_e32 v7, 0, v7, vcc
	v_add_u32_e32 v4, v7, v4
	v_add_u32_e32 v5, v4, v5
	;; [unrolled: 1-line block ×4, first 2 shown]
	ds_write2_b32 v6, v7, v4 offset0:4 offset1:5
	ds_write2_b32 v6, v5, v0 offset0:6 offset1:7
	ds_write_b32 v6, v1 offset:32
	s_waitcnt lgkmcnt(0)
	s_barrier
	ds_read_b32 v4, v43 offset:16
	ds_read_b32 v5, v46 offset:16
	;; [unrolled: 1-line block ×13, first 2 shown]
	v_add_u32_e32 v6, 1, v2
	v_cmp_ne_u32_e32 vcc, s0, v6
	v_mov_b32_e32 v1, 0xc00
	s_and_saveexec_b64 s[0:1], vcc
; %bb.184:
	v_mul_u32_u24_e32 v1, 20, v6
	ds_read_b32 v1, v1 offset:16
; %bb.185:
	s_or_b64 exec, exec, s[0:1]
	s_waitcnt lgkmcnt(7)
	v_add_u32_e32 v29, v9, v10
	s_waitcnt lgkmcnt(6)
	v_add3_u32 v25, v15, v13, v14
	s_waitcnt lgkmcnt(5)
	v_add3_u32 v24, v22, v17, v18
	v_add3_u32 v17, v44, v42, v4
	v_lshlrev_b32_e32 v4, 1, v29
	s_waitcnt lgkmcnt(0)
	s_barrier
	ds_write_b16 v4, v8 offset:2048
	v_lshlrev_b32_e32 v4, 1, v25
	v_add3_u32 v22, v27, v23, v19
	ds_write_b16 v4, v11 offset:2048
	v_lshlrev_b32_e32 v4, 1, v24
	v_add3_u32 v20, v32, v28, v20
	;; [unrolled: 3-line block ×4, first 2 shown]
	ds_write_b16 v4, v26 offset:2048
	v_lshlrev_b32_e32 v4, 1, v19
	ds_write_b16 v4, v31 offset:2048
	v_lshlrev_b32_e32 v4, 1, v18
	v_add3_u32 v15, v47, v45, v5
	ds_write_b16 v4, v36 offset:2048
	v_lshlrev_b32_e32 v4, 1, v17
	v_add3_u32 v14, v51, v48, v7
	;; [unrolled: 3-line block ×4, first 2 shown]
	ds_write_b16 v4, v30 offset:2048
	v_lshlrev_b32_e32 v4, 1, v13
	ds_write_b16 v4, v50 offset:2048
	v_lshlrev_b32_e32 v4, 1, v5
	ds_write_b16 v4, v53 offset:2048
	v_sub_u32_e32 v4, v1, v0
	v_lshl_add_u32 v6, s2, 8, v2
	v_mov_b32_e32 v7, 0
	v_lshl_add_u64 v[8:9], v[6:7], 2, s[72:73]
	v_or_b32_e32 v1, 2.0, v4
	s_mov_b64 s[0:1], 0
	s_brev_b32 s8, -4
	v_mov_b32_e32 v16, 0
	s_waitcnt lgkmcnt(0)
	s_barrier
	global_store_dword v[8:9], v1, off sc1
                                        ; implicit-def: $sgpr4_sgpr5
	s_branch .LBB198_188
.LBB198_186:                            ;   in Loop: Header=BB198_188 Depth=1
	s_or_b64 exec, exec, s[6:7]
.LBB198_187:                            ;   in Loop: Header=BB198_188 Depth=1
	s_or_b64 exec, exec, s[4:5]
	v_and_b32_e32 v6, 0x3fffffff, v1
	v_add_u32_e32 v16, v6, v16
	v_cmp_gt_i32_e64 s[4:5], -2.0, v1
	s_and_b64 s[6:7], exec, s[4:5]
	s_or_b64 s[0:1], s[6:7], s[0:1]
	s_andn2_b64 exec, exec, s[0:1]
	s_cbranch_execz .LBB198_193
.LBB198_188:                            ; =>This Loop Header: Depth=1
                                        ;     Child Loop BB198_191 Depth 2
	s_or_b64 s[4:5], s[4:5], exec
	s_cmp_eq_u32 s3, 0
	s_cbranch_scc1 .LBB198_192
; %bb.189:                              ;   in Loop: Header=BB198_188 Depth=1
	s_add_i32 s3, s3, -1
	v_lshl_add_u32 v6, s3, 8, v2
	v_lshl_add_u64 v[10:11], v[6:7], 2, s[72:73]
	global_load_dword v1, v[10:11], off sc1
	s_waitcnt vmcnt(0)
	v_cmp_gt_u32_e32 vcc, 2.0, v1
	s_and_saveexec_b64 s[4:5], vcc
	s_cbranch_execz .LBB198_187
; %bb.190:                              ;   in Loop: Header=BB198_188 Depth=1
	s_mov_b64 s[6:7], 0
.LBB198_191:                            ;   Parent Loop BB198_188 Depth=1
                                        ; =>  This Inner Loop Header: Depth=2
	global_load_dword v1, v[10:11], off sc1
	s_waitcnt vmcnt(0)
	v_cmp_lt_u32_e32 vcc, s8, v1
	s_or_b64 s[6:7], vcc, s[6:7]
	s_andn2_b64 exec, exec, s[6:7]
	s_cbranch_execnz .LBB198_191
	s_branch .LBB198_186
.LBB198_192:                            ;   in Loop: Header=BB198_188 Depth=1
                                        ; implicit-def: $sgpr3
	s_and_b64 s[6:7], exec, s[4:5]
	s_or_b64 s[0:1], s[6:7], s[0:1]
	s_andn2_b64 exec, exec, s[0:1]
	s_cbranch_execnz .LBB198_188
.LBB198_193:
	s_or_b64 exec, exec, s[0:1]
	v_add_u32_e32 v1, v16, v4
	v_or_b32_e32 v1, 0x80000000, v1
	v_lshlrev_b32_e32 v6, 3, v2
	global_store_dword v[8:9], v1, off sc1
	global_load_dwordx2 v[8:9], v6, s[64:65]
	v_sub_co_u32_e32 v10, vcc, v16, v0
	v_mad_i32_i24 v16, v2, -6, v6
	s_nop 0
	v_subb_co_u32_e64 v11, s[0:1], 0, 0, vcc
	s_movk_i32 s0, 0x7fff
	v_mov_b32_e32 v7, 0xffff8000
	v_mov_b32_e32 v1, 0
	v_lshlrev_b32_e32 v26, 1, v2
	v_mov_b32_e32 v27, v1
	v_add_u32_e32 v61, 0xa00, v2
	v_add_u32_e32 v62, 0xb00, v2
	s_waitcnt vmcnt(0)
	v_lshl_add_u64 v[8:9], v[10:11], 0, v[8:9]
	ds_write_b64 v6, v[8:9]
	s_waitcnt lgkmcnt(0)
	s_barrier
	ds_read_u16 v8, v16 offset:2048
	ds_read_u16 v9, v16 offset:2560
	ds_read_u16 v10, v16 offset:3072
	ds_read_u16 v11, v16 offset:3584
	ds_read_u16 v21, v16 offset:4096
	ds_read_u16 v23, v16 offset:4608
	ds_read_u16 v28, v16 offset:5120
	ds_read_u16 v38, v16 offset:5632
	s_waitcnt lgkmcnt(7)
	v_cmp_ne_u16_e32 vcc, s0, v8
	s_nop 1
	v_cndmask_b32_e32 v30, v7, v8, vcc
	v_cmp_lt_i16_e32 vcc, -1, v8
	v_lshrrev_b32_sdwa v30, s68, v30 dst_sel:DWORD dst_unused:UNUSED_PAD src0_sel:DWORD src1_sel:WORD_0
	v_and_b32_e32 v30, s11, v30
	v_cndmask_b32_e64 v31, v7, -1, vcc
	s_waitcnt lgkmcnt(6)
	v_cmp_ne_u16_e32 vcc, s0, v9
	v_xor_b32_e32 v43, v31, v8
	v_lshlrev_b32_e32 v50, 3, v30
	v_cndmask_b32_e32 v32, v7, v9, vcc
	v_cmp_lt_i16_e32 vcc, -1, v9
	v_lshrrev_b32_sdwa v8, s68, v32 dst_sel:DWORD dst_unused:UNUSED_PAD src0_sel:DWORD src1_sel:WORD_0
	v_and_b32_e32 v8, s11, v8
	v_cndmask_b32_e64 v33, v7, -1, vcc
	s_waitcnt lgkmcnt(5)
	v_cmp_ne_u16_e32 vcc, s0, v10
	v_xor_b32_e32 v44, v33, v9
	v_lshlrev_b32_e32 v51, 3, v8
	;; [unrolled: 9-line block ×5, first 2 shown]
	v_cndmask_b32_e32 v41, v7, v23, vcc
	v_cmp_lt_i16_e32 vcc, -1, v23
	v_lshrrev_b32_sdwa v31, s68, v41 dst_sel:DWORD dst_unused:UNUSED_PAD src0_sel:DWORD src1_sel:WORD_0
	v_and_b32_e32 v31, s11, v31
	v_cndmask_b32_e64 v42, v7, -1, vcc
	v_xor_b32_e32 v23, v42, v23
	v_lshlrev_b32_e32 v55, 3, v31
	ds_read_b64 v[8:9], v51
	ds_read_b64 v[10:11], v52
	;; [unrolled: 1-line block ×6, first 2 shown]
	ds_read_u16 v39, v16 offset:6144
	ds_read_u16 v40, v16 offset:6656
	;; [unrolled: 1-line block ×4, first 2 shown]
	s_waitcnt lgkmcnt(4)
	v_lshl_add_u64 v[36:37], v[36:37], 1, s[58:59]
	v_lshl_add_u64 v[8:9], v[8:9], 1, s[58:59]
	;; [unrolled: 1-line block ×7, first 2 shown]
	v_cmp_ne_u16_e32 vcc, s0, v28
	v_lshl_add_u64 v[10:11], v[10:11], 0, v[26:27]
	v_lshl_add_u64 v[30:31], v[30:31], 0, v[26:27]
	;; [unrolled: 1-line block ×3, first 2 shown]
	global_store_short v[36:37], v43, off
	global_store_short v[8:9], v44, off offset:512
	global_store_short v[10:11], v45, off offset:1024
	;; [unrolled: 1-line block ×4, first 2 shown]
	v_cndmask_b32_e32 v8, v7, v28, vcc
	v_lshrrev_b32_sdwa v8, s68, v8 dst_sel:DWORD dst_unused:UNUSED_PAD src0_sel:DWORD src1_sel:WORD_0
	v_and_b32_e32 v8, s11, v8
	v_cmp_ne_u16_e32 vcc, s0, v38
	v_lshlrev_b32_e32 v21, 3, v8
	v_lshl_add_u64 v[32:33], v[34:35], 1, s[58:59]
	v_cndmask_b32_e32 v8, v7, v38, vcc
	v_lshrrev_b32_sdwa v8, s68, v8 dst_sel:DWORD dst_unused:UNUSED_PAD src0_sel:DWORD src1_sel:WORD_0
	v_and_b32_e32 v8, s11, v8
	s_waitcnt lgkmcnt(3)
	v_cmp_ne_u16_e32 vcc, s0, v39
	v_lshlrev_b32_e32 v56, 3, v8
	v_lshl_add_u64 v[32:33], v[32:33], 0, v[26:27]
	v_cndmask_b32_e32 v8, v7, v39, vcc
	v_lshrrev_b32_sdwa v8, s68, v8 dst_sel:DWORD dst_unused:UNUSED_PAD src0_sel:DWORD src1_sel:WORD_0
	v_and_b32_e32 v8, s11, v8
	v_lshlrev_b32_e32 v57, 3, v8
	ds_read_b64 v[8:9], v21
	ds_read_b64 v[10:11], v56
	;; [unrolled: 1-line block ×3, first 2 shown]
	v_cmp_lt_i16_e32 vcc, -1, v28
	global_store_short v[32:33], v23, off offset:2560
	s_waitcnt lgkmcnt(2)
	v_lshl_add_u64 v[8:9], v[8:9], 1, s[58:59]
	v_cndmask_b32_e64 v23, v7, -1, vcc
	v_xor_b32_e32 v23, v23, v28
	v_lshl_add_u64 v[8:9], v[8:9], 0, v[26:27]
	v_cmp_lt_i16_e32 vcc, -1, v38
	global_store_short v[8:9], v23, off offset:3072
	v_add_u32_e32 v28, 0x900, v2
	v_cndmask_b32_e64 v8, v7, -1, vcc
	v_xor_b32_e32 v23, v8, v38
	s_waitcnt lgkmcnt(1)
	v_lshl_add_u64 v[8:9], v[10:11], 1, s[58:59]
	v_lshl_add_u64 v[8:9], v[8:9], 0, v[26:27]
	v_cmp_lt_i16_e32 vcc, -1, v39
	global_store_short v[8:9], v23, off offset:3584
	v_or_b32_e32 v23, 0x800, v2
	v_cndmask_b32_e64 v8, v7, -1, vcc
	v_xor_b32_e32 v26, v8, v39
	s_waitcnt lgkmcnt(0)
	v_lshl_add_u64 v[8:9], v[30:31], 1, s[58:59]
	v_lshlrev_b32_e32 v10, 1, v23
	v_mov_b32_e32 v11, v1
	v_lshl_add_u64 v[8:9], v[8:9], 0, v[10:11]
	v_cmp_ne_u16_e32 vcc, s0, v40
	global_store_short v[8:9], v26, off
	v_lshlrev_b32_e32 v30, 1, v28
	v_cndmask_b32_e32 v8, v7, v40, vcc
	v_cmp_lt_i16_e32 vcc, -1, v40
	v_lshrrev_b32_sdwa v8, s68, v8 dst_sel:DWORD dst_unused:UNUSED_PAD src0_sel:DWORD src1_sel:WORD_0
	v_and_b32_e32 v8, s11, v8
	v_cndmask_b32_e64 v9, v7, -1, vcc
	v_cmp_ne_u16_e32 vcc, s0, v41
	v_lshlrev_b32_e32 v58, 3, v8
	v_xor_b32_e32 v32, v9, v40
	v_cndmask_b32_e32 v10, v7, v41, vcc
	v_lshrrev_b32_sdwa v10, s68, v10 dst_sel:DWORD dst_unused:UNUSED_PAD src0_sel:DWORD src1_sel:WORD_0
	ds_read_b64 v[8:9], v58
	v_and_b32_e32 v10, s11, v10
	v_cmp_ne_u16_e32 vcc, s0, v42
	v_lshlrev_b32_e32 v59, 3, v10
	v_mov_b32_e32 v31, v1
	v_cndmask_b32_e32 v10, v7, v42, vcc
	v_lshrrev_b32_sdwa v10, s68, v10 dst_sel:DWORD dst_unused:UNUSED_PAD src0_sel:DWORD src1_sel:WORD_0
	v_and_b32_e32 v10, s11, v10
	v_lshlrev_b32_e32 v60, 3, v10
	ds_read_b64 v[10:11], v59
	ds_read_b64 v[26:27], v60
	s_waitcnt lgkmcnt(2)
	v_lshl_add_u64 v[8:9], v[8:9], 1, s[58:59]
	v_lshl_add_u64 v[8:9], v[8:9], 0, v[30:31]
	v_cmp_lt_i16_e32 vcc, -1, v41
	global_store_short v[8:9], v32, off
	s_lshl_b64 s[0:1], s[54:55], 3
	v_cndmask_b32_e64 v8, v7, -1, vcc
	v_xor_b32_e32 v30, v8, v41
	s_waitcnt lgkmcnt(1)
	v_lshl_add_u64 v[8:9], v[10:11], 1, s[58:59]
	v_lshlrev_b32_e32 v10, 1, v61
	v_mov_b32_e32 v11, v1
	v_lshl_add_u64 v[8:9], v[8:9], 0, v[10:11]
	v_cmp_lt_i16_e32 vcc, -1, v42
	global_store_short v[8:9], v30, off
	s_waitcnt lgkmcnt(0)
	v_lshl_add_u64 v[8:9], v[26:27], 1, s[58:59]
	v_cndmask_b32_e64 v7, v7, -1, vcc
	v_lshlrev_b32_e32 v10, 1, v62
	v_xor_b32_e32 v7, v7, v42
	v_lshl_add_u64 v[8:9], v[8:9], 0, v[10:11]
	s_add_u32 s0, s60, s0
	global_store_short v[8:9], v7, off
	s_addc_u32 s1, s61, s1
	v_lshlrev_b32_e32 v8, 3, v12
	v_mov_b32_e32 v9, v1
	v_lshl_add_u64 v[8:9], s[0:1], 0, v[8:9]
	v_lshlrev_b32_e32 v10, 3, v3
	v_lshl_add_u64 v[8:9], v[8:9], 0, v[10:11]
	global_load_dwordx2 v[10:11], v[8:9], off
	global_load_dwordx2 v[26:27], v[8:9], off offset:512
	global_load_dwordx2 v[30:31], v[8:9], off offset:1024
	;; [unrolled: 1-line block ×7, first 2 shown]
	s_movk_i32 s0, 0x1000
	v_add_co_u32_e32 v8, vcc, s0, v8
	v_lshlrev_b32_e32 v3, 3, v29
	s_nop 0
	v_addc_co_u32_e32 v9, vcc, 0, v9, vcc
	global_load_dwordx2 v[42:43], v[8:9], off
	global_load_dwordx2 v[44:45], v[8:9], off offset:512
	global_load_dwordx2 v[46:47], v[8:9], off offset:1024
	;; [unrolled: 1-line block ×3, first 2 shown]
	s_barrier
	v_mov_b32_e32 v7, v1
	s_add_i32 s10, s10, -1
	s_cmp_lg_u32 s2, s10
	s_waitcnt vmcnt(11)
	ds_write_b64 v3, v[10:11] offset:2048
	v_lshlrev_b32_e32 v3, 3, v25
	s_waitcnt vmcnt(10)
	ds_write_b64 v3, v[26:27] offset:2048
	v_lshlrev_b32_e32 v3, 3, v24
	;; [unrolled: 3-line block ×11, first 2 shown]
	s_waitcnt vmcnt(0)
	ds_write_b64 v3, v[48:49] offset:2048
	s_waitcnt lgkmcnt(0)
	s_barrier
	v_mad_u32_u24 v5, v2, 6, v16
	ds_read_b64 v[2:3], v50
	ds_read2st64_b64 v[8:11], v5 offset0:4 offset1:8
	ds_read_b64 v[12:13], v51
	ds_read_b64 v[14:15], v52
	;; [unrolled: 1-line block ×3, first 2 shown]
	s_waitcnt lgkmcnt(4)
	v_lshl_add_u64 v[2:3], v[2:3], 3, s[62:63]
	v_lshl_add_u64 v[2:3], v[2:3], 0, v[6:7]
	s_waitcnt lgkmcnt(3)
	global_store_dwordx2 v[2:3], v[8:9], off
	s_waitcnt lgkmcnt(2)
	v_lshl_add_u64 v[2:3], v[12:13], 3, s[62:63]
	v_lshl_add_u64 v[2:3], v[2:3], 0, v[6:7]
	global_store_dwordx2 v[2:3], v[10:11], off offset:2048
	ds_read2st64_b64 v[8:11], v5 offset0:12 offset1:16
	s_waitcnt lgkmcnt(2)
	v_lshl_add_u64 v[2:3], v[14:15], 3, s[62:63]
	v_add_u32_e32 v12, 0x1000, v6
	v_mov_b32_e32 v13, v1
	v_lshl_add_u64 v[2:3], v[2:3], 0, v[12:13]
	s_waitcnt lgkmcnt(0)
	global_store_dwordx2 v[2:3], v[8:9], off
	v_lshl_add_u64 v[2:3], v[16:17], 3, s[62:63]
	v_add_u32_e32 v8, 0x1800, v6
	v_mov_b32_e32 v9, v1
	v_lshl_add_u64 v[2:3], v[2:3], 0, v[8:9]
	global_store_dwordx2 v[2:3], v[10:11], off
	ds_read_b64 v[2:3], v54
	ds_read2st64_b64 v[8:11], v5 offset0:20 offset1:24
	ds_read_b64 v[12:13], v55
	ds_read_b64 v[14:15], v21
	;; [unrolled: 1-line block ×3, first 2 shown]
	s_waitcnt lgkmcnt(4)
	v_lshl_add_u64 v[2:3], v[2:3], 3, s[62:63]
	v_or_b32_e32 v18, 0x2000, v6
	v_mov_b32_e32 v19, v1
	v_lshl_add_u64 v[2:3], v[2:3], 0, v[18:19]
	s_waitcnt lgkmcnt(3)
	global_store_dwordx2 v[2:3], v[8:9], off
	s_waitcnt lgkmcnt(2)
	v_lshl_add_u64 v[2:3], v[12:13], 3, s[62:63]
	v_add_u32_e32 v8, 0x2800, v6
	v_mov_b32_e32 v9, v1
	v_lshl_add_u64 v[2:3], v[2:3], 0, v[8:9]
	global_store_dwordx2 v[2:3], v[10:11], off
	ds_read2st64_b64 v[8:11], v5 offset0:28 offset1:32
	s_waitcnt lgkmcnt(2)
	v_lshl_add_u64 v[2:3], v[14:15], 3, s[62:63]
	v_add_u32_e32 v12, 0x3000, v6
	v_mov_b32_e32 v13, v1
	v_lshl_add_u64 v[2:3], v[2:3], 0, v[12:13]
	s_waitcnt lgkmcnt(0)
	global_store_dwordx2 v[2:3], v[8:9], off
	v_lshl_add_u64 v[2:3], v[16:17], 3, s[62:63]
	v_add_u32_e32 v8, 0x3800, v6
	v_mov_b32_e32 v9, v1
	v_lshl_add_u64 v[2:3], v[2:3], 0, v[8:9]
	global_store_dwordx2 v[2:3], v[10:11], off
	ds_read_b64 v[2:3], v57
	ds_read2st64_b64 v[8:11], v5 offset0:36 offset1:40
	ds_read_b64 v[12:13], v58
	ds_read_b64 v[14:15], v59
	ds_read_b64 v[16:17], v60
	s_waitcnt lgkmcnt(4)
	v_lshl_add_u64 v[2:3], v[2:3], 3, s[62:63]
	v_lshlrev_b32_e32 v18, 3, v23
	v_lshl_add_u64 v[2:3], v[2:3], 0, v[18:19]
	s_waitcnt lgkmcnt(3)
	global_store_dwordx2 v[2:3], v[8:9], off
	s_waitcnt lgkmcnt(2)
	v_lshl_add_u64 v[2:3], v[12:13], 3, s[62:63]
	v_lshlrev_b32_e32 v8, 3, v28
	v_mov_b32_e32 v9, v1
	v_lshl_add_u64 v[2:3], v[2:3], 0, v[8:9]
	global_store_dwordx2 v[2:3], v[10:11], off
	ds_read2st64_b64 v[8:11], v5 offset0:44 offset1:48
	s_waitcnt lgkmcnt(2)
	v_lshl_add_u64 v[2:3], v[14:15], 3, s[62:63]
	v_lshlrev_b32_e32 v12, 3, v61
	v_mov_b32_e32 v13, v1
	v_lshl_add_u64 v[2:3], v[2:3], 0, v[12:13]
	s_waitcnt lgkmcnt(0)
	global_store_dwordx2 v[2:3], v[8:9], off
	v_lshl_add_u64 v[2:3], v[16:17], 3, s[62:63]
	v_lshlrev_b32_e32 v8, 3, v62
	v_mov_b32_e32 v9, v1
	v_lshl_add_u64 v[2:3], v[2:3], 0, v[8:9]
	global_store_dwordx2 v[2:3], v[10:11], off
	s_cbranch_scc1 .LBB198_195
; %bb.194:
	ds_read_b64 v[2:3], v6
	v_mov_b32_e32 v5, v1
	v_lshl_add_u64 v[0:1], v[4:5], 0, v[0:1]
	s_waitcnt lgkmcnt(0)
	v_lshl_add_u64 v[0:1], v[0:1], 0, v[2:3]
	global_store_dwordx2 v6, v[0:1], s[66:67]
.LBB198_195:
	s_endpgm
.LBB198_196:
	s_or_b64 exec, exec, s[4:5]
	s_and_saveexec_b64 s[4:5], s[26:27]
	s_cbranch_execz .LBB198_139
.LBB198_197:
	v_lshlrev_b32_e32 v2, 3, v3
	ds_read_b64 v[2:3], v2
	ds_read_b64 v[16:17], v8 offset:4096
	v_mov_b32_e32 v9, 0
	s_waitcnt lgkmcnt(1)
	v_lshl_add_u64 v[2:3], v[2:3], 3, s[62:63]
	v_lshl_add_u64 v[2:3], v[2:3], 0, v[8:9]
	s_waitcnt lgkmcnt(0)
	global_store_dwordx2 v[2:3], v[16:17], off offset:2048
	s_or_b64 exec, exec, s[4:5]
	s_and_saveexec_b64 s[4:5], s[28:29]
	s_cbranch_execnz .LBB198_140
.LBB198_198:
	s_or_b64 exec, exec, s[4:5]
	s_and_saveexec_b64 s[4:5], s[30:31]
	s_cbranch_execz .LBB198_141
.LBB198_199:
	v_lshlrev_b32_e32 v2, 3, v10
	ds_read_b64 v[2:3], v2
	ds_read_b64 v[16:17], v8 offset:8192
	v_lshlrev_b32_e32 v12, 3, v13
	v_mov_b32_e32 v13, 0
	s_waitcnt lgkmcnt(1)
	v_lshl_add_u64 v[2:3], v[2:3], 3, s[62:63]
	v_lshl_add_u64 v[2:3], v[2:3], 0, v[12:13]
	s_waitcnt lgkmcnt(0)
	global_store_dwordx2 v[2:3], v[16:17], off
	s_or_b64 exec, exec, s[4:5]
	s_and_saveexec_b64 s[4:5], s[34:35]
	s_cbranch_execnz .LBB198_142
.LBB198_200:
	s_or_b64 exec, exec, s[4:5]
	s_and_saveexec_b64 s[4:5], s[36:37]
	s_cbranch_execz .LBB198_143
.LBB198_201:
	v_lshlrev_b32_e32 v2, 3, v11
	ds_read_b64 v[2:3], v2
	ds_read_b64 v[10:11], v8 offset:12288
	v_lshlrev_b32_e32 v12, 3, v23
	v_mov_b32_e32 v13, 0
	s_waitcnt lgkmcnt(1)
	v_lshl_add_u64 v[2:3], v[2:3], 3, s[62:63]
	v_lshl_add_u64 v[2:3], v[2:3], 0, v[12:13]
	s_waitcnt lgkmcnt(0)
	global_store_dwordx2 v[2:3], v[10:11], off
	s_or_b64 exec, exec, s[4:5]
	s_and_saveexec_b64 s[4:5], s[38:39]
	s_cbranch_execnz .LBB198_144
.LBB198_202:
	s_or_b64 exec, exec, s[4:5]
	s_and_saveexec_b64 s[4:5], s[40:41]
	s_cbranch_execz .LBB198_145
.LBB198_203:
	v_lshlrev_b32_e32 v2, 3, v14
	ds_read_b64 v[2:3], v2
	ds_read_b64 v[10:11], v8 offset:16384
	v_lshlrev_b32_e32 v12, 3, v29
	v_mov_b32_e32 v13, 0
	s_waitcnt lgkmcnt(1)
	v_lshl_add_u64 v[2:3], v[2:3], 3, s[62:63]
	v_lshl_add_u64 v[2:3], v[2:3], 0, v[12:13]
	s_waitcnt lgkmcnt(0)
	global_store_dwordx2 v[2:3], v[10:11], off
	s_or_b64 exec, exec, s[4:5]
	s_and_saveexec_b64 s[4:5], s[42:43]
	s_cbranch_execnz .LBB198_146
.LBB198_204:
	s_or_b64 exec, exec, s[4:5]
	s_and_saveexec_b64 s[4:5], s[44:45]
	s_cbranch_execz .LBB198_147
.LBB198_205:
	v_lshlrev_b32_e32 v2, 3, v34
	ds_read_b64 v[2:3], v2
	ds_read_b64 v[10:11], v8 offset:20480
	v_lshlrev_b32_e32 v12, 3, v31
	v_mov_b32_e32 v13, 0
	s_waitcnt lgkmcnt(1)
	v_lshl_add_u64 v[2:3], v[2:3], 3, s[62:63]
	v_lshl_add_u64 v[2:3], v[2:3], 0, v[12:13]
	s_waitcnt lgkmcnt(0)
	global_store_dwordx2 v[2:3], v[10:11], off
	s_or_b64 exec, exec, s[4:5]
	s_and_saveexec_b64 s[4:5], s[46:47]
	s_cbranch_execnz .LBB198_148
.LBB198_206:
	s_or_b64 exec, exec, s[4:5]
	s_and_saveexec_b64 s[4:5], s[48:49]
	s_cbranch_execz .LBB198_149
.LBB198_207:
	v_lshlrev_b32_e32 v2, 3, v35
	ds_read_b64 v[2:3], v2
	ds_read_b64 v[10:11], v8 offset:24576
	v_lshlrev_b32_e32 v12, 3, v33
	v_mov_b32_e32 v13, 0
	s_waitcnt lgkmcnt(1)
	v_lshl_add_u64 v[2:3], v[2:3], 3, s[62:63]
	v_lshl_add_u64 v[2:3], v[2:3], 0, v[12:13]
	s_waitcnt lgkmcnt(0)
	global_store_dwordx2 v[2:3], v[10:11], off
	s_or_b64 exec, exec, s[4:5]
	s_add_i32 s33, s33, -1
	s_cmp_eq_u32 s2, s33
	s_cbranch_scc1 .LBB198_150
	s_branch .LBB198_151
	.section	.rodata,"a",@progbits
	.p2align	6, 0x0
	.amdhsa_kernel _ZN7rocprim17ROCPRIM_304000_NS6detail25onesweep_iteration_kernelINS1_34wrapped_radix_sort_onesweep_configINS0_14default_configE6__halfN2at4cuda3cub6detail10OpaqueTypeILi8EEEEELb0EPKS5_PS5_PKSB_PSB_mNS0_19identity_decomposerEEEvT1_T2_T3_T4_jPT5_SP_PNS1_23onesweep_lookback_stateET6_jjj
		.amdhsa_group_segment_fixed_size 26624
		.amdhsa_private_segment_fixed_size 0
		.amdhsa_kernarg_size 336
		.amdhsa_user_sgpr_count 2
		.amdhsa_user_sgpr_dispatch_ptr 0
		.amdhsa_user_sgpr_queue_ptr 0
		.amdhsa_user_sgpr_kernarg_segment_ptr 1
		.amdhsa_user_sgpr_dispatch_id 0
		.amdhsa_user_sgpr_kernarg_preload_length 0
		.amdhsa_user_sgpr_kernarg_preload_offset 0
		.amdhsa_user_sgpr_private_segment_size 0
		.amdhsa_uses_dynamic_stack 0
		.amdhsa_enable_private_segment 0
		.amdhsa_system_sgpr_workgroup_id_x 1
		.amdhsa_system_sgpr_workgroup_id_y 0
		.amdhsa_system_sgpr_workgroup_id_z 0
		.amdhsa_system_sgpr_workgroup_info 0
		.amdhsa_system_vgpr_workitem_id 2
		.amdhsa_next_free_vgpr 73
		.amdhsa_next_free_sgpr 91
		.amdhsa_accum_offset 68
		.amdhsa_reserve_vcc 1
		.amdhsa_float_round_mode_32 0
		.amdhsa_float_round_mode_16_64 0
		.amdhsa_float_denorm_mode_32 3
		.amdhsa_float_denorm_mode_16_64 3
		.amdhsa_dx10_clamp 1
		.amdhsa_ieee_mode 1
		.amdhsa_fp16_overflow 0
		.amdhsa_tg_split 0
		.amdhsa_exception_fp_ieee_invalid_op 0
		.amdhsa_exception_fp_denorm_src 0
		.amdhsa_exception_fp_ieee_div_zero 0
		.amdhsa_exception_fp_ieee_overflow 0
		.amdhsa_exception_fp_ieee_underflow 0
		.amdhsa_exception_fp_ieee_inexact 0
		.amdhsa_exception_int_div_zero 0
	.end_amdhsa_kernel
	.section	.text._ZN7rocprim17ROCPRIM_304000_NS6detail25onesweep_iteration_kernelINS1_34wrapped_radix_sort_onesweep_configINS0_14default_configE6__halfN2at4cuda3cub6detail10OpaqueTypeILi8EEEEELb0EPKS5_PS5_PKSB_PSB_mNS0_19identity_decomposerEEEvT1_T2_T3_T4_jPT5_SP_PNS1_23onesweep_lookback_stateET6_jjj,"axG",@progbits,_ZN7rocprim17ROCPRIM_304000_NS6detail25onesweep_iteration_kernelINS1_34wrapped_radix_sort_onesweep_configINS0_14default_configE6__halfN2at4cuda3cub6detail10OpaqueTypeILi8EEEEELb0EPKS5_PS5_PKSB_PSB_mNS0_19identity_decomposerEEEvT1_T2_T3_T4_jPT5_SP_PNS1_23onesweep_lookback_stateET6_jjj,comdat
.Lfunc_end198:
	.size	_ZN7rocprim17ROCPRIM_304000_NS6detail25onesweep_iteration_kernelINS1_34wrapped_radix_sort_onesweep_configINS0_14default_configE6__halfN2at4cuda3cub6detail10OpaqueTypeILi8EEEEELb0EPKS5_PS5_PKSB_PSB_mNS0_19identity_decomposerEEEvT1_T2_T3_T4_jPT5_SP_PNS1_23onesweep_lookback_stateET6_jjj, .Lfunc_end198-_ZN7rocprim17ROCPRIM_304000_NS6detail25onesweep_iteration_kernelINS1_34wrapped_radix_sort_onesweep_configINS0_14default_configE6__halfN2at4cuda3cub6detail10OpaqueTypeILi8EEEEELb0EPKS5_PS5_PKSB_PSB_mNS0_19identity_decomposerEEEvT1_T2_T3_T4_jPT5_SP_PNS1_23onesweep_lookback_stateET6_jjj
                                        ; -- End function
	.set _ZN7rocprim17ROCPRIM_304000_NS6detail25onesweep_iteration_kernelINS1_34wrapped_radix_sort_onesweep_configINS0_14default_configE6__halfN2at4cuda3cub6detail10OpaqueTypeILi8EEEEELb0EPKS5_PS5_PKSB_PSB_mNS0_19identity_decomposerEEEvT1_T2_T3_T4_jPT5_SP_PNS1_23onesweep_lookback_stateET6_jjj.num_vgpr, 66
	.set _ZN7rocprim17ROCPRIM_304000_NS6detail25onesweep_iteration_kernelINS1_34wrapped_radix_sort_onesweep_configINS0_14default_configE6__halfN2at4cuda3cub6detail10OpaqueTypeILi8EEEEELb0EPKS5_PS5_PKSB_PSB_mNS0_19identity_decomposerEEEvT1_T2_T3_T4_jPT5_SP_PNS1_23onesweep_lookback_stateET6_jjj.num_agpr, 0
	.set _ZN7rocprim17ROCPRIM_304000_NS6detail25onesweep_iteration_kernelINS1_34wrapped_radix_sort_onesweep_configINS0_14default_configE6__halfN2at4cuda3cub6detail10OpaqueTypeILi8EEEEELb0EPKS5_PS5_PKSB_PSB_mNS0_19identity_decomposerEEEvT1_T2_T3_T4_jPT5_SP_PNS1_23onesweep_lookback_stateET6_jjj.numbered_sgpr, 75
	.set _ZN7rocprim17ROCPRIM_304000_NS6detail25onesweep_iteration_kernelINS1_34wrapped_radix_sort_onesweep_configINS0_14default_configE6__halfN2at4cuda3cub6detail10OpaqueTypeILi8EEEEELb0EPKS5_PS5_PKSB_PSB_mNS0_19identity_decomposerEEEvT1_T2_T3_T4_jPT5_SP_PNS1_23onesweep_lookback_stateET6_jjj.num_named_barrier, 0
	.set _ZN7rocprim17ROCPRIM_304000_NS6detail25onesweep_iteration_kernelINS1_34wrapped_radix_sort_onesweep_configINS0_14default_configE6__halfN2at4cuda3cub6detail10OpaqueTypeILi8EEEEELb0EPKS5_PS5_PKSB_PSB_mNS0_19identity_decomposerEEEvT1_T2_T3_T4_jPT5_SP_PNS1_23onesweep_lookback_stateET6_jjj.private_seg_size, 0
	.set _ZN7rocprim17ROCPRIM_304000_NS6detail25onesweep_iteration_kernelINS1_34wrapped_radix_sort_onesweep_configINS0_14default_configE6__halfN2at4cuda3cub6detail10OpaqueTypeILi8EEEEELb0EPKS5_PS5_PKSB_PSB_mNS0_19identity_decomposerEEEvT1_T2_T3_T4_jPT5_SP_PNS1_23onesweep_lookback_stateET6_jjj.uses_vcc, 1
	.set _ZN7rocprim17ROCPRIM_304000_NS6detail25onesweep_iteration_kernelINS1_34wrapped_radix_sort_onesweep_configINS0_14default_configE6__halfN2at4cuda3cub6detail10OpaqueTypeILi8EEEEELb0EPKS5_PS5_PKSB_PSB_mNS0_19identity_decomposerEEEvT1_T2_T3_T4_jPT5_SP_PNS1_23onesweep_lookback_stateET6_jjj.uses_flat_scratch, 0
	.set _ZN7rocprim17ROCPRIM_304000_NS6detail25onesweep_iteration_kernelINS1_34wrapped_radix_sort_onesweep_configINS0_14default_configE6__halfN2at4cuda3cub6detail10OpaqueTypeILi8EEEEELb0EPKS5_PS5_PKSB_PSB_mNS0_19identity_decomposerEEEvT1_T2_T3_T4_jPT5_SP_PNS1_23onesweep_lookback_stateET6_jjj.has_dyn_sized_stack, 0
	.set _ZN7rocprim17ROCPRIM_304000_NS6detail25onesweep_iteration_kernelINS1_34wrapped_radix_sort_onesweep_configINS0_14default_configE6__halfN2at4cuda3cub6detail10OpaqueTypeILi8EEEEELb0EPKS5_PS5_PKSB_PSB_mNS0_19identity_decomposerEEEvT1_T2_T3_T4_jPT5_SP_PNS1_23onesweep_lookback_stateET6_jjj.has_recursion, 0
	.set _ZN7rocprim17ROCPRIM_304000_NS6detail25onesweep_iteration_kernelINS1_34wrapped_radix_sort_onesweep_configINS0_14default_configE6__halfN2at4cuda3cub6detail10OpaqueTypeILi8EEEEELb0EPKS5_PS5_PKSB_PSB_mNS0_19identity_decomposerEEEvT1_T2_T3_T4_jPT5_SP_PNS1_23onesweep_lookback_stateET6_jjj.has_indirect_call, 0
	.section	.AMDGPU.csdata,"",@progbits
; Kernel info:
; codeLenInByte = 20996
; TotalNumSgprs: 81
; NumVgprs: 66
; NumAgprs: 0
; TotalNumVgprs: 66
; ScratchSize: 0
; MemoryBound: 0
; FloatMode: 240
; IeeeMode: 1
; LDSByteSize: 26624 bytes/workgroup (compile time only)
; SGPRBlocks: 12
; VGPRBlocks: 9
; NumSGPRsForWavesPerEU: 97
; NumVGPRsForWavesPerEU: 73
; AccumOffset: 68
; Occupancy: 6
; WaveLimiterHint : 1
; COMPUTE_PGM_RSRC2:SCRATCH_EN: 0
; COMPUTE_PGM_RSRC2:USER_SGPR: 2
; COMPUTE_PGM_RSRC2:TRAP_HANDLER: 0
; COMPUTE_PGM_RSRC2:TGID_X_EN: 1
; COMPUTE_PGM_RSRC2:TGID_Y_EN: 0
; COMPUTE_PGM_RSRC2:TGID_Z_EN: 0
; COMPUTE_PGM_RSRC2:TIDIG_COMP_CNT: 2
; COMPUTE_PGM_RSRC3_GFX90A:ACCUM_OFFSET: 16
; COMPUTE_PGM_RSRC3_GFX90A:TG_SPLIT: 0
	.section	.text._ZN7rocprim17ROCPRIM_304000_NS6detail25onesweep_iteration_kernelINS1_34wrapped_radix_sort_onesweep_configINS0_14default_configE6__halfN2at4cuda3cub6detail10OpaqueTypeILi8EEEEELb0EPS5_SD_PSB_SE_mNS0_19identity_decomposerEEEvT1_T2_T3_T4_jPT5_SL_PNS1_23onesweep_lookback_stateET6_jjj,"axG",@progbits,_ZN7rocprim17ROCPRIM_304000_NS6detail25onesweep_iteration_kernelINS1_34wrapped_radix_sort_onesweep_configINS0_14default_configE6__halfN2at4cuda3cub6detail10OpaqueTypeILi8EEEEELb0EPS5_SD_PSB_SE_mNS0_19identity_decomposerEEEvT1_T2_T3_T4_jPT5_SL_PNS1_23onesweep_lookback_stateET6_jjj,comdat
	.protected	_ZN7rocprim17ROCPRIM_304000_NS6detail25onesweep_iteration_kernelINS1_34wrapped_radix_sort_onesweep_configINS0_14default_configE6__halfN2at4cuda3cub6detail10OpaqueTypeILi8EEEEELb0EPS5_SD_PSB_SE_mNS0_19identity_decomposerEEEvT1_T2_T3_T4_jPT5_SL_PNS1_23onesweep_lookback_stateET6_jjj ; -- Begin function _ZN7rocprim17ROCPRIM_304000_NS6detail25onesweep_iteration_kernelINS1_34wrapped_radix_sort_onesweep_configINS0_14default_configE6__halfN2at4cuda3cub6detail10OpaqueTypeILi8EEEEELb0EPS5_SD_PSB_SE_mNS0_19identity_decomposerEEEvT1_T2_T3_T4_jPT5_SL_PNS1_23onesweep_lookback_stateET6_jjj
	.globl	_ZN7rocprim17ROCPRIM_304000_NS6detail25onesweep_iteration_kernelINS1_34wrapped_radix_sort_onesweep_configINS0_14default_configE6__halfN2at4cuda3cub6detail10OpaqueTypeILi8EEEEELb0EPS5_SD_PSB_SE_mNS0_19identity_decomposerEEEvT1_T2_T3_T4_jPT5_SL_PNS1_23onesweep_lookback_stateET6_jjj
	.p2align	8
	.type	_ZN7rocprim17ROCPRIM_304000_NS6detail25onesweep_iteration_kernelINS1_34wrapped_radix_sort_onesweep_configINS0_14default_configE6__halfN2at4cuda3cub6detail10OpaqueTypeILi8EEEEELb0EPS5_SD_PSB_SE_mNS0_19identity_decomposerEEEvT1_T2_T3_T4_jPT5_SL_PNS1_23onesweep_lookback_stateET6_jjj,@function
_ZN7rocprim17ROCPRIM_304000_NS6detail25onesweep_iteration_kernelINS1_34wrapped_radix_sort_onesweep_configINS0_14default_configE6__halfN2at4cuda3cub6detail10OpaqueTypeILi8EEEEELb0EPS5_SD_PSB_SE_mNS0_19identity_decomposerEEEvT1_T2_T3_T4_jPT5_SL_PNS1_23onesweep_lookback_stateET6_jjj: ; @_ZN7rocprim17ROCPRIM_304000_NS6detail25onesweep_iteration_kernelINS1_34wrapped_radix_sort_onesweep_configINS0_14default_configE6__halfN2at4cuda3cub6detail10OpaqueTypeILi8EEEEELb0EPS5_SD_PSB_SE_mNS0_19identity_decomposerEEEvT1_T2_T3_T4_jPT5_SL_PNS1_23onesweep_lookback_stateET6_jjj
; %bb.0:
	s_load_dwordx8 s[56:63], s[0:1], 0x0
	s_load_dwordx4 s[68:71], s[0:1], 0x44
	s_load_dwordx4 s[64:67], s[0:1], 0x28
	s_load_dwordx2 s[72:73], s[0:1], 0x38
	s_mov_b32 s3, s2
	s_mov_b64 s[4:5], -1
	s_waitcnt lgkmcnt(0)
	s_cmp_ge_u32 s2, s70
	s_mul_i32 s54, s2, 0xc00
	v_mbcnt_lo_u32_b32 v1, -1, 0
	s_cbranch_scc0 .LBB199_152
; %bb.1:
	s_load_dword s6, s[0:1], 0x20
	s_mulk_i32 s70, 0xf400
	s_mov_b32 s55, 0
	s_lshl_b64 s[4:5], s[54:55], 1
	v_mbcnt_hi_u32_b32 v3, -1, v1
	s_waitcnt lgkmcnt(0)
	s_add_i32 s70, s70, s6
	s_add_u32 s4, s56, s4
	v_and_b32_e32 v8, 0xc0, v0
	s_addc_u32 s5, s57, s5
	v_mul_u32_u24_e32 v14, 12, v8
	v_mov_b32_e32 v5, 0
	v_lshlrev_b32_e32 v4, 1, v3
	v_lshl_add_u64 v[6:7], s[4:5], 0, v[4:5]
	v_lshlrev_b32_e32 v4, 1, v14
	v_lshl_add_u64 v[4:5], v[6:7], 0, v[4:5]
	v_or_b32_e32 v7, v3, v14
	v_cmp_gt_u32_e32 vcc, s70, v7
	v_mov_b32_e32 v11, 0x7fff
	v_mov_b32_e32 v6, 0x7fff
	s_and_saveexec_b64 s[4:5], vcc
	s_cbranch_execz .LBB199_3
; %bb.2:
	global_load_ushort v6, v[4:5], off
.LBB199_3:
	s_or_b64 exec, exec, s[4:5]
	v_add_u32_e32 v2, 64, v7
	v_cmp_gt_u32_e64 s[50:51], s70, v2
	s_and_saveexec_b64 s[4:5], s[50:51]
	s_cbranch_execz .LBB199_5
; %bb.4:
	global_load_ushort v11, v[4:5], off offset:128
.LBB199_5:
	s_or_b64 exec, exec, s[4:5]
	v_add_u32_e32 v2, 0x80, v7
	v_cmp_gt_u32_e64 s[4:5], s70, v2
	v_mov_b32_e32 v23, 0x7fff
	v_mov_b32_e32 v19, 0x7fff
	s_and_saveexec_b64 s[6:7], s[4:5]
	s_cbranch_execz .LBB199_7
; %bb.6:
	global_load_ushort v19, v[4:5], off offset:256
.LBB199_7:
	s_or_b64 exec, exec, s[6:7]
	v_add_u32_e32 v2, 0xc0, v7
	v_cmp_gt_u32_e64 s[6:7], s70, v2
	s_and_saveexec_b64 s[8:9], s[6:7]
	s_cbranch_execz .LBB199_9
; %bb.8:
	global_load_ushort v23, v[4:5], off offset:384
.LBB199_9:
	s_or_b64 exec, exec, s[8:9]
	v_add_u32_e32 v2, 0x100, v7
	v_cmp_gt_u32_e64 s[8:9], s70, v2
	v_mov_b32_e32 v35, 0x7fff
	v_mov_b32_e32 v29, 0x7fff
	s_and_saveexec_b64 s[10:11], s[8:9]
	s_cbranch_execz .LBB199_11
; %bb.10:
	global_load_ushort v29, v[4:5], off offset:512
.LBB199_11:
	;; [unrolled: 18-line block ×5, first 2 shown]
	s_or_b64 exec, exec, s[10:11]
	v_add_u32_e32 v7, 0x2c0, v7
	v_and_b32_e32 v2, 0x3ff, v0
	v_cmp_gt_u32_e64 s[10:11], s70, v7
	s_and_saveexec_b64 s[24:25], s[10:11]
	s_cbranch_execz .LBB199_25
; %bb.24:
	global_load_ushort v16, v[4:5], off offset:1408
.LBB199_25:
	s_or_b64 exec, exec, s[24:25]
	s_load_dword s24, s[0:1], 0x5c
	s_load_dword s33, s[0:1], 0x50
	s_add_u32 s25, s0, 0x50
	s_addc_u32 s26, s1, 0
	v_mov_b32_e32 v5, 0
	s_waitcnt lgkmcnt(0)
	s_lshr_b32 s27, s24, 16
	s_cmp_lt_u32 s2, s33
	s_cselect_b32 s24, 12, 18
	s_add_u32 s24, s25, s24
	s_addc_u32 s25, s26, 0
	global_load_ushort v17, v5, s[24:25]
	v_mov_b32_e32 v15, 0xffff8000
	s_waitcnt vmcnt(1)
	v_cmp_lt_i16_e64 s[24:25], -1, v6
	s_movk_i32 s40, 0x7fff
	v_bfe_u32 v4, v0, 10, 10
	v_cndmask_b32_e64 v10, -1, v15, s[24:25]
	v_xor_b32_e32 v10, v10, v6
	v_cmp_ne_u16_e64 s[24:25], s40, v10
	v_bfe_u32 v7, v0, 20, 10
	v_mad_u32_u24 v18, v7, s27, v4
	v_cndmask_b32_e64 v6, v15, v10, s[24:25]
	v_lshrrev_b32_sdwa v6, s68, v6 dst_sel:DWORD dst_unused:UNUSED_PAD src0_sel:DWORD src1_sel:WORD_0
	s_lshl_b32 s24, -1, s69
	v_bitop3_b32 v20, v6, s24, v6 bitop3:0x30
	v_and_b32_e32 v4, 1, v20
	v_lshlrev_b32_e32 v13, 30, v20
	v_mov_b32_e32 v12, v5
	v_mov_b32_e32 v24, v5
	s_not_b32 s74, s24
	v_lshlrev_b32_e32 v25, 29, v20
	v_lshlrev_b32_e32 v43, 25, v20
	v_lshl_add_u64 v[6:7], v[4:5], 0, -1
	v_cmp_ne_u32_e64 s[24:25], 0, v4
	v_not_b32_e32 v4, v13
	v_lshlrev_b32_e32 v33, 28, v20
	v_cmp_gt_i64_e64 s[26:27], 0, v[12:13]
	v_cmp_gt_i64_e64 s[28:29], 0, v[24:25]
	v_not_b32_e32 v12, v25
	v_not_b32_e32 v25, v43
	v_xor_b32_e32 v7, s25, v7
	v_ashrrev_i32_e32 v4, 31, v4
	v_mov_b32_e32 v32, v5
	v_lshlrev_b32_e32 v37, 27, v20
	v_not_b32_e32 v13, v33
	v_xor_b32_e32 v6, s24, v6
	v_ashrrev_i32_e32 v12, 31, v12
	v_ashrrev_i32_e32 v27, 31, v25
	v_and_b32_e32 v7, exec_hi, v7
	v_xor_b32_e32 v25, s27, v4
	v_mov_b32_e32 v36, v5
	v_lshlrev_b32_e32 v41, 26, v20
	v_cmp_gt_i64_e64 s[30:31], 0, v[32:33]
	v_not_b32_e32 v22, v37
	v_ashrrev_i32_e32 v13, 31, v13
	v_and_b32_e32 v6, exec_lo, v6
	v_xor_b32_e32 v4, s26, v4
	v_xor_b32_e32 v28, s29, v12
	v_and_b32_e32 v7, v7, v25
	v_mov_b32_e32 v40, v5
	v_cmp_gt_i64_e64 s[34:35], 0, v[36:37]
	v_not_b32_e32 v24, v41
	v_ashrrev_i32_e32 v22, 31, v22
	v_xor_b32_e32 v30, s31, v13
	v_and_b32_e32 v4, v6, v4
	v_and_b32_e32 v6, v7, v28
	v_cmp_gt_i64_e64 s[36:37], 0, v[40:41]
	v_ashrrev_i32_e32 v24, 31, v24
	v_xor_b32_e32 v12, s28, v12
	v_xor_b32_e32 v32, s35, v22
	v_and_b32_e32 v6, v6, v30
	v_xor_b32_e32 v13, s30, v13
	v_xor_b32_e32 v33, s37, v24
	v_and_b32_e32 v4, v4, v12
	v_and_b32_e32 v6, v6, v32
	v_mov_b32_e32 v42, v5
	v_xor_b32_e32 v22, s34, v22
	v_and_b32_e32 v4, v4, v13
	v_and_b32_e32 v12, v6, v33
	v_cmp_gt_i64_e64 s[38:39], 0, v[42:43]
	v_xor_b32_e32 v24, s36, v24
	v_and_b32_e32 v4, v4, v22
	v_and_b32_e32 v4, v4, v24
	v_mul_u32_u24_e32 v9, 20, v2
	ds_write2_b32 v9, v5, v5 offset0:4 offset1:5
	ds_write2_b32 v9, v5, v5 offset0:6 offset1:7
	ds_write_b32 v9, v5 offset:32
	s_waitcnt lgkmcnt(0)
	s_barrier
	s_waitcnt vmcnt(0)
	; wave barrier
	v_mad_u64_u32 v[6:7], s[24:25], v18, v17, v[2:3]
	v_lshrrev_b32_e32 v6, 6, v6
	v_lshlrev_b32_e32 v25, 2, v6
	v_xor_b32_e32 v6, s39, v27
	v_xor_b32_e32 v7, s38, v27
	v_and_b32_e32 v12, v12, v6
	v_and_b32_e32 v4, v4, v7
	v_lshlrev_b32_e32 v7, 24, v20
	v_mov_b32_e32 v6, v5
	v_cmp_gt_i64_e64 s[24:25], 0, v[6:7]
	v_not_b32_e32 v6, v7
	v_ashrrev_i32_e32 v6, 31, v6
	v_xor_b32_e32 v7, s25, v6
	v_xor_b32_e32 v6, s24, v6
	v_and_b32_e32 v6, v4, v6
	v_and_b32_e32 v7, v12, v7
	v_mbcnt_lo_u32_b32 v4, v6, 0
	v_mbcnt_hi_u32_b32 v12, v7, v4
	v_cmp_eq_u32_e64 s[24:25], 0, v12
	v_cmp_ne_u64_e64 s[26:27], 0, v[6:7]
	v_mad_u32_u24 v13, v20, 20, v25
	s_and_b64 s[26:27], s[26:27], s[24:25]
	s_and_saveexec_b64 s[24:25], s[26:27]
; %bb.26:
	v_bcnt_u32_b32 v4, v6, 0
	v_bcnt_u32_b32 v4, v7, v4
	ds_write_b32 v13, v4 offset:16
; %bb.27:
	s_or_b64 exec, exec, s[24:25]
	v_cmp_lt_i16_e64 s[24:25], -1, v11
	; wave barrier
	s_nop 1
	v_cndmask_b32_e64 v4, -1, v15, s[24:25]
	v_xor_b32_e32 v11, v4, v11
	v_cmp_ne_u16_e64 s[24:25], s40, v11
	s_nop 1
	v_cndmask_b32_e64 v4, v15, v11, s[24:25]
	v_lshrrev_b32_sdwa v4, s68, v4 dst_sel:DWORD dst_unused:UNUSED_PAD src0_sel:DWORD src1_sel:WORD_0
	v_and_b32_e32 v18, s74, v4
	v_and_b32_e32 v4, 1, v18
	v_lshl_add_u64 v[6:7], v[4:5], 0, -1
	v_cmp_ne_u32_e64 s[24:25], 0, v4
	v_mad_u32_u24 v17, v18, 20, v25
	ds_read_b32 v15, v17 offset:16
	v_xor_b32_e32 v6, s24, v6
	v_xor_b32_e32 v4, s25, v7
	v_and_b32_e32 v20, exec_lo, v6
	v_lshlrev_b32_e32 v7, 30, v18
	v_mov_b32_e32 v6, v5
	v_cmp_gt_i64_e64 s[24:25], 0, v[6:7]
	v_not_b32_e32 v6, v7
	v_ashrrev_i32_e32 v6, 31, v6
	v_and_b32_e32 v4, exec_hi, v4
	v_xor_b32_e32 v7, s25, v6
	v_xor_b32_e32 v6, s24, v6
	v_and_b32_e32 v4, v4, v7
	v_and_b32_e32 v20, v20, v6
	v_lshlrev_b32_e32 v7, 29, v18
	v_mov_b32_e32 v6, v5
	v_cmp_gt_i64_e64 s[24:25], 0, v[6:7]
	v_not_b32_e32 v6, v7
	v_ashrrev_i32_e32 v6, 31, v6
	v_xor_b32_e32 v7, s25, v6
	v_xor_b32_e32 v6, s24, v6
	v_and_b32_e32 v4, v4, v7
	v_and_b32_e32 v20, v20, v6
	v_lshlrev_b32_e32 v7, 28, v18
	v_mov_b32_e32 v6, v5
	v_cmp_gt_i64_e64 s[24:25], 0, v[6:7]
	v_not_b32_e32 v6, v7
	v_ashrrev_i32_e32 v6, 31, v6
	;; [unrolled: 9-line block ×5, first 2 shown]
	v_xor_b32_e32 v7, s25, v6
	v_xor_b32_e32 v6, s24, v6
	v_and_b32_e32 v4, v4, v7
	v_lshlrev_b32_e32 v7, 24, v18
	v_and_b32_e32 v20, v20, v6
	v_mov_b32_e32 v6, v5
	v_not_b32_e32 v5, v7
	v_cmp_gt_i64_e64 s[24:25], 0, v[6:7]
	v_ashrrev_i32_e32 v5, 31, v5
	s_nop 0
	v_xor_b32_e32 v6, s25, v5
	v_xor_b32_e32 v7, s24, v5
	v_and_b32_e32 v5, v4, v6
	v_and_b32_e32 v4, v20, v7
	v_mbcnt_lo_u32_b32 v6, v4, 0
	v_mbcnt_hi_u32_b32 v18, v5, v6
	v_cmp_eq_u32_e64 s[24:25], 0, v18
	v_cmp_ne_u64_e64 s[26:27], 0, v[4:5]
	s_and_b64 s[26:27], s[26:27], s[24:25]
	; wave barrier
	s_and_saveexec_b64 s[24:25], s[26:27]
	s_cbranch_execz .LBB199_29
; %bb.28:
	v_bcnt_u32_b32 v4, v4, 0
	v_bcnt_u32_b32 v4, v5, v4
	s_waitcnt lgkmcnt(0)
	v_add_u32_e32 v4, v15, v4
	ds_write_b32 v17, v4 offset:16
.LBB199_29:
	s_or_b64 exec, exec, s[24:25]
	v_mov_b32_e32 v27, 0xffff8000
	v_cmp_lt_i16_e64 s[24:25], -1, v19
	s_movk_i32 s28, 0x7fff
	v_mov_b32_e32 v5, 0
	v_cndmask_b32_e64 v4, -1, v27, s[24:25]
	v_xor_b32_e32 v19, v4, v19
	v_cmp_ne_u16_e64 s[24:25], s28, v19
	; wave barrier
	s_nop 1
	v_cndmask_b32_e64 v4, v27, v19, s[24:25]
	v_lshrrev_b32_sdwa v4, s68, v4 dst_sel:DWORD dst_unused:UNUSED_PAD src0_sel:DWORD src1_sel:WORD_0
	v_and_b32_e32 v24, s74, v4
	v_and_b32_e32 v4, 1, v24
	v_lshl_add_u64 v[6:7], v[4:5], 0, -1
	v_cmp_ne_u32_e64 s[24:25], 0, v4
	v_mad_u32_u24 v22, v24, 20, v25
	ds_read_b32 v20, v22 offset:16
	v_xor_b32_e32 v6, s24, v6
	v_xor_b32_e32 v4, s25, v7
	v_and_b32_e32 v28, exec_lo, v6
	v_lshlrev_b32_e32 v7, 30, v24
	v_mov_b32_e32 v6, v5
	v_cmp_gt_i64_e64 s[24:25], 0, v[6:7]
	v_not_b32_e32 v6, v7
	v_ashrrev_i32_e32 v6, 31, v6
	v_and_b32_e32 v4, exec_hi, v4
	v_xor_b32_e32 v7, s25, v6
	v_xor_b32_e32 v6, s24, v6
	v_and_b32_e32 v4, v4, v7
	v_and_b32_e32 v28, v28, v6
	v_lshlrev_b32_e32 v7, 29, v24
	v_mov_b32_e32 v6, v5
	v_cmp_gt_i64_e64 s[24:25], 0, v[6:7]
	v_not_b32_e32 v6, v7
	v_ashrrev_i32_e32 v6, 31, v6
	v_xor_b32_e32 v7, s25, v6
	v_xor_b32_e32 v6, s24, v6
	v_and_b32_e32 v4, v4, v7
	v_and_b32_e32 v28, v28, v6
	v_lshlrev_b32_e32 v7, 28, v24
	v_mov_b32_e32 v6, v5
	v_cmp_gt_i64_e64 s[24:25], 0, v[6:7]
	v_not_b32_e32 v6, v7
	v_ashrrev_i32_e32 v6, 31, v6
	;; [unrolled: 9-line block ×6, first 2 shown]
	v_xor_b32_e32 v7, s25, v6
	v_xor_b32_e32 v6, s24, v6
	v_and_b32_e32 v6, v28, v6
	v_and_b32_e32 v7, v4, v7
	v_mbcnt_lo_u32_b32 v4, v6, 0
	v_mbcnt_hi_u32_b32 v24, v7, v4
	v_cmp_eq_u32_e64 s[24:25], 0, v24
	v_cmp_ne_u64_e64 s[26:27], 0, v[6:7]
	s_and_b64 s[26:27], s[26:27], s[24:25]
	; wave barrier
	s_and_saveexec_b64 s[24:25], s[26:27]
	s_cbranch_execz .LBB199_31
; %bb.30:
	v_bcnt_u32_b32 v4, v6, 0
	v_bcnt_u32_b32 v4, v7, v4
	s_waitcnt lgkmcnt(0)
	v_add_u32_e32 v4, v20, v4
	ds_write_b32 v22, v4 offset:16
.LBB199_31:
	s_or_b64 exec, exec, s[24:25]
	v_cmp_lt_i16_e64 s[24:25], -1, v23
	; wave barrier
	s_nop 1
	v_cndmask_b32_e64 v4, -1, v27, s[24:25]
	v_xor_b32_e32 v23, v4, v23
	v_cmp_ne_u16_e64 s[24:25], s28, v23
	s_nop 1
	v_cndmask_b32_e64 v4, v27, v23, s[24:25]
	v_lshrrev_b32_sdwa v4, s68, v4 dst_sel:DWORD dst_unused:UNUSED_PAD src0_sel:DWORD src1_sel:WORD_0
	v_and_b32_e32 v30, s74, v4
	v_and_b32_e32 v4, 1, v30
	v_lshl_add_u64 v[6:7], v[4:5], 0, -1
	v_cmp_ne_u32_e64 s[24:25], 0, v4
	v_mad_u32_u24 v28, v30, 20, v25
	ds_read_b32 v27, v28 offset:16
	v_xor_b32_e32 v6, s24, v6
	v_xor_b32_e32 v4, s25, v7
	v_and_b32_e32 v32, exec_lo, v6
	v_lshlrev_b32_e32 v7, 30, v30
	v_mov_b32_e32 v6, v5
	v_cmp_gt_i64_e64 s[24:25], 0, v[6:7]
	v_not_b32_e32 v6, v7
	v_ashrrev_i32_e32 v6, 31, v6
	v_and_b32_e32 v4, exec_hi, v4
	v_xor_b32_e32 v7, s25, v6
	v_xor_b32_e32 v6, s24, v6
	v_and_b32_e32 v4, v4, v7
	v_and_b32_e32 v32, v32, v6
	v_lshlrev_b32_e32 v7, 29, v30
	v_mov_b32_e32 v6, v5
	v_cmp_gt_i64_e64 s[24:25], 0, v[6:7]
	v_not_b32_e32 v6, v7
	v_ashrrev_i32_e32 v6, 31, v6
	v_xor_b32_e32 v7, s25, v6
	v_xor_b32_e32 v6, s24, v6
	v_and_b32_e32 v4, v4, v7
	v_and_b32_e32 v32, v32, v6
	v_lshlrev_b32_e32 v7, 28, v30
	v_mov_b32_e32 v6, v5
	v_cmp_gt_i64_e64 s[24:25], 0, v[6:7]
	v_not_b32_e32 v6, v7
	v_ashrrev_i32_e32 v6, 31, v6
	;; [unrolled: 9-line block ×5, first 2 shown]
	v_xor_b32_e32 v7, s25, v6
	v_xor_b32_e32 v6, s24, v6
	v_and_b32_e32 v4, v4, v7
	v_lshlrev_b32_e32 v7, 24, v30
	v_and_b32_e32 v32, v32, v6
	v_mov_b32_e32 v6, v5
	v_not_b32_e32 v5, v7
	v_cmp_gt_i64_e64 s[24:25], 0, v[6:7]
	v_ashrrev_i32_e32 v5, 31, v5
	s_nop 0
	v_xor_b32_e32 v6, s25, v5
	v_xor_b32_e32 v7, s24, v5
	v_and_b32_e32 v5, v4, v6
	v_and_b32_e32 v4, v32, v7
	v_mbcnt_lo_u32_b32 v6, v4, 0
	v_mbcnt_hi_u32_b32 v30, v5, v6
	v_cmp_eq_u32_e64 s[24:25], 0, v30
	v_cmp_ne_u64_e64 s[26:27], 0, v[4:5]
	s_and_b64 s[26:27], s[26:27], s[24:25]
	; wave barrier
	s_and_saveexec_b64 s[24:25], s[26:27]
	s_cbranch_execz .LBB199_33
; %bb.32:
	v_bcnt_u32_b32 v4, v4, 0
	v_bcnt_u32_b32 v4, v5, v4
	s_waitcnt lgkmcnt(0)
	v_add_u32_e32 v4, v27, v4
	ds_write_b32 v28, v4 offset:16
.LBB199_33:
	s_or_b64 exec, exec, s[24:25]
	v_mov_b32_e32 v37, 0xffff8000
	v_cmp_lt_i16_e64 s[24:25], -1, v29
	v_mov_b32_e32 v5, 0
	s_nop 0
	v_cndmask_b32_e64 v4, -1, v37, s[24:25]
	v_xor_b32_e32 v29, v4, v29
	v_cmp_ne_u16_e64 s[24:25], s28, v29
	; wave barrier
	s_nop 1
	v_cndmask_b32_e64 v4, v37, v29, s[24:25]
	v_lshrrev_b32_sdwa v4, s68, v4 dst_sel:DWORD dst_unused:UNUSED_PAD src0_sel:DWORD src1_sel:WORD_0
	v_and_b32_e32 v36, s74, v4
	v_and_b32_e32 v4, 1, v36
	v_lshl_add_u64 v[6:7], v[4:5], 0, -1
	v_cmp_ne_u32_e64 s[24:25], 0, v4
	v_mad_u32_u24 v33, v36, 20, v25
	ds_read_b32 v32, v33 offset:16
	v_xor_b32_e32 v6, s24, v6
	v_xor_b32_e32 v4, s25, v7
	v_and_b32_e32 v38, exec_lo, v6
	v_lshlrev_b32_e32 v7, 30, v36
	v_mov_b32_e32 v6, v5
	v_cmp_gt_i64_e64 s[24:25], 0, v[6:7]
	v_not_b32_e32 v6, v7
	v_ashrrev_i32_e32 v6, 31, v6
	v_and_b32_e32 v4, exec_hi, v4
	v_xor_b32_e32 v7, s25, v6
	v_xor_b32_e32 v6, s24, v6
	v_and_b32_e32 v4, v4, v7
	v_and_b32_e32 v38, v38, v6
	v_lshlrev_b32_e32 v7, 29, v36
	v_mov_b32_e32 v6, v5
	v_cmp_gt_i64_e64 s[24:25], 0, v[6:7]
	v_not_b32_e32 v6, v7
	v_ashrrev_i32_e32 v6, 31, v6
	v_xor_b32_e32 v7, s25, v6
	v_xor_b32_e32 v6, s24, v6
	v_and_b32_e32 v4, v4, v7
	v_and_b32_e32 v38, v38, v6
	v_lshlrev_b32_e32 v7, 28, v36
	v_mov_b32_e32 v6, v5
	v_cmp_gt_i64_e64 s[24:25], 0, v[6:7]
	v_not_b32_e32 v6, v7
	v_ashrrev_i32_e32 v6, 31, v6
	v_xor_b32_e32 v7, s25, v6
	v_xor_b32_e32 v6, s24, v6
	v_and_b32_e32 v4, v4, v7
	v_and_b32_e32 v38, v38, v6
	v_lshlrev_b32_e32 v7, 27, v36
	v_mov_b32_e32 v6, v5
	v_cmp_gt_i64_e64 s[24:25], 0, v[6:7]
	v_not_b32_e32 v6, v7
	v_ashrrev_i32_e32 v6, 31, v6
	v_xor_b32_e32 v7, s25, v6
	v_xor_b32_e32 v6, s24, v6
	v_and_b32_e32 v4, v4, v7
	v_and_b32_e32 v38, v38, v6
	v_lshlrev_b32_e32 v7, 26, v36
	v_mov_b32_e32 v6, v5
	v_cmp_gt_i64_e64 s[24:25], 0, v[6:7]
	v_not_b32_e32 v6, v7
	v_ashrrev_i32_e32 v6, 31, v6
	v_xor_b32_e32 v7, s25, v6
	v_xor_b32_e32 v6, s24, v6
	v_and_b32_e32 v4, v4, v7
	v_and_b32_e32 v38, v38, v6
	v_lshlrev_b32_e32 v7, 25, v36
	v_mov_b32_e32 v6, v5
	v_cmp_gt_i64_e64 s[24:25], 0, v[6:7]
	v_not_b32_e32 v6, v7
	v_ashrrev_i32_e32 v6, 31, v6
	v_xor_b32_e32 v7, s25, v6
	v_xor_b32_e32 v6, s24, v6
	v_and_b32_e32 v4, v4, v7
	v_and_b32_e32 v38, v38, v6
	v_lshlrev_b32_e32 v7, 24, v36
	v_mov_b32_e32 v6, v5
	v_cmp_gt_i64_e64 s[24:25], 0, v[6:7]
	v_not_b32_e32 v6, v7
	v_ashrrev_i32_e32 v6, 31, v6
	v_xor_b32_e32 v7, s25, v6
	v_xor_b32_e32 v6, s24, v6
	v_and_b32_e32 v6, v38, v6
	v_and_b32_e32 v7, v4, v7
	v_mbcnt_lo_u32_b32 v4, v6, 0
	v_mbcnt_hi_u32_b32 v36, v7, v4
	v_cmp_eq_u32_e64 s[24:25], 0, v36
	v_cmp_ne_u64_e64 s[26:27], 0, v[6:7]
	s_and_b64 s[26:27], s[26:27], s[24:25]
	; wave barrier
	s_and_saveexec_b64 s[24:25], s[26:27]
	s_cbranch_execz .LBB199_35
; %bb.34:
	v_bcnt_u32_b32 v4, v6, 0
	v_bcnt_u32_b32 v4, v7, v4
	s_waitcnt lgkmcnt(0)
	v_add_u32_e32 v4, v32, v4
	ds_write_b32 v33, v4 offset:16
.LBB199_35:
	s_or_b64 exec, exec, s[24:25]
	v_cmp_lt_i16_e64 s[24:25], -1, v35
	; wave barrier
	s_nop 1
	v_cndmask_b32_e64 v4, -1, v37, s[24:25]
	v_xor_b32_e32 v35, v4, v35
	v_cmp_ne_u16_e64 s[24:25], s28, v35
	s_nop 1
	v_cndmask_b32_e64 v4, v37, v35, s[24:25]
	v_lshrrev_b32_sdwa v4, s68, v4 dst_sel:DWORD dst_unused:UNUSED_PAD src0_sel:DWORD src1_sel:WORD_0
	v_and_b32_e32 v40, s74, v4
	v_and_b32_e32 v4, 1, v40
	v_lshl_add_u64 v[6:7], v[4:5], 0, -1
	v_cmp_ne_u32_e64 s[24:25], 0, v4
	v_mad_u32_u24 v38, v40, 20, v25
	ds_read_b32 v37, v38 offset:16
	v_xor_b32_e32 v6, s24, v6
	v_xor_b32_e32 v4, s25, v7
	v_and_b32_e32 v41, exec_lo, v6
	v_lshlrev_b32_e32 v7, 30, v40
	v_mov_b32_e32 v6, v5
	v_cmp_gt_i64_e64 s[24:25], 0, v[6:7]
	v_not_b32_e32 v6, v7
	v_ashrrev_i32_e32 v6, 31, v6
	v_and_b32_e32 v4, exec_hi, v4
	v_xor_b32_e32 v7, s25, v6
	v_xor_b32_e32 v6, s24, v6
	v_and_b32_e32 v4, v4, v7
	v_and_b32_e32 v41, v41, v6
	v_lshlrev_b32_e32 v7, 29, v40
	v_mov_b32_e32 v6, v5
	v_cmp_gt_i64_e64 s[24:25], 0, v[6:7]
	v_not_b32_e32 v6, v7
	v_ashrrev_i32_e32 v6, 31, v6
	v_xor_b32_e32 v7, s25, v6
	v_xor_b32_e32 v6, s24, v6
	v_and_b32_e32 v4, v4, v7
	v_and_b32_e32 v41, v41, v6
	v_lshlrev_b32_e32 v7, 28, v40
	v_mov_b32_e32 v6, v5
	v_cmp_gt_i64_e64 s[24:25], 0, v[6:7]
	v_not_b32_e32 v6, v7
	v_ashrrev_i32_e32 v6, 31, v6
	;; [unrolled: 9-line block ×5, first 2 shown]
	v_xor_b32_e32 v7, s25, v6
	v_xor_b32_e32 v6, s24, v6
	v_and_b32_e32 v4, v4, v7
	v_lshlrev_b32_e32 v7, 24, v40
	v_and_b32_e32 v41, v41, v6
	v_mov_b32_e32 v6, v5
	v_not_b32_e32 v5, v7
	v_cmp_gt_i64_e64 s[24:25], 0, v[6:7]
	v_ashrrev_i32_e32 v5, 31, v5
	s_nop 0
	v_xor_b32_e32 v6, s25, v5
	v_xor_b32_e32 v7, s24, v5
	v_and_b32_e32 v5, v4, v6
	v_and_b32_e32 v4, v41, v7
	v_mbcnt_lo_u32_b32 v6, v4, 0
	v_mbcnt_hi_u32_b32 v40, v5, v6
	v_cmp_eq_u32_e64 s[24:25], 0, v40
	v_cmp_ne_u64_e64 s[26:27], 0, v[4:5]
	s_and_b64 s[26:27], s[26:27], s[24:25]
	; wave barrier
	s_and_saveexec_b64 s[24:25], s[26:27]
	s_cbranch_execz .LBB199_37
; %bb.36:
	v_bcnt_u32_b32 v4, v4, 0
	v_bcnt_u32_b32 v4, v5, v4
	s_waitcnt lgkmcnt(0)
	v_add_u32_e32 v4, v37, v4
	ds_write_b32 v38, v4 offset:16
.LBB199_37:
	s_or_b64 exec, exec, s[24:25]
	v_mov_b32_e32 v44, 0xffff8000
	v_cmp_lt_i16_e64 s[24:25], -1, v39
	v_mov_b32_e32 v5, 0
	s_nop 0
	v_cndmask_b32_e64 v4, -1, v44, s[24:25]
	v_xor_b32_e32 v39, v4, v39
	v_cmp_ne_u16_e64 s[24:25], s28, v39
	; wave barrier
	s_nop 1
	v_cndmask_b32_e64 v4, v44, v39, s[24:25]
	v_lshrrev_b32_sdwa v4, s68, v4 dst_sel:DWORD dst_unused:UNUSED_PAD src0_sel:DWORD src1_sel:WORD_0
	v_and_b32_e32 v43, s74, v4
	v_and_b32_e32 v4, 1, v43
	v_lshl_add_u64 v[6:7], v[4:5], 0, -1
	v_cmp_ne_u32_e64 s[24:25], 0, v4
	v_mad_u32_u24 v42, v43, 20, v25
	ds_read_b32 v41, v42 offset:16
	v_xor_b32_e32 v6, s24, v6
	v_xor_b32_e32 v4, s25, v7
	v_and_b32_e32 v45, exec_lo, v6
	v_lshlrev_b32_e32 v7, 30, v43
	v_mov_b32_e32 v6, v5
	v_cmp_gt_i64_e64 s[24:25], 0, v[6:7]
	v_not_b32_e32 v6, v7
	v_ashrrev_i32_e32 v6, 31, v6
	v_and_b32_e32 v4, exec_hi, v4
	v_xor_b32_e32 v7, s25, v6
	v_xor_b32_e32 v6, s24, v6
	v_and_b32_e32 v4, v4, v7
	v_and_b32_e32 v45, v45, v6
	v_lshlrev_b32_e32 v7, 29, v43
	v_mov_b32_e32 v6, v5
	v_cmp_gt_i64_e64 s[24:25], 0, v[6:7]
	v_not_b32_e32 v6, v7
	v_ashrrev_i32_e32 v6, 31, v6
	v_xor_b32_e32 v7, s25, v6
	v_xor_b32_e32 v6, s24, v6
	v_and_b32_e32 v4, v4, v7
	v_and_b32_e32 v45, v45, v6
	v_lshlrev_b32_e32 v7, 28, v43
	v_mov_b32_e32 v6, v5
	v_cmp_gt_i64_e64 s[24:25], 0, v[6:7]
	v_not_b32_e32 v6, v7
	v_ashrrev_i32_e32 v6, 31, v6
	;; [unrolled: 9-line block ×6, first 2 shown]
	v_xor_b32_e32 v7, s25, v6
	v_xor_b32_e32 v6, s24, v6
	v_and_b32_e32 v6, v45, v6
	v_and_b32_e32 v7, v4, v7
	v_mbcnt_lo_u32_b32 v4, v6, 0
	v_mbcnt_hi_u32_b32 v43, v7, v4
	v_cmp_eq_u32_e64 s[24:25], 0, v43
	v_cmp_ne_u64_e64 s[26:27], 0, v[6:7]
	s_and_b64 s[26:27], s[26:27], s[24:25]
	; wave barrier
	s_and_saveexec_b64 s[24:25], s[26:27]
	s_cbranch_execz .LBB199_39
; %bb.38:
	v_bcnt_u32_b32 v4, v6, 0
	v_bcnt_u32_b32 v4, v7, v4
	s_waitcnt lgkmcnt(0)
	v_add_u32_e32 v4, v41, v4
	ds_write_b32 v42, v4 offset:16
.LBB199_39:
	s_or_b64 exec, exec, s[24:25]
	v_cmp_lt_i16_e64 s[24:25], -1, v34
	; wave barrier
	s_nop 1
	v_cndmask_b32_e64 v4, -1, v44, s[24:25]
	v_xor_b32_e32 v34, v4, v34
	v_cmp_ne_u16_e64 s[24:25], s28, v34
	s_nop 1
	v_cndmask_b32_e64 v4, v44, v34, s[24:25]
	v_lshrrev_b32_sdwa v4, s68, v4 dst_sel:DWORD dst_unused:UNUSED_PAD src0_sel:DWORD src1_sel:WORD_0
	v_and_b32_e32 v46, s74, v4
	v_and_b32_e32 v4, 1, v46
	v_lshl_add_u64 v[6:7], v[4:5], 0, -1
	v_cmp_ne_u32_e64 s[24:25], 0, v4
	v_mad_u32_u24 v45, v46, 20, v25
	ds_read_b32 v44, v45 offset:16
	v_xor_b32_e32 v6, s24, v6
	v_xor_b32_e32 v4, s25, v7
	v_and_b32_e32 v47, exec_lo, v6
	v_lshlrev_b32_e32 v7, 30, v46
	v_mov_b32_e32 v6, v5
	v_cmp_gt_i64_e64 s[24:25], 0, v[6:7]
	v_not_b32_e32 v6, v7
	v_ashrrev_i32_e32 v6, 31, v6
	v_and_b32_e32 v4, exec_hi, v4
	v_xor_b32_e32 v7, s25, v6
	v_xor_b32_e32 v6, s24, v6
	v_and_b32_e32 v4, v4, v7
	v_and_b32_e32 v47, v47, v6
	v_lshlrev_b32_e32 v7, 29, v46
	v_mov_b32_e32 v6, v5
	v_cmp_gt_i64_e64 s[24:25], 0, v[6:7]
	v_not_b32_e32 v6, v7
	v_ashrrev_i32_e32 v6, 31, v6
	v_xor_b32_e32 v7, s25, v6
	v_xor_b32_e32 v6, s24, v6
	v_and_b32_e32 v4, v4, v7
	v_and_b32_e32 v47, v47, v6
	v_lshlrev_b32_e32 v7, 28, v46
	v_mov_b32_e32 v6, v5
	v_cmp_gt_i64_e64 s[24:25], 0, v[6:7]
	v_not_b32_e32 v6, v7
	v_ashrrev_i32_e32 v6, 31, v6
	;; [unrolled: 9-line block ×5, first 2 shown]
	v_xor_b32_e32 v7, s25, v6
	v_xor_b32_e32 v6, s24, v6
	v_and_b32_e32 v4, v4, v7
	v_lshlrev_b32_e32 v7, 24, v46
	v_and_b32_e32 v47, v47, v6
	v_mov_b32_e32 v6, v5
	v_not_b32_e32 v5, v7
	v_cmp_gt_i64_e64 s[24:25], 0, v[6:7]
	v_ashrrev_i32_e32 v5, 31, v5
	s_nop 0
	v_xor_b32_e32 v6, s25, v5
	v_xor_b32_e32 v7, s24, v5
	v_and_b32_e32 v5, v4, v6
	v_and_b32_e32 v4, v47, v7
	v_mbcnt_lo_u32_b32 v6, v4, 0
	v_mbcnt_hi_u32_b32 v46, v5, v6
	v_cmp_eq_u32_e64 s[24:25], 0, v46
	v_cmp_ne_u64_e64 s[26:27], 0, v[4:5]
	s_and_b64 s[26:27], s[26:27], s[24:25]
	; wave barrier
	s_and_saveexec_b64 s[24:25], s[26:27]
	s_cbranch_execz .LBB199_41
; %bb.40:
	v_bcnt_u32_b32 v4, v4, 0
	v_bcnt_u32_b32 v4, v5, v4
	s_waitcnt lgkmcnt(0)
	v_add_u32_e32 v4, v44, v4
	ds_write_b32 v45, v4 offset:16
.LBB199_41:
	s_or_b64 exec, exec, s[24:25]
	v_mov_b32_e32 v51, 0xffff8000
	v_cmp_lt_i16_e64 s[24:25], -1, v31
	v_mov_b32_e32 v5, 0
	s_nop 0
	v_cndmask_b32_e64 v4, -1, v51, s[24:25]
	v_xor_b32_e32 v31, v4, v31
	v_cmp_ne_u16_e64 s[24:25], s28, v31
	; wave barrier
	s_nop 1
	v_cndmask_b32_e64 v4, v51, v31, s[24:25]
	v_lshrrev_b32_sdwa v4, s68, v4 dst_sel:DWORD dst_unused:UNUSED_PAD src0_sel:DWORD src1_sel:WORD_0
	v_and_b32_e32 v49, s74, v4
	v_and_b32_e32 v4, 1, v49
	v_lshl_add_u64 v[6:7], v[4:5], 0, -1
	v_cmp_ne_u32_e64 s[24:25], 0, v4
	v_mad_u32_u24 v48, v49, 20, v25
	ds_read_b32 v47, v48 offset:16
	v_xor_b32_e32 v6, s24, v6
	v_xor_b32_e32 v4, s25, v7
	v_and_b32_e32 v50, exec_lo, v6
	v_lshlrev_b32_e32 v7, 30, v49
	v_mov_b32_e32 v6, v5
	v_cmp_gt_i64_e64 s[24:25], 0, v[6:7]
	v_not_b32_e32 v6, v7
	v_ashrrev_i32_e32 v6, 31, v6
	v_and_b32_e32 v4, exec_hi, v4
	v_xor_b32_e32 v7, s25, v6
	v_xor_b32_e32 v6, s24, v6
	v_and_b32_e32 v4, v4, v7
	v_and_b32_e32 v50, v50, v6
	v_lshlrev_b32_e32 v7, 29, v49
	v_mov_b32_e32 v6, v5
	v_cmp_gt_i64_e64 s[24:25], 0, v[6:7]
	v_not_b32_e32 v6, v7
	v_ashrrev_i32_e32 v6, 31, v6
	v_xor_b32_e32 v7, s25, v6
	v_xor_b32_e32 v6, s24, v6
	v_and_b32_e32 v4, v4, v7
	v_and_b32_e32 v50, v50, v6
	v_lshlrev_b32_e32 v7, 28, v49
	v_mov_b32_e32 v6, v5
	v_cmp_gt_i64_e64 s[24:25], 0, v[6:7]
	v_not_b32_e32 v6, v7
	v_ashrrev_i32_e32 v6, 31, v6
	;; [unrolled: 9-line block ×6, first 2 shown]
	v_xor_b32_e32 v7, s25, v6
	v_xor_b32_e32 v6, s24, v6
	v_and_b32_e32 v6, v50, v6
	v_and_b32_e32 v7, v4, v7
	v_mbcnt_lo_u32_b32 v4, v6, 0
	v_mbcnt_hi_u32_b32 v50, v7, v4
	v_cmp_eq_u32_e64 s[24:25], 0, v50
	v_cmp_ne_u64_e64 s[26:27], 0, v[6:7]
	s_and_b64 s[26:27], s[26:27], s[24:25]
	; wave barrier
	s_and_saveexec_b64 s[24:25], s[26:27]
	s_cbranch_execz .LBB199_43
; %bb.42:
	v_bcnt_u32_b32 v4, v6, 0
	v_bcnt_u32_b32 v4, v7, v4
	s_waitcnt lgkmcnt(0)
	v_add_u32_e32 v4, v47, v4
	ds_write_b32 v48, v4 offset:16
.LBB199_43:
	s_or_b64 exec, exec, s[24:25]
	v_cmp_lt_i16_e64 s[24:25], -1, v26
	; wave barrier
	s_nop 1
	v_cndmask_b32_e64 v4, -1, v51, s[24:25]
	v_xor_b32_e32 v49, v4, v26
	v_cmp_ne_u16_e64 s[24:25], s28, v49
	s_nop 1
	v_cndmask_b32_e64 v4, v51, v49, s[24:25]
	v_lshrrev_b32_sdwa v4, s68, v4 dst_sel:DWORD dst_unused:UNUSED_PAD src0_sel:DWORD src1_sel:WORD_0
	v_and_b32_e32 v52, s74, v4
	v_and_b32_e32 v4, 1, v52
	v_lshl_add_u64 v[6:7], v[4:5], 0, -1
	v_cmp_ne_u32_e64 s[24:25], 0, v4
	v_mad_u32_u24 v26, v52, 20, v25
	ds_read_b32 v51, v26 offset:16
	v_xor_b32_e32 v6, s24, v6
	v_xor_b32_e32 v4, s25, v7
	v_and_b32_e32 v53, exec_lo, v6
	v_lshlrev_b32_e32 v7, 30, v52
	v_mov_b32_e32 v6, v5
	v_cmp_gt_i64_e64 s[24:25], 0, v[6:7]
	v_not_b32_e32 v6, v7
	v_ashrrev_i32_e32 v6, 31, v6
	v_and_b32_e32 v4, exec_hi, v4
	v_xor_b32_e32 v7, s25, v6
	v_xor_b32_e32 v6, s24, v6
	v_and_b32_e32 v4, v4, v7
	v_and_b32_e32 v53, v53, v6
	v_lshlrev_b32_e32 v7, 29, v52
	v_mov_b32_e32 v6, v5
	v_cmp_gt_i64_e64 s[24:25], 0, v[6:7]
	v_not_b32_e32 v6, v7
	v_ashrrev_i32_e32 v6, 31, v6
	v_xor_b32_e32 v7, s25, v6
	v_xor_b32_e32 v6, s24, v6
	v_and_b32_e32 v4, v4, v7
	v_and_b32_e32 v53, v53, v6
	v_lshlrev_b32_e32 v7, 28, v52
	v_mov_b32_e32 v6, v5
	v_cmp_gt_i64_e64 s[24:25], 0, v[6:7]
	v_not_b32_e32 v6, v7
	v_ashrrev_i32_e32 v6, 31, v6
	;; [unrolled: 9-line block ×5, first 2 shown]
	v_xor_b32_e32 v7, s25, v6
	v_xor_b32_e32 v6, s24, v6
	v_and_b32_e32 v4, v4, v7
	v_lshlrev_b32_e32 v7, 24, v52
	v_and_b32_e32 v53, v53, v6
	v_mov_b32_e32 v6, v5
	v_not_b32_e32 v5, v7
	v_cmp_gt_i64_e64 s[24:25], 0, v[6:7]
	v_ashrrev_i32_e32 v5, 31, v5
	s_nop 0
	v_xor_b32_e32 v6, s25, v5
	v_xor_b32_e32 v7, s24, v5
	v_and_b32_e32 v5, v4, v6
	v_and_b32_e32 v4, v53, v7
	v_mbcnt_lo_u32_b32 v6, v4, 0
	v_mbcnt_hi_u32_b32 v53, v5, v6
	v_cmp_eq_u32_e64 s[24:25], 0, v53
	v_cmp_ne_u64_e64 s[26:27], 0, v[4:5]
	s_and_b64 s[26:27], s[26:27], s[24:25]
	; wave barrier
	s_and_saveexec_b64 s[24:25], s[26:27]
	s_cbranch_execz .LBB199_45
; %bb.44:
	v_bcnt_u32_b32 v4, v4, 0
	v_bcnt_u32_b32 v4, v5, v4
	s_waitcnt lgkmcnt(0)
	v_add_u32_e32 v4, v51, v4
	ds_write_b32 v26, v4 offset:16
.LBB199_45:
	s_or_b64 exec, exec, s[24:25]
	v_mov_b32_e32 v57, 0xffff8000
	v_cmp_lt_i16_e64 s[24:25], -1, v21
	v_mov_b32_e32 v5, 0
	s_nop 0
	v_cndmask_b32_e64 v4, -1, v57, s[24:25]
	v_xor_b32_e32 v52, v4, v21
	v_cmp_ne_u16_e64 s[24:25], s28, v52
	; wave barrier
	s_nop 1
	v_cndmask_b32_e64 v4, v57, v52, s[24:25]
	v_lshrrev_b32_sdwa v4, s68, v4 dst_sel:DWORD dst_unused:UNUSED_PAD src0_sel:DWORD src1_sel:WORD_0
	v_and_b32_e32 v55, s74, v4
	v_and_b32_e32 v4, 1, v55
	v_lshl_add_u64 v[6:7], v[4:5], 0, -1
	v_cmp_ne_u32_e64 s[24:25], 0, v4
	v_mad_u32_u24 v21, v55, 20, v25
	ds_read_b32 v54, v21 offset:16
	v_xor_b32_e32 v6, s24, v6
	v_xor_b32_e32 v4, s25, v7
	v_and_b32_e32 v56, exec_lo, v6
	v_lshlrev_b32_e32 v7, 30, v55
	v_mov_b32_e32 v6, v5
	v_cmp_gt_i64_e64 s[24:25], 0, v[6:7]
	v_not_b32_e32 v6, v7
	v_ashrrev_i32_e32 v6, 31, v6
	v_and_b32_e32 v4, exec_hi, v4
	v_xor_b32_e32 v7, s25, v6
	v_xor_b32_e32 v6, s24, v6
	v_and_b32_e32 v4, v4, v7
	v_and_b32_e32 v56, v56, v6
	v_lshlrev_b32_e32 v7, 29, v55
	v_mov_b32_e32 v6, v5
	v_cmp_gt_i64_e64 s[24:25], 0, v[6:7]
	v_not_b32_e32 v6, v7
	v_ashrrev_i32_e32 v6, 31, v6
	v_xor_b32_e32 v7, s25, v6
	v_xor_b32_e32 v6, s24, v6
	v_and_b32_e32 v4, v4, v7
	v_and_b32_e32 v56, v56, v6
	v_lshlrev_b32_e32 v7, 28, v55
	v_mov_b32_e32 v6, v5
	v_cmp_gt_i64_e64 s[24:25], 0, v[6:7]
	v_not_b32_e32 v6, v7
	v_ashrrev_i32_e32 v6, 31, v6
	;; [unrolled: 9-line block ×6, first 2 shown]
	v_xor_b32_e32 v7, s25, v6
	v_xor_b32_e32 v6, s24, v6
	v_and_b32_e32 v6, v56, v6
	v_and_b32_e32 v7, v4, v7
	v_mbcnt_lo_u32_b32 v4, v6, 0
	v_mbcnt_hi_u32_b32 v56, v7, v4
	v_cmp_eq_u32_e64 s[24:25], 0, v56
	v_cmp_ne_u64_e64 s[26:27], 0, v[6:7]
	s_and_b64 s[26:27], s[26:27], s[24:25]
	; wave barrier
	s_and_saveexec_b64 s[24:25], s[26:27]
	s_cbranch_execz .LBB199_47
; %bb.46:
	v_bcnt_u32_b32 v4, v6, 0
	v_bcnt_u32_b32 v4, v7, v4
	s_waitcnt lgkmcnt(0)
	v_add_u32_e32 v4, v54, v4
	ds_write_b32 v21, v4 offset:16
.LBB199_47:
	s_or_b64 exec, exec, s[24:25]
	v_cmp_lt_i16_e64 s[24:25], -1, v16
	; wave barrier
	s_nop 1
	v_cndmask_b32_e64 v4, -1, v57, s[24:25]
	v_xor_b32_e32 v55, v4, v16
	v_cmp_ne_u16_e64 s[24:25], s28, v55
	s_nop 1
	v_cndmask_b32_e64 v4, v57, v55, s[24:25]
	v_lshrrev_b32_sdwa v4, s68, v4 dst_sel:DWORD dst_unused:UNUSED_PAD src0_sel:DWORD src1_sel:WORD_0
	v_and_b32_e32 v58, s74, v4
	v_and_b32_e32 v4, 1, v58
	v_lshl_add_u64 v[6:7], v[4:5], 0, -1
	v_cmp_ne_u32_e64 s[24:25], 0, v4
	v_mad_u32_u24 v16, v58, 20, v25
	ds_read_b32 v57, v16 offset:16
	v_xor_b32_e32 v6, s24, v6
	v_xor_b32_e32 v4, s25, v7
	v_and_b32_e32 v25, exec_lo, v6
	v_lshlrev_b32_e32 v7, 30, v58
	v_mov_b32_e32 v6, v5
	v_cmp_gt_i64_e64 s[24:25], 0, v[6:7]
	v_not_b32_e32 v6, v7
	v_ashrrev_i32_e32 v6, 31, v6
	v_and_b32_e32 v4, exec_hi, v4
	v_xor_b32_e32 v7, s25, v6
	v_xor_b32_e32 v6, s24, v6
	v_and_b32_e32 v4, v4, v7
	v_and_b32_e32 v25, v25, v6
	v_lshlrev_b32_e32 v7, 29, v58
	v_mov_b32_e32 v6, v5
	v_cmp_gt_i64_e64 s[24:25], 0, v[6:7]
	v_not_b32_e32 v6, v7
	v_ashrrev_i32_e32 v6, 31, v6
	v_xor_b32_e32 v7, s25, v6
	v_xor_b32_e32 v6, s24, v6
	v_and_b32_e32 v4, v4, v7
	v_and_b32_e32 v25, v25, v6
	v_lshlrev_b32_e32 v7, 28, v58
	v_mov_b32_e32 v6, v5
	v_cmp_gt_i64_e64 s[24:25], 0, v[6:7]
	v_not_b32_e32 v6, v7
	v_ashrrev_i32_e32 v6, 31, v6
	;; [unrolled: 9-line block ×5, first 2 shown]
	v_xor_b32_e32 v7, s25, v6
	v_xor_b32_e32 v6, s24, v6
	v_and_b32_e32 v4, v4, v7
	v_lshlrev_b32_e32 v7, 24, v58
	v_and_b32_e32 v25, v25, v6
	v_mov_b32_e32 v6, v5
	v_not_b32_e32 v5, v7
	v_cmp_gt_i64_e64 s[24:25], 0, v[6:7]
	v_ashrrev_i32_e32 v5, 31, v5
	s_nop 0
	v_xor_b32_e32 v6, s25, v5
	v_xor_b32_e32 v7, s24, v5
	v_and_b32_e32 v5, v4, v6
	v_and_b32_e32 v4, v25, v7
	v_mbcnt_lo_u32_b32 v6, v4, 0
	v_mbcnt_hi_u32_b32 v58, v5, v6
	v_cmp_eq_u32_e64 s[24:25], 0, v58
	v_cmp_ne_u64_e64 s[26:27], 0, v[4:5]
	s_and_b64 s[26:27], s[26:27], s[24:25]
	; wave barrier
	s_and_saveexec_b64 s[24:25], s[26:27]
	s_cbranch_execz .LBB199_49
; %bb.48:
	v_bcnt_u32_b32 v4, v4, 0
	v_bcnt_u32_b32 v4, v5, v4
	s_waitcnt lgkmcnt(0)
	v_add_u32_e32 v4, v57, v4
	ds_write_b32 v16, v4 offset:16
.LBB199_49:
	s_or_b64 exec, exec, s[24:25]
	; wave barrier
	s_waitcnt lgkmcnt(0)
	s_barrier
	ds_read2_b32 v[6:7], v9 offset0:4 offset1:5
	ds_read2_b32 v[4:5], v9 offset0:6 offset1:7
	ds_read_b32 v25, v9 offset:32
	v_min_u32_e32 v8, 0xc0, v8
	v_or_b32_e32 v8, 63, v8
	s_waitcnt lgkmcnt(1)
	v_add3_u32 v59, v7, v6, v4
	s_waitcnt lgkmcnt(0)
	v_add3_u32 v25, v59, v5, v25
	v_and_b32_e32 v59, 15, v3
	v_cmp_ne_u32_e64 s[24:25], 0, v59
	v_mov_b32_dpp v60, v25 row_shr:1 row_mask:0xf bank_mask:0xf
	s_nop 0
	v_cndmask_b32_e64 v60, 0, v60, s[24:25]
	v_add_u32_e32 v25, v60, v25
	v_cmp_lt_u32_e64 s[24:25], 1, v59
	s_nop 0
	v_mov_b32_dpp v60, v25 row_shr:2 row_mask:0xf bank_mask:0xf
	v_cndmask_b32_e64 v60, 0, v60, s[24:25]
	v_add_u32_e32 v25, v25, v60
	v_cmp_lt_u32_e64 s[24:25], 3, v59
	s_nop 0
	v_mov_b32_dpp v60, v25 row_shr:4 row_mask:0xf bank_mask:0xf
	;; [unrolled: 5-line block ×3, first 2 shown]
	v_cndmask_b32_e64 v59, 0, v60, s[24:25]
	v_add_u32_e32 v25, v25, v59
	v_bfe_i32 v60, v3, 4, 1
	v_cmp_lt_u32_e64 s[24:25], 31, v3
	v_mov_b32_dpp v59, v25 row_bcast:15 row_mask:0xf bank_mask:0xf
	v_and_b32_e32 v59, v60, v59
	v_add_u32_e32 v25, v25, v59
	s_nop 1
	v_mov_b32_dpp v59, v25 row_bcast:31 row_mask:0xf bank_mask:0xf
	v_cndmask_b32_e64 v59, 0, v59, s[24:25]
	v_add_u32_e32 v25, v25, v59
	v_lshrrev_b32_e32 v59, 6, v2
	v_cmp_eq_u32_e64 s[24:25], v2, v8
	s_and_saveexec_b64 s[26:27], s[24:25]
; %bb.50:
	v_lshlrev_b32_e32 v8, 2, v59
	ds_write_b32 v8, v25
; %bb.51:
	s_or_b64 exec, exec, s[26:27]
	v_cmp_gt_u32_e64 s[24:25], 4, v2
	s_waitcnt lgkmcnt(0)
	s_barrier
	s_and_saveexec_b64 s[26:27], s[24:25]
	s_cbranch_execz .LBB199_53
; %bb.52:
	v_lshlrev_b32_e32 v8, 2, v2
	ds_read_b32 v60, v8
	v_and_b32_e32 v61, 3, v3
	v_cmp_ne_u32_e64 s[24:25], 0, v61
	s_waitcnt lgkmcnt(0)
	v_mov_b32_dpp v62, v60 row_shr:1 row_mask:0xf bank_mask:0xf
	v_cndmask_b32_e64 v62, 0, v62, s[24:25]
	v_add_u32_e32 v60, v62, v60
	v_cmp_lt_u32_e64 s[24:25], 1, v61
	s_nop 0
	v_mov_b32_dpp v62, v60 row_shr:2 row_mask:0xf bank_mask:0xf
	v_cndmask_b32_e64 v61, 0, v62, s[24:25]
	v_add_u32_e32 v60, v60, v61
	ds_write_b32 v8, v60
.LBB199_53:
	s_or_b64 exec, exec, s[26:27]
	v_cmp_lt_u32_e64 s[24:25], 63, v2
	v_mov_b32_e32 v8, 0
	s_waitcnt lgkmcnt(0)
	s_barrier
	s_and_saveexec_b64 s[26:27], s[24:25]
; %bb.54:
	v_lshl_add_u32 v8, v59, 2, -4
	ds_read_b32 v8, v8
; %bb.55:
	s_or_b64 exec, exec, s[26:27]
	v_add_u32_e32 v59, -1, v3
	v_and_b32_e32 v60, 64, v3
	v_cmp_lt_i32_e64 s[24:25], v59, v60
	s_waitcnt lgkmcnt(0)
	v_add_u32_e32 v25, v8, v25
	v_cndmask_b32_e64 v59, v59, v3, s[24:25]
	v_lshlrev_b32_e32 v59, 2, v59
	ds_bpermute_b32 v25, v59, v25
	v_cmp_eq_u32_e64 s[24:25], 0, v3
	s_waitcnt lgkmcnt(0)
	s_nop 0
	v_cndmask_b32_e64 v8, v25, v8, s[24:25]
	v_cmp_ne_u32_e64 s[24:25], 0, v2
	s_nop 1
	v_cndmask_b32_e64 v8, 0, v8, s[24:25]
	v_add_u32_e32 v6, v8, v6
	v_add_u32_e32 v7, v6, v7
	;; [unrolled: 1-line block ×4, first 2 shown]
	ds_write2_b32 v9, v8, v6 offset0:4 offset1:5
	ds_write2_b32 v9, v7, v4 offset0:6 offset1:7
	ds_write_b32 v9, v5 offset:32
	s_waitcnt lgkmcnt(0)
	s_barrier
	ds_read_b32 v6, v45 offset:16
	ds_read_b32 v7, v48 offset:16
	;; [unrolled: 1-line block ×13, first 2 shown]
	v_add_u32_e32 v9, 1, v2
	s_movk_i32 s24, 0x100
	v_cmp_ne_u32_e64 s[24:25], s24, v9
	v_mov_b32_e32 v5, 0xc00
	s_and_saveexec_b64 s[26:27], s[24:25]
; %bb.56:
	v_mul_u32_u24_e32 v5, 20, v9
	ds_read_b32 v5, v5 offset:16
; %bb.57:
	s_or_b64 exec, exec, s[26:27]
	s_waitcnt lgkmcnt(7)
	v_add_u32_e32 v28, v13, v12
	s_waitcnt lgkmcnt(6)
	v_add3_u32 v26, v18, v15, v16
	v_add3_u32 v18, v46, v44, v6
	v_lshlrev_b32_e32 v6, 1, v28
	s_waitcnt lgkmcnt(5)
	v_add3_u32 v25, v24, v20, v17
	s_waitcnt lgkmcnt(0)
	s_barrier
	ds_write_b16 v6, v10 offset:2048
	v_lshlrev_b32_e32 v6, 1, v26
	v_add3_u32 v24, v30, v27, v21
	ds_write_b16 v6, v11 offset:2048
	v_lshlrev_b32_e32 v6, 1, v25
	v_add3_u32 v22, v36, v32, v22
	;; [unrolled: 3-line block ×4, first 2 shown]
	ds_write_b16 v6, v29 offset:2048
	v_lshlrev_b32_e32 v6, 1, v21
	ds_write_b16 v6, v35 offset:2048
	v_lshlrev_b32_e32 v6, 1, v20
	v_add3_u32 v17, v50, v47, v7
	ds_write_b16 v6, v39 offset:2048
	v_lshlrev_b32_e32 v6, 1, v18
	v_add3_u32 v16, v53, v51, v8
	;; [unrolled: 3-line block ×4, first 2 shown]
	ds_write_b16 v6, v49 offset:2048
	v_lshlrev_b32_e32 v6, 1, v15
	ds_write_b16 v6, v52 offset:2048
	v_lshlrev_b32_e32 v6, 1, v7
	ds_write_b16 v6, v55 offset:2048
	v_sub_u32_e32 v6, v5, v4
	v_lshl_add_u32 v8, s2, 8, v2
	v_mov_b32_e32 v9, 0
	v_lshl_add_u64 v[10:11], v[8:9], 2, s[72:73]
	v_or_b32_e32 v5, 2.0, v6
	s_mov_b64 s[26:27], 0
	s_brev_b32 s34, -4
	s_mov_b32 s35, s3
	v_mov_b32_e32 v19, 0
	s_waitcnt lgkmcnt(0)
	s_barrier
	global_store_dword v[10:11], v5, off sc1
                                        ; implicit-def: $sgpr24_sgpr25
	s_branch .LBB199_60
.LBB199_58:                             ;   in Loop: Header=BB199_60 Depth=1
	s_or_b64 exec, exec, s[30:31]
.LBB199_59:                             ;   in Loop: Header=BB199_60 Depth=1
	s_or_b64 exec, exec, s[28:29]
	v_and_b32_e32 v8, 0x3fffffff, v5
	v_add_u32_e32 v19, v8, v19
	v_cmp_gt_i32_e64 s[24:25], -2.0, v5
	s_and_b64 s[28:29], exec, s[24:25]
	s_or_b64 s[26:27], s[28:29], s[26:27]
	s_andn2_b64 exec, exec, s[26:27]
	s_cbranch_execz .LBB199_65
.LBB199_60:                             ; =>This Loop Header: Depth=1
                                        ;     Child Loop BB199_63 Depth 2
	s_or_b64 s[24:25], s[24:25], exec
	s_cmp_eq_u32 s35, 0
	s_cbranch_scc1 .LBB199_64
; %bb.61:                               ;   in Loop: Header=BB199_60 Depth=1
	s_add_i32 s35, s35, -1
	v_lshl_add_u32 v8, s35, 8, v2
	v_lshl_add_u64 v[12:13], v[8:9], 2, s[72:73]
	global_load_dword v5, v[12:13], off sc1
	s_waitcnt vmcnt(0)
	v_cmp_gt_u32_e64 s[24:25], 2.0, v5
	s_and_saveexec_b64 s[28:29], s[24:25]
	s_cbranch_execz .LBB199_59
; %bb.62:                               ;   in Loop: Header=BB199_60 Depth=1
	s_mov_b64 s[30:31], 0
.LBB199_63:                             ;   Parent Loop BB199_60 Depth=1
                                        ; =>  This Inner Loop Header: Depth=2
	global_load_dword v5, v[12:13], off sc1
	s_waitcnt vmcnt(0)
	v_cmp_lt_u32_e64 s[24:25], s34, v5
	s_or_b64 s[30:31], s[24:25], s[30:31]
	s_andn2_b64 exec, exec, s[30:31]
	s_cbranch_execnz .LBB199_63
	s_branch .LBB199_58
.LBB199_64:                             ;   in Loop: Header=BB199_60 Depth=1
                                        ; implicit-def: $sgpr35
	s_and_b64 s[28:29], exec, s[24:25]
	s_or_b64 s[26:27], s[28:29], s[26:27]
	s_andn2_b64 exec, exec, s[26:27]
	s_cbranch_execnz .LBB199_60
.LBB199_65:
	s_or_b64 exec, exec, s[26:27]
	v_add_u32_e32 v5, v19, v6
	v_or_b32_e32 v5, 0x80000000, v5
	v_lshlrev_b32_e32 v8, 3, v2
	global_store_dword v[10:11], v5, off sc1
	global_load_dwordx2 v[10:11], v8, s[64:65]
	v_sub_co_u32_e64 v12, s[24:25], v19, v4
	v_mov_b32_e32 v5, 0
	s_nop 0
	v_subb_co_u32_e64 v13, s[24:25], 0, 0, s[24:25]
	v_cmp_gt_u32_e64 s[24:25], s70, v2
	s_waitcnt vmcnt(0)
	v_lshl_add_u64 v[10:11], v[12:13], 0, v[10:11]
	ds_write_b64 v8, v[10:11]
	s_waitcnt lgkmcnt(0)
	s_barrier
	s_and_saveexec_b64 s[28:29], s[24:25]
	s_cbranch_execz .LBB199_67
; %bb.66:
	v_mad_i32_i24 v9, v2, -6, v8
	ds_read_u16 v9, v9 offset:2048
	s_movk_i32 s26, 0x7fff
	v_mov_b32_e32 v13, 0xffff8000
	v_lshlrev_b32_e32 v12, 1, v2
	s_waitcnt lgkmcnt(0)
	v_cmp_ne_u16_e64 s[26:27], s26, v9
	s_nop 1
	v_cndmask_b32_e64 v10, v13, v9, s[26:27]
	v_lshrrev_b32_sdwa v10, s68, v10 dst_sel:DWORD dst_unused:UNUSED_PAD src0_sel:DWORD src1_sel:WORD_0
	v_and_b32_e32 v10, s74, v10
	v_lshlrev_b32_e32 v10, 3, v10
	ds_read_b64 v[10:11], v10
	v_cmp_lt_i16_e64 s[26:27], -1, v9
	s_waitcnt lgkmcnt(0)
	v_lshl_add_u64 v[10:11], v[10:11], 1, s[58:59]
	v_cndmask_b32_e64 v13, v13, -1, s[26:27]
	v_xor_b32_e32 v9, v13, v9
	v_mov_b32_e32 v13, v5
	v_lshl_add_u64 v[10:11], v[10:11], 0, v[12:13]
	global_store_short v[10:11], v9, off
.LBB199_67:
	s_or_b64 exec, exec, s[28:29]
	v_add_u32_e32 v9, 0x100, v2
	v_cmp_gt_u32_e64 s[26:27], s70, v9
	s_and_saveexec_b64 s[30:31], s[26:27]
	s_cbranch_execz .LBB199_69
; %bb.68:
	v_mad_i32_i24 v9, v2, -6, v8
	ds_read_u16 v9, v9 offset:2560
	s_movk_i32 s28, 0x7fff
	v_mov_b32_e32 v13, 0xffff8000
	v_lshlrev_b32_e32 v12, 1, v2
	s_waitcnt lgkmcnt(0)
	v_cmp_ne_u16_e64 s[28:29], s28, v9
	s_nop 1
	v_cndmask_b32_e64 v10, v13, v9, s[28:29]
	v_lshrrev_b32_sdwa v10, s68, v10 dst_sel:DWORD dst_unused:UNUSED_PAD src0_sel:DWORD src1_sel:WORD_0
	v_and_b32_e32 v10, s74, v10
	v_lshlrev_b32_e32 v10, 3, v10
	ds_read_b64 v[10:11], v10
	v_cmp_lt_i16_e64 s[28:29], -1, v9
	s_waitcnt lgkmcnt(0)
	v_lshl_add_u64 v[10:11], v[10:11], 1, s[58:59]
	v_cndmask_b32_e64 v13, v13, -1, s[28:29]
	v_xor_b32_e32 v9, v13, v9
	v_mov_b32_e32 v13, 0
	v_lshl_add_u64 v[10:11], v[10:11], 0, v[12:13]
	global_store_short v[10:11], v9, off offset:512
.LBB199_69:
	s_or_b64 exec, exec, s[30:31]
	v_add_u32_e32 v12, 0x200, v2
	v_cmp_gt_u32_e64 s[28:29], s70, v12
	s_and_saveexec_b64 s[34:35], s[28:29]
	s_cbranch_execz .LBB199_71
; %bb.70:
	v_mad_i32_i24 v9, v2, -6, v8
	ds_read_u16 v9, v9 offset:3072
	s_movk_i32 s30, 0x7fff
	v_mov_b32_e32 v13, 0xffff8000
	v_lshlrev_b32_e32 v30, 1, v2
	v_mov_b32_e32 v31, 0
	s_waitcnt lgkmcnt(0)
	v_cmp_ne_u16_e64 s[30:31], s30, v9
	s_nop 1
	v_cndmask_b32_e64 v10, v13, v9, s[30:31]
	v_lshrrev_b32_sdwa v10, s68, v10 dst_sel:DWORD dst_unused:UNUSED_PAD src0_sel:DWORD src1_sel:WORD_0
	v_and_b32_e32 v10, s74, v10
	v_lshlrev_b32_e32 v10, 3, v10
	ds_read_b64 v[10:11], v10
	v_cmp_lt_i16_e64 s[30:31], -1, v9
	s_waitcnt lgkmcnt(0)
	v_lshl_add_u64 v[10:11], v[10:11], 1, s[58:59]
	v_cndmask_b32_e64 v13, v13, -1, s[30:31]
	v_xor_b32_e32 v9, v13, v9
	v_lshl_add_u64 v[10:11], v[10:11], 0, v[30:31]
	global_store_short v[10:11], v9, off offset:1024
.LBB199_71:
	s_or_b64 exec, exec, s[34:35]
	v_add_u32_e32 v13, 0x300, v2
	v_cmp_gt_u32_e64 s[30:31], s70, v13
	s_and_saveexec_b64 s[36:37], s[30:31]
	s_cbranch_execz .LBB199_73
; %bb.72:
	v_mad_i32_i24 v9, v2, -6, v8
	ds_read_u16 v9, v9 offset:3584
	s_movk_i32 s34, 0x7fff
	v_mov_b32_e32 v19, 0xffff8000
	v_lshlrev_b32_e32 v30, 1, v2
	v_mov_b32_e32 v31, 0
	s_waitcnt lgkmcnt(0)
	v_cmp_ne_u16_e64 s[34:35], s34, v9
	s_nop 1
	v_cndmask_b32_e64 v10, v19, v9, s[34:35]
	v_lshrrev_b32_sdwa v10, s68, v10 dst_sel:DWORD dst_unused:UNUSED_PAD src0_sel:DWORD src1_sel:WORD_0
	v_and_b32_e32 v10, s74, v10
	v_lshlrev_b32_e32 v10, 3, v10
	ds_read_b64 v[10:11], v10
	v_cmp_lt_i16_e64 s[34:35], -1, v9
	s_waitcnt lgkmcnt(0)
	v_lshl_add_u64 v[10:11], v[10:11], 1, s[58:59]
	v_cndmask_b32_e64 v19, v19, -1, s[34:35]
	v_xor_b32_e32 v9, v19, v9
	v_lshl_add_u64 v[10:11], v[10:11], 0, v[30:31]
	global_store_short v[10:11], v9, off offset:1536
.LBB199_73:
	s_or_b64 exec, exec, s[36:37]
	v_or_b32_e32 v19, 0x400, v2
	v_cmp_gt_u32_e64 s[34:35], s70, v19
	s_and_saveexec_b64 s[38:39], s[34:35]
	s_cbranch_execz .LBB199_75
; %bb.74:
	v_mad_i32_i24 v9, v2, -6, v8
	ds_read_u16 v9, v9 offset:4096
	s_movk_i32 s36, 0x7fff
	v_mov_b32_e32 v23, 0xffff8000
	v_lshlrev_b32_e32 v30, 1, v2
	v_mov_b32_e32 v31, 0
	s_waitcnt lgkmcnt(0)
	v_cmp_ne_u16_e64 s[36:37], s36, v9
	s_nop 1
	v_cndmask_b32_e64 v10, v23, v9, s[36:37]
	v_lshrrev_b32_sdwa v10, s68, v10 dst_sel:DWORD dst_unused:UNUSED_PAD src0_sel:DWORD src1_sel:WORD_0
	v_and_b32_e32 v10, s74, v10
	v_lshlrev_b32_e32 v10, 3, v10
	ds_read_b64 v[10:11], v10
	v_cmp_lt_i16_e64 s[36:37], -1, v9
	s_waitcnt lgkmcnt(0)
	v_lshl_add_u64 v[10:11], v[10:11], 1, s[58:59]
	v_cndmask_b32_e64 v23, v23, -1, s[36:37]
	v_xor_b32_e32 v9, v23, v9
	v_lshl_add_u64 v[10:11], v[10:11], 0, v[30:31]
	global_store_short v[10:11], v9, off offset:2048
.LBB199_75:
	s_or_b64 exec, exec, s[38:39]
	v_add_u32_e32 v23, 0x500, v2
	v_cmp_gt_u32_e64 s[36:37], s70, v23
	s_and_saveexec_b64 s[40:41], s[36:37]
	s_cbranch_execz .LBB199_77
; %bb.76:
	v_mad_i32_i24 v9, v2, -6, v8
	ds_read_u16 v9, v9 offset:4608
	s_movk_i32 s38, 0x7fff
	v_mov_b32_e32 v27, 0xffff8000
	v_lshlrev_b32_e32 v30, 1, v2
	v_mov_b32_e32 v31, 0
	s_waitcnt lgkmcnt(0)
	v_cmp_ne_u16_e64 s[38:39], s38, v9
	s_nop 1
	v_cndmask_b32_e64 v10, v27, v9, s[38:39]
	v_lshrrev_b32_sdwa v10, s68, v10 dst_sel:DWORD dst_unused:UNUSED_PAD src0_sel:DWORD src1_sel:WORD_0
	v_and_b32_e32 v10, s74, v10
	v_lshlrev_b32_e32 v10, 3, v10
	ds_read_b64 v[10:11], v10
	v_cmp_lt_i16_e64 s[38:39], -1, v9
	s_waitcnt lgkmcnt(0)
	v_lshl_add_u64 v[10:11], v[10:11], 1, s[58:59]
	v_cndmask_b32_e64 v27, v27, -1, s[38:39]
	v_xor_b32_e32 v9, v27, v9
	v_lshl_add_u64 v[10:11], v[10:11], 0, v[30:31]
	global_store_short v[10:11], v9, off offset:2560
.LBB199_77:
	s_or_b64 exec, exec, s[40:41]
	v_add_u32_e32 v27, 0x600, v2
	;; [unrolled: 28-line block ×3, first 2 shown]
	v_cmp_gt_u32_e64 s[40:41], s70, v29
	s_and_saveexec_b64 s[44:45], s[40:41]
	s_cbranch_execz .LBB199_81
; %bb.80:
	v_lshlrev_b32_e32 v10, 1, v2
	ds_read_u16 v9, v10 offset:5632
	s_movk_i32 s42, 0x7fff
	v_mov_b32_e32 v11, 0xffff8000
	s_waitcnt lgkmcnt(0)
	v_cmp_ne_u16_e64 s[42:43], s42, v9
	s_nop 1
	v_cndmask_b32_e64 v30, v11, v9, s[42:43]
	v_lshrrev_b32_sdwa v30, s68, v30 dst_sel:DWORD dst_unused:UNUSED_PAD src0_sel:DWORD src1_sel:WORD_0
	v_and_b32_e32 v30, s74, v30
	v_lshlrev_b32_e32 v30, 3, v30
	ds_read_b64 v[30:31], v30
	v_cmp_lt_i16_e64 s[42:43], -1, v9
	s_waitcnt lgkmcnt(0)
	v_lshl_add_u64 v[30:31], v[30:31], 1, s[58:59]
	v_cndmask_b32_e64 v11, v11, -1, s[42:43]
	v_xor_b32_e32 v9, v11, v9
	v_mov_b32_e32 v11, 0
	v_lshl_add_u64 v[10:11], v[30:31], 0, v[10:11]
	global_store_short v[10:11], v9, off offset:3584
.LBB199_81:
	s_or_b64 exec, exec, s[44:45]
	v_or_b32_e32 v30, 0x800, v2
	v_cmp_gt_u32_e64 s[42:43], s70, v30
	s_and_saveexec_b64 s[46:47], s[42:43]
	s_cbranch_execz .LBB199_83
; %bb.82:
	v_lshlrev_b32_e32 v9, 1, v2
	ds_read_u16 v9, v9 offset:6144
	s_movk_i32 s44, 0x7fff
	v_mov_b32_e32 v31, 0xffff8000
	v_lshlrev_b32_e32 v32, 1, v30
	v_mov_b32_e32 v33, 0
	s_waitcnt lgkmcnt(0)
	v_cmp_ne_u16_e64 s[44:45], s44, v9
	s_nop 1
	v_cndmask_b32_e64 v10, v31, v9, s[44:45]
	v_lshrrev_b32_sdwa v10, s68, v10 dst_sel:DWORD dst_unused:UNUSED_PAD src0_sel:DWORD src1_sel:WORD_0
	v_and_b32_e32 v10, s74, v10
	v_lshlrev_b32_e32 v10, 3, v10
	ds_read_b64 v[10:11], v10
	v_cmp_lt_i16_e64 s[44:45], -1, v9
	s_waitcnt lgkmcnt(0)
	v_lshl_add_u64 v[10:11], v[10:11], 1, s[58:59]
	v_cndmask_b32_e64 v31, v31, -1, s[44:45]
	v_xor_b32_e32 v9, v31, v9
	v_lshl_add_u64 v[10:11], v[10:11], 0, v[32:33]
	global_store_short v[10:11], v9, off
.LBB199_83:
	s_or_b64 exec, exec, s[46:47]
	v_add_u32_e32 v31, 0x900, v2
	v_cmp_gt_u32_e64 s[44:45], s70, v31
	s_and_saveexec_b64 s[48:49], s[44:45]
	s_cbranch_execz .LBB199_85
; %bb.84:
	v_lshlrev_b32_e32 v9, 1, v2
	ds_read_u16 v9, v9 offset:6656
	s_movk_i32 s46, 0x7fff
	v_mov_b32_e32 v33, 0xffff8000
	v_lshlrev_b32_e32 v32, 1, v31
	s_waitcnt lgkmcnt(0)
	v_cmp_ne_u16_e64 s[46:47], s46, v9
	s_nop 1
	v_cndmask_b32_e64 v10, v33, v9, s[46:47]
	v_lshrrev_b32_sdwa v10, s68, v10 dst_sel:DWORD dst_unused:UNUSED_PAD src0_sel:DWORD src1_sel:WORD_0
	v_and_b32_e32 v10, s74, v10
	v_lshlrev_b32_e32 v10, 3, v10
	ds_read_b64 v[10:11], v10
	v_cmp_lt_i16_e64 s[46:47], -1, v9
	s_waitcnt lgkmcnt(0)
	v_lshl_add_u64 v[10:11], v[10:11], 1, s[58:59]
	v_cndmask_b32_e64 v33, v33, -1, s[46:47]
	v_xor_b32_e32 v9, v33, v9
	v_mov_b32_e32 v33, 0
	v_lshl_add_u64 v[10:11], v[10:11], 0, v[32:33]
	global_store_short v[10:11], v9, off
.LBB199_85:
	s_or_b64 exec, exec, s[48:49]
	v_add_u32_e32 v32, 0xa00, v2
	v_cmp_gt_u32_e64 s[46:47], s70, v32
	s_and_saveexec_b64 s[52:53], s[46:47]
	s_cbranch_execz .LBB199_87
; %bb.86:
	v_lshlrev_b32_e32 v9, 1, v2
	ds_read_u16 v9, v9 offset:7168
	s_movk_i32 s48, 0x7fff
	v_mov_b32_e32 v33, 0xffff8000
	v_lshlrev_b32_e32 v34, 1, v32
	v_mov_b32_e32 v35, 0
	s_waitcnt lgkmcnt(0)
	v_cmp_ne_u16_e64 s[48:49], s48, v9
	s_nop 1
	v_cndmask_b32_e64 v10, v33, v9, s[48:49]
	v_lshrrev_b32_sdwa v10, s68, v10 dst_sel:DWORD dst_unused:UNUSED_PAD src0_sel:DWORD src1_sel:WORD_0
	v_and_b32_e32 v10, s74, v10
	v_lshlrev_b32_e32 v10, 3, v10
	ds_read_b64 v[10:11], v10
	v_cmp_lt_i16_e64 s[48:49], -1, v9
	s_waitcnt lgkmcnt(0)
	v_lshl_add_u64 v[10:11], v[10:11], 1, s[58:59]
	v_cndmask_b32_e64 v33, v33, -1, s[48:49]
	v_xor_b32_e32 v9, v33, v9
	v_lshl_add_u64 v[10:11], v[10:11], 0, v[34:35]
	global_store_short v[10:11], v9, off
.LBB199_87:
	s_or_b64 exec, exec, s[52:53]
	v_add_u32_e32 v33, 0xb00, v2
	v_cmp_gt_u32_e64 s[48:49], s70, v33
	s_and_saveexec_b64 s[70:71], s[48:49]
	s_cbranch_execz .LBB199_89
; %bb.88:
	v_lshlrev_b32_e32 v9, 1, v2
	ds_read_u16 v9, v9 offset:7680
	s_movk_i32 s52, 0x7fff
	v_mov_b32_e32 v35, 0xffff8000
	v_lshlrev_b32_e32 v34, 1, v33
	s_waitcnt lgkmcnt(0)
	v_cmp_ne_u16_e64 s[52:53], s52, v9
	s_nop 1
	v_cndmask_b32_e64 v10, v35, v9, s[52:53]
	v_lshrrev_b32_sdwa v10, s68, v10 dst_sel:DWORD dst_unused:UNUSED_PAD src0_sel:DWORD src1_sel:WORD_0
	v_and_b32_e32 v10, s74, v10
	v_lshlrev_b32_e32 v10, 3, v10
	ds_read_b64 v[10:11], v10
	v_cmp_lt_i16_e64 s[52:53], -1, v9
	s_waitcnt lgkmcnt(0)
	v_lshl_add_u64 v[10:11], v[10:11], 1, s[58:59]
	v_cndmask_b32_e64 v35, v35, -1, s[52:53]
	v_xor_b32_e32 v9, v35, v9
	v_mov_b32_e32 v35, 0
	v_lshl_add_u64 v[10:11], v[10:11], 0, v[34:35]
	global_store_short v[10:11], v9, off
.LBB199_89:
	s_or_b64 exec, exec, s[70:71]
	s_lshl_b64 s[52:53], s[54:55], 3
	s_add_u32 s52, s60, s52
	s_addc_u32 s53, s61, s53
	v_lshlrev_b32_e32 v10, 3, v3
	v_mov_b32_e32 v11, 0
	v_lshl_add_u64 v[34:35], s[52:53], 0, v[10:11]
	v_lshlrev_b32_e32 v10, 3, v14
	v_lshl_add_u64 v[10:11], v[34:35], 0, v[10:11]
                                        ; implicit-def: $vgpr42_vgpr43
	s_and_saveexec_b64 s[52:53], vcc
	s_xor_b64 s[52:53], exec, s[52:53]
	s_cbranch_execz .LBB199_101
; %bb.90:
	global_load_dwordx2 v[42:43], v[10:11], off
	s_or_b64 exec, exec, s[52:53]
                                        ; implicit-def: $vgpr44_vgpr45
	s_and_saveexec_b64 s[52:53], s[50:51]
	s_cbranch_execnz .LBB199_102
.LBB199_91:
	s_or_b64 exec, exec, s[52:53]
                                        ; implicit-def: $vgpr46_vgpr47
	s_and_saveexec_b64 s[50:51], s[4:5]
	s_cbranch_execz .LBB199_103
.LBB199_92:
	global_load_dwordx2 v[46:47], v[10:11], off offset:1024
	s_or_b64 exec, exec, s[50:51]
                                        ; implicit-def: $vgpr48_vgpr49
	s_and_saveexec_b64 s[4:5], s[6:7]
	s_cbranch_execnz .LBB199_104
.LBB199_93:
	s_or_b64 exec, exec, s[4:5]
                                        ; implicit-def: $vgpr50_vgpr51
	s_and_saveexec_b64 s[4:5], s[8:9]
	s_cbranch_execz .LBB199_105
.LBB199_94:
	global_load_dwordx2 v[50:51], v[10:11], off offset:2048
	s_or_b64 exec, exec, s[4:5]
                                        ; implicit-def: $vgpr52_vgpr53
	s_and_saveexec_b64 s[4:5], s[12:13]
	s_cbranch_execnz .LBB199_106
.LBB199_95:
	s_or_b64 exec, exec, s[4:5]
                                        ; implicit-def: $vgpr54_vgpr55
	s_and_saveexec_b64 s[4:5], s[16:17]
	s_cbranch_execz .LBB199_107
.LBB199_96:
	global_load_dwordx2 v[54:55], v[10:11], off offset:3072
	s_or_b64 exec, exec, s[4:5]
                                        ; implicit-def: $vgpr56_vgpr57
	s_and_saveexec_b64 s[4:5], s[20:21]
	s_cbranch_execnz .LBB199_108
.LBB199_97:
	s_or_b64 exec, exec, s[4:5]
                                        ; implicit-def: $vgpr58_vgpr59
	s_and_saveexec_b64 s[4:5], s[22:23]
	s_cbranch_execz .LBB199_109
.LBB199_98:
	v_add_co_u32_e32 v34, vcc, 0x1000, v10
	s_nop 1
	v_addc_co_u32_e32 v35, vcc, 0, v11, vcc
	global_load_dwordx2 v[58:59], v[34:35], off
	s_or_b64 exec, exec, s[4:5]
                                        ; implicit-def: $vgpr60_vgpr61
	s_and_saveexec_b64 s[4:5], s[18:19]
	s_cbranch_execnz .LBB199_110
.LBB199_99:
	s_or_b64 exec, exec, s[4:5]
                                        ; implicit-def: $vgpr62_vgpr63
	s_and_saveexec_b64 s[4:5], s[14:15]
	s_cbranch_execz .LBB199_111
.LBB199_100:
	v_add_co_u32_e32 v34, vcc, 0x1000, v10
	s_nop 1
	v_addc_co_u32_e32 v35, vcc, 0, v11, vcc
	global_load_dwordx2 v[62:63], v[34:35], off offset:1024
	s_or_b64 exec, exec, s[4:5]
                                        ; implicit-def: $vgpr64_vgpr65
	s_and_saveexec_b64 s[4:5], s[10:11]
	s_cbranch_execnz .LBB199_112
	s_branch .LBB199_113
.LBB199_101:
	s_or_b64 exec, exec, s[52:53]
                                        ; implicit-def: $vgpr44_vgpr45
	s_and_saveexec_b64 s[52:53], s[50:51]
	s_cbranch_execz .LBB199_91
.LBB199_102:
	global_load_dwordx2 v[44:45], v[10:11], off offset:512
	s_or_b64 exec, exec, s[52:53]
                                        ; implicit-def: $vgpr46_vgpr47
	s_and_saveexec_b64 s[50:51], s[4:5]
	s_cbranch_execnz .LBB199_92
.LBB199_103:
	s_or_b64 exec, exec, s[50:51]
                                        ; implicit-def: $vgpr48_vgpr49
	s_and_saveexec_b64 s[4:5], s[6:7]
	s_cbranch_execz .LBB199_93
.LBB199_104:
	global_load_dwordx2 v[48:49], v[10:11], off offset:1536
	s_or_b64 exec, exec, s[4:5]
                                        ; implicit-def: $vgpr50_vgpr51
	s_and_saveexec_b64 s[4:5], s[8:9]
	s_cbranch_execnz .LBB199_94
.LBB199_105:
	s_or_b64 exec, exec, s[4:5]
                                        ; implicit-def: $vgpr52_vgpr53
	s_and_saveexec_b64 s[4:5], s[12:13]
	s_cbranch_execz .LBB199_95
.LBB199_106:
	global_load_dwordx2 v[52:53], v[10:11], off offset:2560
	s_or_b64 exec, exec, s[4:5]
                                        ; implicit-def: $vgpr54_vgpr55
	s_and_saveexec_b64 s[4:5], s[16:17]
	s_cbranch_execnz .LBB199_96
.LBB199_107:
	s_or_b64 exec, exec, s[4:5]
                                        ; implicit-def: $vgpr56_vgpr57
	s_and_saveexec_b64 s[4:5], s[20:21]
	s_cbranch_execz .LBB199_97
.LBB199_108:
	global_load_dwordx2 v[56:57], v[10:11], off offset:3584
	s_or_b64 exec, exec, s[4:5]
                                        ; implicit-def: $vgpr58_vgpr59
	s_and_saveexec_b64 s[4:5], s[22:23]
	s_cbranch_execnz .LBB199_98
.LBB199_109:
	s_or_b64 exec, exec, s[4:5]
                                        ; implicit-def: $vgpr60_vgpr61
	s_and_saveexec_b64 s[4:5], s[18:19]
	s_cbranch_execz .LBB199_99
.LBB199_110:
	v_add_co_u32_e32 v34, vcc, 0x1000, v10
	s_nop 1
	v_addc_co_u32_e32 v35, vcc, 0, v11, vcc
	global_load_dwordx2 v[60:61], v[34:35], off offset:512
	s_or_b64 exec, exec, s[4:5]
                                        ; implicit-def: $vgpr62_vgpr63
	s_and_saveexec_b64 s[4:5], s[14:15]
	s_cbranch_execnz .LBB199_100
.LBB199_111:
	s_or_b64 exec, exec, s[4:5]
                                        ; implicit-def: $vgpr64_vgpr65
	s_and_saveexec_b64 s[4:5], s[10:11]
	s_cbranch_execz .LBB199_113
.LBB199_112:
	v_add_co_u32_e32 v10, vcc, 0x1000, v10
	s_nop 1
	v_addc_co_u32_e32 v11, vcc, 0, v11, vcc
	global_load_dwordx2 v[64:65], v[10:11], off offset:1536
.LBB199_113:
	s_or_b64 exec, exec, s[4:5]
	v_mov_b32_e32 v3, 0
	v_mov_b32_e32 v9, 0
	s_and_saveexec_b64 s[4:5], s[24:25]
	s_cbranch_execz .LBB199_115
; %bb.114:
	v_lshlrev_b32_e32 v9, 1, v2
	ds_read_u16 v9, v9 offset:2048
	s_movk_i32 s6, 0x7fff
	v_mov_b32_e32 v10, 0xffff8000
	s_waitcnt lgkmcnt(0)
	v_cmp_ne_u16_e32 vcc, s6, v9
	s_nop 1
	v_cndmask_b32_e32 v9, v10, v9, vcc
	v_lshrrev_b32_sdwa v9, s68, v9 dst_sel:DWORD dst_unused:UNUSED_PAD src0_sel:DWORD src1_sel:WORD_0
	v_and_b32_e32 v9, s74, v9
.LBB199_115:
	s_or_b64 exec, exec, s[4:5]
	s_and_saveexec_b64 s[4:5], s[26:27]
	s_cbranch_execz .LBB199_117
; %bb.116:
	v_lshlrev_b32_e32 v3, 1, v2
	ds_read_u16 v3, v3 offset:2560
	s_movk_i32 s6, 0x7fff
	v_mov_b32_e32 v10, 0xffff8000
	s_waitcnt lgkmcnt(0)
	v_cmp_ne_u16_e32 vcc, s6, v3
	s_nop 1
	v_cndmask_b32_e32 v3, v10, v3, vcc
	v_lshrrev_b32_sdwa v3, s68, v3 dst_sel:DWORD dst_unused:UNUSED_PAD src0_sel:DWORD src1_sel:WORD_0
	v_and_b32_e32 v3, s74, v3
.LBB199_117:
	s_or_b64 exec, exec, s[4:5]
	v_mov_b32_e32 v10, 0
	v_mov_b32_e32 v36, 0
	s_and_saveexec_b64 s[4:5], s[28:29]
	s_cbranch_execz .LBB199_119
; %bb.118:
	v_lshlrev_b32_e32 v11, 1, v2
	ds_read_u16 v11, v11 offset:3072
	s_movk_i32 s6, 0x7fff
	v_mov_b32_e32 v14, 0xffff8000
	s_waitcnt lgkmcnt(0)
	v_cmp_ne_u16_e32 vcc, s6, v11
	s_nop 1
	v_cndmask_b32_e32 v11, v14, v11, vcc
	v_lshrrev_b32_sdwa v11, s68, v11 dst_sel:DWORD dst_unused:UNUSED_PAD src0_sel:DWORD src1_sel:WORD_0
	v_and_b32_e32 v36, s74, v11
.LBB199_119:
	s_or_b64 exec, exec, s[4:5]
	s_and_saveexec_b64 s[4:5], s[30:31]
	s_cbranch_execz .LBB199_121
; %bb.120:
	v_lshlrev_b32_e32 v10, 1, v2
	ds_read_u16 v10, v10 offset:3584
	s_movk_i32 s6, 0x7fff
	v_mov_b32_e32 v11, 0xffff8000
	s_waitcnt lgkmcnt(0)
	v_cmp_ne_u16_e32 vcc, s6, v10
	s_nop 1
	v_cndmask_b32_e32 v10, v11, v10, vcc
	v_lshrrev_b32_sdwa v10, s68, v10 dst_sel:DWORD dst_unused:UNUSED_PAD src0_sel:DWORD src1_sel:WORD_0
	v_and_b32_e32 v10, s74, v10
.LBB199_121:
	;; [unrolled: 32-line block ×6, first 2 shown]
	s_or_b64 exec, exec, s[4:5]
	v_lshlrev_b32_e32 v2, 3, v28
	s_barrier
	s_waitcnt vmcnt(0)
	ds_write_b64 v2, v[42:43] offset:2048
	v_lshlrev_b32_e32 v2, 3, v26
	ds_write_b64 v2, v[44:45] offset:2048
	v_lshlrev_b32_e32 v2, 3, v25
	;; [unrolled: 2-line block ×11, first 2 shown]
	ds_write_b64 v2, v[64:65] offset:2048
	s_waitcnt lgkmcnt(0)
	s_barrier
	s_and_saveexec_b64 s[4:5], s[24:25]
	s_cbranch_execz .LBB199_196
; %bb.138:
	v_lshlrev_b32_e32 v2, 3, v9
	ds_read_b64 v[16:17], v2
	ds_read_b64 v[20:21], v8 offset:2048
	v_mov_b32_e32 v9, 0
	s_waitcnt lgkmcnt(1)
	v_lshl_add_u64 v[16:17], v[16:17], 3, s[62:63]
	v_lshl_add_u64 v[16:17], v[16:17], 0, v[8:9]
	s_waitcnt lgkmcnt(0)
	global_store_dwordx2 v[16:17], v[20:21], off
	s_or_b64 exec, exec, s[4:5]
	s_and_saveexec_b64 s[4:5], s[26:27]
	s_cbranch_execnz .LBB199_197
.LBB199_139:
	s_or_b64 exec, exec, s[4:5]
	s_and_saveexec_b64 s[4:5], s[28:29]
	s_cbranch_execz .LBB199_198
.LBB199_140:
	v_lshlrev_b32_e32 v2, 3, v36
	ds_read_b64 v[2:3], v2
	ds_read_b64 v[16:17], v8 offset:6144
	v_lshlrev_b32_e32 v20, 3, v12
	v_mov_b32_e32 v21, 0
	s_waitcnt lgkmcnt(1)
	v_lshl_add_u64 v[2:3], v[2:3], 3, s[62:63]
	v_lshl_add_u64 v[2:3], v[2:3], 0, v[20:21]
	s_waitcnt lgkmcnt(0)
	global_store_dwordx2 v[2:3], v[16:17], off
	s_or_b64 exec, exec, s[4:5]
	s_and_saveexec_b64 s[4:5], s[30:31]
	s_cbranch_execnz .LBB199_199
.LBB199_141:
	s_or_b64 exec, exec, s[4:5]
	s_and_saveexec_b64 s[4:5], s[34:35]
	s_cbranch_execz .LBB199_200
.LBB199_142:
	v_lshlrev_b32_e32 v2, 3, v37
	ds_read_b64 v[2:3], v2
	ds_read_b64 v[12:13], v8 offset:10240
	v_lshlrev_b32_e32 v16, 3, v19
	v_mov_b32_e32 v17, 0
	s_waitcnt lgkmcnt(1)
	v_lshl_add_u64 v[2:3], v[2:3], 3, s[62:63]
	v_lshl_add_u64 v[2:3], v[2:3], 0, v[16:17]
	s_waitcnt lgkmcnt(0)
	global_store_dwordx2 v[2:3], v[12:13], off
	s_or_b64 exec, exec, s[4:5]
	s_and_saveexec_b64 s[4:5], s[36:37]
	s_cbranch_execnz .LBB199_201
.LBB199_143:
	s_or_b64 exec, exec, s[4:5]
	s_and_saveexec_b64 s[4:5], s[38:39]
	s_cbranch_execz .LBB199_202
.LBB199_144:
	v_lshlrev_b32_e32 v2, 3, v38
	ds_read_b64 v[2:3], v2
	ds_read_b64 v[10:11], v8 offset:14336
	v_lshlrev_b32_e32 v12, 3, v27
	v_mov_b32_e32 v13, 0
	s_waitcnt lgkmcnt(1)
	v_lshl_add_u64 v[2:3], v[2:3], 3, s[62:63]
	v_lshl_add_u64 v[2:3], v[2:3], 0, v[12:13]
	s_waitcnt lgkmcnt(0)
	global_store_dwordx2 v[2:3], v[10:11], off
	s_or_b64 exec, exec, s[4:5]
	s_and_saveexec_b64 s[4:5], s[40:41]
	s_cbranch_execnz .LBB199_203
.LBB199_145:
	s_or_b64 exec, exec, s[4:5]
	s_and_saveexec_b64 s[4:5], s[42:43]
	s_cbranch_execz .LBB199_204
.LBB199_146:
	v_lshlrev_b32_e32 v2, 3, v39
	ds_read_b64 v[2:3], v2
	ds_read_b64 v[10:11], v8 offset:18432
	v_lshlrev_b32_e32 v12, 3, v30
	v_mov_b32_e32 v13, 0
	s_waitcnt lgkmcnt(1)
	v_lshl_add_u64 v[2:3], v[2:3], 3, s[62:63]
	v_lshl_add_u64 v[2:3], v[2:3], 0, v[12:13]
	s_waitcnt lgkmcnt(0)
	global_store_dwordx2 v[2:3], v[10:11], off
	s_or_b64 exec, exec, s[4:5]
	s_and_saveexec_b64 s[4:5], s[44:45]
	s_cbranch_execnz .LBB199_205
.LBB199_147:
	s_or_b64 exec, exec, s[4:5]
	s_and_saveexec_b64 s[4:5], s[46:47]
	s_cbranch_execz .LBB199_206
.LBB199_148:
	v_lshlrev_b32_e32 v2, 3, v40
	ds_read_b64 v[2:3], v2
	ds_read_b64 v[10:11], v8 offset:22528
	v_lshlrev_b32_e32 v12, 3, v32
	v_mov_b32_e32 v13, 0
	s_waitcnt lgkmcnt(1)
	v_lshl_add_u64 v[2:3], v[2:3], 3, s[62:63]
	v_lshl_add_u64 v[2:3], v[2:3], 0, v[12:13]
	s_waitcnt lgkmcnt(0)
	global_store_dwordx2 v[2:3], v[10:11], off
	s_or_b64 exec, exec, s[4:5]
	s_and_saveexec_b64 s[4:5], s[48:49]
	s_cbranch_execnz .LBB199_207
.LBB199_149:
	s_or_b64 exec, exec, s[4:5]
	s_add_i32 s33, s33, -1
	s_cmp_eq_u32 s2, s33
	s_cbranch_scc0 .LBB199_151
.LBB199_150:
	ds_read_b64 v[2:3], v8
	v_mov_b32_e32 v7, 0
	v_lshl_add_u64 v[4:5], v[6:7], 0, v[4:5]
	s_waitcnt lgkmcnt(0)
	v_lshl_add_u64 v[2:3], v[4:5], 0, v[2:3]
	global_store_dwordx2 v8, v[2:3], s[66:67]
.LBB199_151:
	s_mov_b64 s[4:5], 0
.LBB199_152:
	s_and_b64 vcc, exec, s[4:5]
	s_cbranch_vccz .LBB199_195
; %bb.153:
	s_mov_b32 s55, 0
	s_lshl_b64 s[4:5], s[54:55], 1
	s_add_u32 s4, s56, s4
	v_mbcnt_hi_u32_b32 v12, -1, v1
	s_addc_u32 s5, s57, s5
	v_and_b32_e32 v7, 0xc0, v0
	v_mov_b32_e32 v5, 0
	v_lshlrev_b32_e32 v4, 1, v12
	v_mul_u32_u24_e32 v3, 12, v7
	v_lshl_add_u64 v[8:9], s[4:5], 0, v[4:5]
	s_load_dword s10, s[0:1], 0x50
	s_load_dword s4, s[0:1], 0x5c
	v_lshlrev_b32_e32 v4, 1, v3
	v_lshl_add_u64 v[8:9], v[8:9], 0, v[4:5]
	global_load_ushort v1, v[8:9], off
	s_add_u32 s0, s0, 0x50
	s_addc_u32 s1, s1, 0
	s_waitcnt lgkmcnt(0)
	s_lshr_b32 s4, s4, 16
	s_cmp_lt_u32 s2, s10
	s_cselect_b32 s5, 12, 18
	s_add_u32 s0, s0, s5
	s_addc_u32 s1, s1, 0
	global_load_ushort v4, v5, s[0:1]
	v_and_b32_e32 v2, 0x3ff, v0
	v_mul_u32_u24_e32 v6, 20, v2
	ds_write2_b32 v6, v5, v5 offset0:4 offset1:5
	ds_write2_b32 v6, v5, v5 offset0:6 offset1:7
	ds_write_b32 v6, v5 offset:32
	global_load_ushort v11, v[8:9], off offset:128
	global_load_ushort v16, v[8:9], off offset:256
	global_load_ushort v21, v[8:9], off offset:384
	global_load_ushort v26, v[8:9], off offset:512
	global_load_ushort v31, v[8:9], off offset:640
	global_load_ushort v36, v[8:9], off offset:768
	global_load_ushort v40, v[8:9], off offset:896
	global_load_ushort v35, v[8:9], off offset:1024
	global_load_ushort v30, v[8:9], off offset:1152
	global_load_ushort v25, v[8:9], off offset:1280
	global_load_ushort v19, v[8:9], off offset:1408
	v_mov_b32_e32 v13, 0xffff8000
	s_movk_i32 s12, 0x7fff
	v_bfe_u32 v10, v0, 10, 10
	v_bfe_u32 v15, v0, 20, 10
	v_mad_u32_u24 v9, v15, s4, v10
	s_lshl_b32 s4, -1, s69
	v_mov_b32_e32 v0, v5
	v_mov_b32_e32 v14, v5
	s_not_b32 s11, s4
	v_mov_b32_e32 v22, v5
	v_mov_b32_e32 v28, v5
	s_waitcnt lgkmcnt(0)
	s_barrier
	s_waitcnt vmcnt(12)
	; wave barrier
	v_cmp_lt_i16_e32 vcc, -1, v1
	s_nop 1
	v_cndmask_b32_e32 v8, -1, v13, vcc
	v_xor_b32_e32 v8, v8, v1
	v_cmp_ne_u16_e32 vcc, s12, v8
	s_waitcnt vmcnt(11)
	v_mad_u64_u32 v[32:33], s[0:1], v9, v4, v[2:3]
	v_cndmask_b32_e32 v1, v13, v8, vcc
	v_lshrrev_b32_sdwa v1, s68, v1 dst_sel:DWORD dst_unused:UNUSED_PAD src0_sel:DWORD src1_sel:WORD_0
	v_bitop3_b32 v10, v1, s4, v1 bitop3:0x30
	v_and_b32_e32 v4, 1, v10
	v_lshlrev_b32_e32 v1, 30, v10
	v_lshrrev_b32_e32 v9, 6, v32
	v_lshlrev_b32_e32 v15, 29, v10
	v_lshl_add_u64 v[32:33], v[4:5], 0, -1
	v_cmp_ne_u32_e32 vcc, 0, v4
	v_cmp_gt_i64_e64 s[0:1], 0, v[0:1]
	v_not_b32_e32 v0, v1
	v_lshlrev_b32_e32 v23, 28, v10
	v_cmp_gt_i64_e64 s[4:5], 0, v[14:15]
	v_not_b32_e32 v1, v15
	v_xor_b32_e32 v15, vcc_lo, v32
	v_ashrrev_i32_e32 v0, 31, v0
	v_not_b32_e32 v4, v23
	v_ashrrev_i32_e32 v1, 31, v1
	v_and_b32_e32 v15, exec_lo, v15
	v_xor_b32_e32 v17, s1, v0
	v_xor_b32_e32 v0, s0, v0
	v_cmp_gt_i64_e64 s[6:7], 0, v[22:23]
	v_xor_b32_e32 v14, vcc_hi, v33
	v_ashrrev_i32_e32 v4, 31, v4
	v_xor_b32_e32 v18, s5, v1
	v_xor_b32_e32 v1, s4, v1
	v_and_b32_e32 v0, v15, v0
	v_lshlrev_b32_e32 v29, 27, v10
	v_and_b32_e32 v14, exec_hi, v14
	v_xor_b32_e32 v22, s7, v4
	v_xor_b32_e32 v4, s6, v4
	v_and_b32_e32 v0, v0, v1
	v_and_b32_e32 v14, v14, v17
	;; [unrolled: 1-line block ×3, first 2 shown]
	v_not_b32_e32 v4, v29
	v_cmp_gt_i64_e64 s[8:9], 0, v[28:29]
	v_and_b32_e32 v14, v14, v18
	v_ashrrev_i32_e32 v4, 31, v4
	v_and_b32_e32 v1, v14, v22
	v_xor_b32_e32 v14, s9, v4
	v_xor_b32_e32 v4, s8, v4
	v_and_b32_e32 v14, v1, v14
	v_and_b32_e32 v4, v0, v4
	v_lshlrev_b32_e32 v1, 26, v10
	v_mov_b32_e32 v0, v5
	v_cmp_gt_i64_e32 vcc, 0, v[0:1]
	v_not_b32_e32 v0, v1
	v_ashrrev_i32_e32 v0, 31, v0
	v_xor_b32_e32 v1, vcc_hi, v0
	v_xor_b32_e32 v0, vcc_lo, v0
	v_and_b32_e32 v14, v14, v1
	v_and_b32_e32 v4, v4, v0
	v_lshlrev_b32_e32 v1, 25, v10
	v_mov_b32_e32 v0, v5
	v_cmp_gt_i64_e32 vcc, 0, v[0:1]
	v_not_b32_e32 v0, v1
	v_ashrrev_i32_e32 v0, 31, v0
	v_xor_b32_e32 v1, vcc_hi, v0
	v_xor_b32_e32 v0, vcc_lo, v0
	;; [unrolled: 9-line block ×3, first 2 shown]
	v_and_b32_e32 v0, v4, v0
	v_lshlrev_b32_e32 v20, 2, v9
	v_and_b32_e32 v1, v14, v1
	v_mbcnt_lo_u32_b32 v4, v0, 0
	v_mad_u32_u24 v9, v10, 20, v20
	v_mbcnt_hi_u32_b32 v10, v1, v4
	v_cmp_eq_u32_e32 vcc, 0, v10
	v_cmp_ne_u64_e64 s[0:1], 0, v[0:1]
	s_and_b64 s[4:5], s[0:1], vcc
	s_and_saveexec_b64 s[0:1], s[4:5]
; %bb.154:
	v_bcnt_u32_b32 v0, v0, 0
	v_bcnt_u32_b32 v0, v1, v0
	ds_write_b32 v9, v0 offset:16
; %bb.155:
	s_or_b64 exec, exec, s[0:1]
	s_waitcnt vmcnt(10)
	v_cmp_lt_i16_e32 vcc, -1, v11
	; wave barrier
	s_nop 1
	v_cndmask_b32_e32 v0, -1, v13, vcc
	v_xor_b32_e32 v11, v0, v11
	v_cmp_ne_u16_e32 vcc, s12, v11
	s_nop 1
	v_cndmask_b32_e32 v0, v13, v11, vcc
	v_lshrrev_b32_sdwa v0, s68, v0 dst_sel:DWORD dst_unused:UNUSED_PAD src0_sel:DWORD src1_sel:WORD_0
	v_and_b32_e32 v15, s11, v0
	v_and_b32_e32 v4, 1, v15
	v_lshl_add_u64 v[0:1], v[4:5], 0, -1
	v_cmp_ne_u32_e32 vcc, 0, v4
	v_mad_u32_u24 v14, v15, 20, v20
	ds_read_b32 v13, v14 offset:16
	v_xor_b32_e32 v1, vcc_hi, v1
	v_xor_b32_e32 v0, vcc_lo, v0
	v_and_b32_e32 v4, exec_hi, v1
	v_and_b32_e32 v17, exec_lo, v0
	v_lshlrev_b32_e32 v1, 30, v15
	v_mov_b32_e32 v0, v5
	v_cmp_gt_i64_e32 vcc, 0, v[0:1]
	v_not_b32_e32 v0, v1
	v_ashrrev_i32_e32 v0, 31, v0
	v_xor_b32_e32 v1, vcc_hi, v0
	v_xor_b32_e32 v0, vcc_lo, v0
	v_and_b32_e32 v4, v4, v1
	v_and_b32_e32 v17, v17, v0
	v_lshlrev_b32_e32 v1, 29, v15
	v_mov_b32_e32 v0, v5
	v_cmp_gt_i64_e32 vcc, 0, v[0:1]
	v_not_b32_e32 v0, v1
	v_ashrrev_i32_e32 v0, 31, v0
	v_xor_b32_e32 v1, vcc_hi, v0
	v_xor_b32_e32 v0, vcc_lo, v0
	v_and_b32_e32 v4, v4, v1
	v_and_b32_e32 v17, v17, v0
	;; [unrolled: 9-line block ×7, first 2 shown]
	v_mbcnt_lo_u32_b32 v4, v0, 0
	v_mbcnt_hi_u32_b32 v15, v1, v4
	v_cmp_eq_u32_e32 vcc, 0, v15
	v_cmp_ne_u64_e64 s[0:1], 0, v[0:1]
	s_and_b64 s[4:5], s[0:1], vcc
	; wave barrier
	s_and_saveexec_b64 s[0:1], s[4:5]
	s_cbranch_execz .LBB199_157
; %bb.156:
	v_bcnt_u32_b32 v0, v0, 0
	v_bcnt_u32_b32 v0, v1, v0
	s_waitcnt lgkmcnt(0)
	v_add_u32_e32 v0, v13, v0
	ds_write_b32 v14, v0 offset:16
.LBB199_157:
	s_or_b64 exec, exec, s[0:1]
	v_mov_b32_e32 v23, 0xffff8000
	s_waitcnt vmcnt(9)
	v_cmp_lt_i16_e32 vcc, -1, v16
	s_movk_i32 s4, 0x7fff
	v_mov_b32_e32 v1, 0
	v_cndmask_b32_e32 v0, -1, v23, vcc
	v_xor_b32_e32 v16, v0, v16
	v_cmp_ne_u16_e32 vcc, s4, v16
	; wave barrier
	s_nop 1
	v_cndmask_b32_e32 v0, v23, v16, vcc
	v_lshrrev_b32_sdwa v0, s68, v0 dst_sel:DWORD dst_unused:UNUSED_PAD src0_sel:DWORD src1_sel:WORD_0
	v_and_b32_e32 v22, s11, v0
	v_and_b32_e32 v0, 1, v22
	v_lshl_add_u64 v[4:5], v[0:1], 0, -1
	v_cmp_ne_u32_e32 vcc, 0, v0
	v_mad_u32_u24 v18, v22, 20, v20
	ds_read_b32 v17, v18 offset:16
	v_xor_b32_e32 v4, vcc_lo, v4
	v_xor_b32_e32 v0, vcc_hi, v5
	v_and_b32_e32 v24, exec_lo, v4
	v_lshlrev_b32_e32 v5, 30, v22
	v_mov_b32_e32 v4, v1
	v_cmp_gt_i64_e32 vcc, 0, v[4:5]
	v_not_b32_e32 v4, v5
	v_ashrrev_i32_e32 v4, 31, v4
	v_and_b32_e32 v0, exec_hi, v0
	v_xor_b32_e32 v5, vcc_hi, v4
	v_xor_b32_e32 v4, vcc_lo, v4
	v_and_b32_e32 v0, v0, v5
	v_and_b32_e32 v24, v24, v4
	v_lshlrev_b32_e32 v5, 29, v22
	v_mov_b32_e32 v4, v1
	v_cmp_gt_i64_e32 vcc, 0, v[4:5]
	v_not_b32_e32 v4, v5
	v_ashrrev_i32_e32 v4, 31, v4
	v_xor_b32_e32 v5, vcc_hi, v4
	v_xor_b32_e32 v4, vcc_lo, v4
	v_and_b32_e32 v0, v0, v5
	v_and_b32_e32 v24, v24, v4
	v_lshlrev_b32_e32 v5, 28, v22
	v_mov_b32_e32 v4, v1
	v_cmp_gt_i64_e32 vcc, 0, v[4:5]
	v_not_b32_e32 v4, v5
	v_ashrrev_i32_e32 v4, 31, v4
	;; [unrolled: 9-line block ×6, first 2 shown]
	v_xor_b32_e32 v5, vcc_hi, v4
	v_xor_b32_e32 v4, vcc_lo, v4
	v_and_b32_e32 v4, v24, v4
	v_and_b32_e32 v5, v0, v5
	v_mbcnt_lo_u32_b32 v0, v4, 0
	v_mbcnt_hi_u32_b32 v22, v5, v0
	v_cmp_eq_u32_e32 vcc, 0, v22
	v_cmp_ne_u64_e64 s[0:1], 0, v[4:5]
	s_and_b64 s[6:7], s[0:1], vcc
	; wave barrier
	s_and_saveexec_b64 s[0:1], s[6:7]
	s_cbranch_execz .LBB199_159
; %bb.158:
	v_bcnt_u32_b32 v0, v4, 0
	v_bcnt_u32_b32 v0, v5, v0
	s_waitcnt lgkmcnt(0)
	v_add_u32_e32 v0, v17, v0
	ds_write_b32 v18, v0 offset:16
.LBB199_159:
	s_or_b64 exec, exec, s[0:1]
	s_waitcnt vmcnt(8)
	v_cmp_lt_i16_e32 vcc, -1, v21
	; wave barrier
	s_nop 1
	v_cndmask_b32_e32 v0, -1, v23, vcc
	v_xor_b32_e32 v21, v0, v21
	v_cmp_ne_u16_e32 vcc, s4, v21
	s_nop 1
	v_cndmask_b32_e32 v0, v23, v21, vcc
	v_lshrrev_b32_sdwa v0, s68, v0 dst_sel:DWORD dst_unused:UNUSED_PAD src0_sel:DWORD src1_sel:WORD_0
	v_and_b32_e32 v27, s11, v0
	v_and_b32_e32 v0, 1, v27
	v_lshl_add_u64 v[4:5], v[0:1], 0, -1
	v_cmp_ne_u32_e32 vcc, 0, v0
	v_mad_u32_u24 v24, v27, 20, v20
	ds_read_b32 v23, v24 offset:16
	v_xor_b32_e32 v4, vcc_lo, v4
	v_xor_b32_e32 v0, vcc_hi, v5
	v_and_b32_e32 v28, exec_lo, v4
	v_lshlrev_b32_e32 v5, 30, v27
	v_mov_b32_e32 v4, v1
	v_cmp_gt_i64_e32 vcc, 0, v[4:5]
	v_not_b32_e32 v4, v5
	v_ashrrev_i32_e32 v4, 31, v4
	v_and_b32_e32 v0, exec_hi, v0
	v_xor_b32_e32 v5, vcc_hi, v4
	v_xor_b32_e32 v4, vcc_lo, v4
	v_and_b32_e32 v0, v0, v5
	v_and_b32_e32 v28, v28, v4
	v_lshlrev_b32_e32 v5, 29, v27
	v_mov_b32_e32 v4, v1
	v_cmp_gt_i64_e32 vcc, 0, v[4:5]
	v_not_b32_e32 v4, v5
	v_ashrrev_i32_e32 v4, 31, v4
	v_xor_b32_e32 v5, vcc_hi, v4
	v_xor_b32_e32 v4, vcc_lo, v4
	v_and_b32_e32 v0, v0, v5
	v_and_b32_e32 v28, v28, v4
	v_lshlrev_b32_e32 v5, 28, v27
	v_mov_b32_e32 v4, v1
	v_cmp_gt_i64_e32 vcc, 0, v[4:5]
	v_not_b32_e32 v4, v5
	v_ashrrev_i32_e32 v4, 31, v4
	;; [unrolled: 9-line block ×5, first 2 shown]
	v_xor_b32_e32 v5, vcc_hi, v4
	v_xor_b32_e32 v4, vcc_lo, v4
	v_and_b32_e32 v0, v0, v5
	v_lshlrev_b32_e32 v5, 24, v27
	v_and_b32_e32 v28, v28, v4
	v_mov_b32_e32 v4, v1
	v_not_b32_e32 v1, v5
	v_cmp_gt_i64_e32 vcc, 0, v[4:5]
	v_ashrrev_i32_e32 v1, 31, v1
	s_nop 0
	v_xor_b32_e32 v4, vcc_hi, v1
	v_xor_b32_e32 v5, vcc_lo, v1
	v_and_b32_e32 v1, v0, v4
	v_and_b32_e32 v0, v28, v5
	v_mbcnt_lo_u32_b32 v4, v0, 0
	v_mbcnt_hi_u32_b32 v27, v1, v4
	v_cmp_eq_u32_e32 vcc, 0, v27
	v_cmp_ne_u64_e64 s[0:1], 0, v[0:1]
	s_and_b64 s[4:5], s[0:1], vcc
	; wave barrier
	s_and_saveexec_b64 s[0:1], s[4:5]
	s_cbranch_execz .LBB199_161
; %bb.160:
	v_bcnt_u32_b32 v0, v0, 0
	v_bcnt_u32_b32 v0, v1, v0
	s_waitcnt lgkmcnt(0)
	v_add_u32_e32 v0, v23, v0
	ds_write_b32 v24, v0 offset:16
.LBB199_161:
	s_or_b64 exec, exec, s[0:1]
	v_mov_b32_e32 v33, 0xffff8000
	s_waitcnt vmcnt(7)
	v_cmp_lt_i16_e32 vcc, -1, v26
	s_movk_i32 s4, 0x7fff
	v_mov_b32_e32 v1, 0
	v_cndmask_b32_e32 v0, -1, v33, vcc
	v_xor_b32_e32 v26, v0, v26
	v_cmp_ne_u16_e32 vcc, s4, v26
	; wave barrier
	s_nop 1
	v_cndmask_b32_e32 v0, v33, v26, vcc
	v_lshrrev_b32_sdwa v0, s68, v0 dst_sel:DWORD dst_unused:UNUSED_PAD src0_sel:DWORD src1_sel:WORD_0
	v_and_b32_e32 v32, s11, v0
	v_and_b32_e32 v0, 1, v32
	v_lshl_add_u64 v[4:5], v[0:1], 0, -1
	v_cmp_ne_u32_e32 vcc, 0, v0
	v_mad_u32_u24 v29, v32, 20, v20
	ds_read_b32 v28, v29 offset:16
	v_xor_b32_e32 v4, vcc_lo, v4
	v_xor_b32_e32 v0, vcc_hi, v5
	v_and_b32_e32 v34, exec_lo, v4
	v_lshlrev_b32_e32 v5, 30, v32
	v_mov_b32_e32 v4, v1
	v_cmp_gt_i64_e32 vcc, 0, v[4:5]
	v_not_b32_e32 v4, v5
	v_ashrrev_i32_e32 v4, 31, v4
	v_and_b32_e32 v0, exec_hi, v0
	v_xor_b32_e32 v5, vcc_hi, v4
	v_xor_b32_e32 v4, vcc_lo, v4
	v_and_b32_e32 v0, v0, v5
	v_and_b32_e32 v34, v34, v4
	v_lshlrev_b32_e32 v5, 29, v32
	v_mov_b32_e32 v4, v1
	v_cmp_gt_i64_e32 vcc, 0, v[4:5]
	v_not_b32_e32 v4, v5
	v_ashrrev_i32_e32 v4, 31, v4
	v_xor_b32_e32 v5, vcc_hi, v4
	v_xor_b32_e32 v4, vcc_lo, v4
	v_and_b32_e32 v0, v0, v5
	v_and_b32_e32 v34, v34, v4
	v_lshlrev_b32_e32 v5, 28, v32
	v_mov_b32_e32 v4, v1
	v_cmp_gt_i64_e32 vcc, 0, v[4:5]
	v_not_b32_e32 v4, v5
	v_ashrrev_i32_e32 v4, 31, v4
	;; [unrolled: 9-line block ×6, first 2 shown]
	v_xor_b32_e32 v5, vcc_hi, v4
	v_xor_b32_e32 v4, vcc_lo, v4
	v_and_b32_e32 v4, v34, v4
	v_and_b32_e32 v5, v0, v5
	v_mbcnt_lo_u32_b32 v0, v4, 0
	v_mbcnt_hi_u32_b32 v32, v5, v0
	v_cmp_eq_u32_e32 vcc, 0, v32
	v_cmp_ne_u64_e64 s[0:1], 0, v[4:5]
	s_and_b64 s[6:7], s[0:1], vcc
	; wave barrier
	s_and_saveexec_b64 s[0:1], s[6:7]
	s_cbranch_execz .LBB199_163
; %bb.162:
	v_bcnt_u32_b32 v0, v4, 0
	v_bcnt_u32_b32 v0, v5, v0
	s_waitcnt lgkmcnt(0)
	v_add_u32_e32 v0, v28, v0
	ds_write_b32 v29, v0 offset:16
.LBB199_163:
	s_or_b64 exec, exec, s[0:1]
	s_waitcnt vmcnt(6)
	v_cmp_lt_i16_e32 vcc, -1, v31
	; wave barrier
	s_nop 1
	v_cndmask_b32_e32 v0, -1, v33, vcc
	v_xor_b32_e32 v31, v0, v31
	v_cmp_ne_u16_e32 vcc, s4, v31
	s_nop 1
	v_cndmask_b32_e32 v0, v33, v31, vcc
	v_lshrrev_b32_sdwa v0, s68, v0 dst_sel:DWORD dst_unused:UNUSED_PAD src0_sel:DWORD src1_sel:WORD_0
	v_and_b32_e32 v37, s11, v0
	v_and_b32_e32 v0, 1, v37
	v_lshl_add_u64 v[4:5], v[0:1], 0, -1
	v_cmp_ne_u32_e32 vcc, 0, v0
	v_mad_u32_u24 v34, v37, 20, v20
	ds_read_b32 v33, v34 offset:16
	v_xor_b32_e32 v4, vcc_lo, v4
	v_xor_b32_e32 v0, vcc_hi, v5
	v_and_b32_e32 v38, exec_lo, v4
	v_lshlrev_b32_e32 v5, 30, v37
	v_mov_b32_e32 v4, v1
	v_cmp_gt_i64_e32 vcc, 0, v[4:5]
	v_not_b32_e32 v4, v5
	v_ashrrev_i32_e32 v4, 31, v4
	v_and_b32_e32 v0, exec_hi, v0
	v_xor_b32_e32 v5, vcc_hi, v4
	v_xor_b32_e32 v4, vcc_lo, v4
	v_and_b32_e32 v0, v0, v5
	v_and_b32_e32 v38, v38, v4
	v_lshlrev_b32_e32 v5, 29, v37
	v_mov_b32_e32 v4, v1
	v_cmp_gt_i64_e32 vcc, 0, v[4:5]
	v_not_b32_e32 v4, v5
	v_ashrrev_i32_e32 v4, 31, v4
	v_xor_b32_e32 v5, vcc_hi, v4
	v_xor_b32_e32 v4, vcc_lo, v4
	v_and_b32_e32 v0, v0, v5
	v_and_b32_e32 v38, v38, v4
	v_lshlrev_b32_e32 v5, 28, v37
	v_mov_b32_e32 v4, v1
	v_cmp_gt_i64_e32 vcc, 0, v[4:5]
	v_not_b32_e32 v4, v5
	v_ashrrev_i32_e32 v4, 31, v4
	;; [unrolled: 9-line block ×5, first 2 shown]
	v_xor_b32_e32 v5, vcc_hi, v4
	v_xor_b32_e32 v4, vcc_lo, v4
	v_and_b32_e32 v0, v0, v5
	v_lshlrev_b32_e32 v5, 24, v37
	v_and_b32_e32 v38, v38, v4
	v_mov_b32_e32 v4, v1
	v_not_b32_e32 v1, v5
	v_cmp_gt_i64_e32 vcc, 0, v[4:5]
	v_ashrrev_i32_e32 v1, 31, v1
	s_nop 0
	v_xor_b32_e32 v4, vcc_hi, v1
	v_xor_b32_e32 v5, vcc_lo, v1
	v_and_b32_e32 v1, v0, v4
	v_and_b32_e32 v0, v38, v5
	v_mbcnt_lo_u32_b32 v4, v0, 0
	v_mbcnt_hi_u32_b32 v37, v1, v4
	v_cmp_eq_u32_e32 vcc, 0, v37
	v_cmp_ne_u64_e64 s[0:1], 0, v[0:1]
	s_and_b64 s[4:5], s[0:1], vcc
	; wave barrier
	s_and_saveexec_b64 s[0:1], s[4:5]
	s_cbranch_execz .LBB199_165
; %bb.164:
	v_bcnt_u32_b32 v0, v0, 0
	v_bcnt_u32_b32 v0, v1, v0
	s_waitcnt lgkmcnt(0)
	v_add_u32_e32 v0, v33, v0
	ds_write_b32 v34, v0 offset:16
.LBB199_165:
	s_or_b64 exec, exec, s[0:1]
	v_mov_b32_e32 v42, 0xffff8000
	s_waitcnt vmcnt(5)
	v_cmp_lt_i16_e32 vcc, -1, v36
	s_movk_i32 s4, 0x7fff
	v_mov_b32_e32 v1, 0
	v_cndmask_b32_e32 v0, -1, v42, vcc
	v_xor_b32_e32 v36, v0, v36
	v_cmp_ne_u16_e32 vcc, s4, v36
	; wave barrier
	s_nop 1
	v_cndmask_b32_e32 v0, v42, v36, vcc
	v_lshrrev_b32_sdwa v0, s68, v0 dst_sel:DWORD dst_unused:UNUSED_PAD src0_sel:DWORD src1_sel:WORD_0
	v_and_b32_e32 v41, s11, v0
	v_and_b32_e32 v0, 1, v41
	v_lshl_add_u64 v[4:5], v[0:1], 0, -1
	v_cmp_ne_u32_e32 vcc, 0, v0
	v_mad_u32_u24 v39, v41, 20, v20
	ds_read_b32 v38, v39 offset:16
	v_xor_b32_e32 v4, vcc_lo, v4
	v_xor_b32_e32 v0, vcc_hi, v5
	v_and_b32_e32 v43, exec_lo, v4
	v_lshlrev_b32_e32 v5, 30, v41
	v_mov_b32_e32 v4, v1
	v_cmp_gt_i64_e32 vcc, 0, v[4:5]
	v_not_b32_e32 v4, v5
	v_ashrrev_i32_e32 v4, 31, v4
	v_and_b32_e32 v0, exec_hi, v0
	v_xor_b32_e32 v5, vcc_hi, v4
	v_xor_b32_e32 v4, vcc_lo, v4
	v_and_b32_e32 v0, v0, v5
	v_and_b32_e32 v43, v43, v4
	v_lshlrev_b32_e32 v5, 29, v41
	v_mov_b32_e32 v4, v1
	v_cmp_gt_i64_e32 vcc, 0, v[4:5]
	v_not_b32_e32 v4, v5
	v_ashrrev_i32_e32 v4, 31, v4
	v_xor_b32_e32 v5, vcc_hi, v4
	v_xor_b32_e32 v4, vcc_lo, v4
	v_and_b32_e32 v0, v0, v5
	v_and_b32_e32 v43, v43, v4
	v_lshlrev_b32_e32 v5, 28, v41
	v_mov_b32_e32 v4, v1
	v_cmp_gt_i64_e32 vcc, 0, v[4:5]
	v_not_b32_e32 v4, v5
	v_ashrrev_i32_e32 v4, 31, v4
	;; [unrolled: 9-line block ×6, first 2 shown]
	v_xor_b32_e32 v5, vcc_hi, v4
	v_xor_b32_e32 v4, vcc_lo, v4
	v_and_b32_e32 v4, v43, v4
	v_and_b32_e32 v5, v0, v5
	v_mbcnt_lo_u32_b32 v0, v4, 0
	v_mbcnt_hi_u32_b32 v41, v5, v0
	v_cmp_eq_u32_e32 vcc, 0, v41
	v_cmp_ne_u64_e64 s[0:1], 0, v[4:5]
	s_and_b64 s[6:7], s[0:1], vcc
	; wave barrier
	s_and_saveexec_b64 s[0:1], s[6:7]
	s_cbranch_execz .LBB199_167
; %bb.166:
	v_bcnt_u32_b32 v0, v4, 0
	v_bcnt_u32_b32 v0, v5, v0
	s_waitcnt lgkmcnt(0)
	v_add_u32_e32 v0, v38, v0
	ds_write_b32 v39, v0 offset:16
.LBB199_167:
	s_or_b64 exec, exec, s[0:1]
	s_waitcnt vmcnt(4)
	v_cmp_lt_i16_e32 vcc, -1, v40
	; wave barrier
	s_nop 1
	v_cndmask_b32_e32 v0, -1, v42, vcc
	v_xor_b32_e32 v40, v0, v40
	v_cmp_ne_u16_e32 vcc, s4, v40
	s_nop 1
	v_cndmask_b32_e32 v0, v42, v40, vcc
	v_lshrrev_b32_sdwa v0, s68, v0 dst_sel:DWORD dst_unused:UNUSED_PAD src0_sel:DWORD src1_sel:WORD_0
	v_and_b32_e32 v44, s11, v0
	v_and_b32_e32 v0, 1, v44
	v_lshl_add_u64 v[4:5], v[0:1], 0, -1
	v_cmp_ne_u32_e32 vcc, 0, v0
	v_mad_u32_u24 v43, v44, 20, v20
	ds_read_b32 v42, v43 offset:16
	v_xor_b32_e32 v4, vcc_lo, v4
	v_xor_b32_e32 v0, vcc_hi, v5
	v_and_b32_e32 v45, exec_lo, v4
	v_lshlrev_b32_e32 v5, 30, v44
	v_mov_b32_e32 v4, v1
	v_cmp_gt_i64_e32 vcc, 0, v[4:5]
	v_not_b32_e32 v4, v5
	v_ashrrev_i32_e32 v4, 31, v4
	v_and_b32_e32 v0, exec_hi, v0
	v_xor_b32_e32 v5, vcc_hi, v4
	v_xor_b32_e32 v4, vcc_lo, v4
	v_and_b32_e32 v0, v0, v5
	v_and_b32_e32 v45, v45, v4
	v_lshlrev_b32_e32 v5, 29, v44
	v_mov_b32_e32 v4, v1
	v_cmp_gt_i64_e32 vcc, 0, v[4:5]
	v_not_b32_e32 v4, v5
	v_ashrrev_i32_e32 v4, 31, v4
	v_xor_b32_e32 v5, vcc_hi, v4
	v_xor_b32_e32 v4, vcc_lo, v4
	v_and_b32_e32 v0, v0, v5
	v_and_b32_e32 v45, v45, v4
	v_lshlrev_b32_e32 v5, 28, v44
	v_mov_b32_e32 v4, v1
	v_cmp_gt_i64_e32 vcc, 0, v[4:5]
	v_not_b32_e32 v4, v5
	v_ashrrev_i32_e32 v4, 31, v4
	;; [unrolled: 9-line block ×5, first 2 shown]
	v_xor_b32_e32 v5, vcc_hi, v4
	v_xor_b32_e32 v4, vcc_lo, v4
	v_and_b32_e32 v0, v0, v5
	v_lshlrev_b32_e32 v5, 24, v44
	v_and_b32_e32 v45, v45, v4
	v_mov_b32_e32 v4, v1
	v_not_b32_e32 v1, v5
	v_cmp_gt_i64_e32 vcc, 0, v[4:5]
	v_ashrrev_i32_e32 v1, 31, v1
	s_nop 0
	v_xor_b32_e32 v4, vcc_hi, v1
	v_xor_b32_e32 v5, vcc_lo, v1
	v_and_b32_e32 v1, v0, v4
	v_and_b32_e32 v0, v45, v5
	v_mbcnt_lo_u32_b32 v4, v0, 0
	v_mbcnt_hi_u32_b32 v44, v1, v4
	v_cmp_eq_u32_e32 vcc, 0, v44
	v_cmp_ne_u64_e64 s[0:1], 0, v[0:1]
	s_and_b64 s[4:5], s[0:1], vcc
	; wave barrier
	s_and_saveexec_b64 s[0:1], s[4:5]
	s_cbranch_execz .LBB199_169
; %bb.168:
	v_bcnt_u32_b32 v0, v0, 0
	v_bcnt_u32_b32 v0, v1, v0
	s_waitcnt lgkmcnt(0)
	v_add_u32_e32 v0, v42, v0
	ds_write_b32 v43, v0 offset:16
.LBB199_169:
	s_or_b64 exec, exec, s[0:1]
	v_mov_b32_e32 v48, 0xffff8000
	s_waitcnt vmcnt(3)
	v_cmp_lt_i16_e32 vcc, -1, v35
	s_movk_i32 s4, 0x7fff
	v_mov_b32_e32 v1, 0
	v_cndmask_b32_e32 v0, -1, v48, vcc
	v_xor_b32_e32 v35, v0, v35
	v_cmp_ne_u16_e32 vcc, s4, v35
	; wave barrier
	s_nop 1
	v_cndmask_b32_e32 v0, v48, v35, vcc
	v_lshrrev_b32_sdwa v0, s68, v0 dst_sel:DWORD dst_unused:UNUSED_PAD src0_sel:DWORD src1_sel:WORD_0
	v_and_b32_e32 v47, s11, v0
	v_and_b32_e32 v0, 1, v47
	v_lshl_add_u64 v[4:5], v[0:1], 0, -1
	v_cmp_ne_u32_e32 vcc, 0, v0
	v_mad_u32_u24 v46, v47, 20, v20
	ds_read_b32 v45, v46 offset:16
	v_xor_b32_e32 v4, vcc_lo, v4
	v_xor_b32_e32 v0, vcc_hi, v5
	v_and_b32_e32 v49, exec_lo, v4
	v_lshlrev_b32_e32 v5, 30, v47
	v_mov_b32_e32 v4, v1
	v_cmp_gt_i64_e32 vcc, 0, v[4:5]
	v_not_b32_e32 v4, v5
	v_ashrrev_i32_e32 v4, 31, v4
	v_and_b32_e32 v0, exec_hi, v0
	v_xor_b32_e32 v5, vcc_hi, v4
	v_xor_b32_e32 v4, vcc_lo, v4
	v_and_b32_e32 v0, v0, v5
	v_and_b32_e32 v49, v49, v4
	v_lshlrev_b32_e32 v5, 29, v47
	v_mov_b32_e32 v4, v1
	v_cmp_gt_i64_e32 vcc, 0, v[4:5]
	v_not_b32_e32 v4, v5
	v_ashrrev_i32_e32 v4, 31, v4
	v_xor_b32_e32 v5, vcc_hi, v4
	v_xor_b32_e32 v4, vcc_lo, v4
	v_and_b32_e32 v0, v0, v5
	v_and_b32_e32 v49, v49, v4
	v_lshlrev_b32_e32 v5, 28, v47
	v_mov_b32_e32 v4, v1
	v_cmp_gt_i64_e32 vcc, 0, v[4:5]
	v_not_b32_e32 v4, v5
	v_ashrrev_i32_e32 v4, 31, v4
	v_xor_b32_e32 v5, vcc_hi, v4
	v_xor_b32_e32 v4, vcc_lo, v4
	v_and_b32_e32 v0, v0, v5
	v_and_b32_e32 v49, v49, v4
	v_lshlrev_b32_e32 v5, 27, v47
	v_mov_b32_e32 v4, v1
	v_cmp_gt_i64_e32 vcc, 0, v[4:5]
	v_not_b32_e32 v4, v5
	v_ashrrev_i32_e32 v4, 31, v4
	v_xor_b32_e32 v5, vcc_hi, v4
	v_xor_b32_e32 v4, vcc_lo, v4
	v_and_b32_e32 v0, v0, v5
	v_and_b32_e32 v49, v49, v4
	v_lshlrev_b32_e32 v5, 26, v47
	v_mov_b32_e32 v4, v1
	v_cmp_gt_i64_e32 vcc, 0, v[4:5]
	v_not_b32_e32 v4, v5
	v_ashrrev_i32_e32 v4, 31, v4
	v_xor_b32_e32 v5, vcc_hi, v4
	v_xor_b32_e32 v4, vcc_lo, v4
	v_and_b32_e32 v0, v0, v5
	v_and_b32_e32 v49, v49, v4
	v_lshlrev_b32_e32 v5, 25, v47
	v_mov_b32_e32 v4, v1
	v_cmp_gt_i64_e32 vcc, 0, v[4:5]
	v_not_b32_e32 v4, v5
	v_ashrrev_i32_e32 v4, 31, v4
	v_xor_b32_e32 v5, vcc_hi, v4
	v_xor_b32_e32 v4, vcc_lo, v4
	v_and_b32_e32 v0, v0, v5
	v_and_b32_e32 v49, v49, v4
	v_lshlrev_b32_e32 v5, 24, v47
	v_mov_b32_e32 v4, v1
	v_cmp_gt_i64_e32 vcc, 0, v[4:5]
	v_not_b32_e32 v4, v5
	v_ashrrev_i32_e32 v4, 31, v4
	v_xor_b32_e32 v5, vcc_hi, v4
	v_xor_b32_e32 v4, vcc_lo, v4
	v_and_b32_e32 v4, v49, v4
	v_and_b32_e32 v5, v0, v5
	v_mbcnt_lo_u32_b32 v0, v4, 0
	v_mbcnt_hi_u32_b32 v47, v5, v0
	v_cmp_eq_u32_e32 vcc, 0, v47
	v_cmp_ne_u64_e64 s[0:1], 0, v[4:5]
	s_and_b64 s[6:7], s[0:1], vcc
	; wave barrier
	s_and_saveexec_b64 s[0:1], s[6:7]
	s_cbranch_execz .LBB199_171
; %bb.170:
	v_bcnt_u32_b32 v0, v4, 0
	v_bcnt_u32_b32 v0, v5, v0
	s_waitcnt lgkmcnt(0)
	v_add_u32_e32 v0, v45, v0
	ds_write_b32 v46, v0 offset:16
.LBB199_171:
	s_or_b64 exec, exec, s[0:1]
	s_waitcnt vmcnt(2)
	v_cmp_lt_i16_e32 vcc, -1, v30
	; wave barrier
	s_nop 1
	v_cndmask_b32_e32 v0, -1, v48, vcc
	v_xor_b32_e32 v30, v0, v30
	v_cmp_ne_u16_e32 vcc, s4, v30
	s_nop 1
	v_cndmask_b32_e32 v0, v48, v30, vcc
	v_lshrrev_b32_sdwa v0, s68, v0 dst_sel:DWORD dst_unused:UNUSED_PAD src0_sel:DWORD src1_sel:WORD_0
	v_and_b32_e32 v50, s11, v0
	v_and_b32_e32 v0, 1, v50
	v_lshl_add_u64 v[4:5], v[0:1], 0, -1
	v_cmp_ne_u32_e32 vcc, 0, v0
	v_mad_u32_u24 v49, v50, 20, v20
	ds_read_b32 v48, v49 offset:16
	v_xor_b32_e32 v4, vcc_lo, v4
	v_xor_b32_e32 v0, vcc_hi, v5
	v_and_b32_e32 v51, exec_lo, v4
	v_lshlrev_b32_e32 v5, 30, v50
	v_mov_b32_e32 v4, v1
	v_cmp_gt_i64_e32 vcc, 0, v[4:5]
	v_not_b32_e32 v4, v5
	v_ashrrev_i32_e32 v4, 31, v4
	v_and_b32_e32 v0, exec_hi, v0
	v_xor_b32_e32 v5, vcc_hi, v4
	v_xor_b32_e32 v4, vcc_lo, v4
	v_and_b32_e32 v0, v0, v5
	v_and_b32_e32 v51, v51, v4
	v_lshlrev_b32_e32 v5, 29, v50
	v_mov_b32_e32 v4, v1
	v_cmp_gt_i64_e32 vcc, 0, v[4:5]
	v_not_b32_e32 v4, v5
	v_ashrrev_i32_e32 v4, 31, v4
	v_xor_b32_e32 v5, vcc_hi, v4
	v_xor_b32_e32 v4, vcc_lo, v4
	v_and_b32_e32 v0, v0, v5
	v_and_b32_e32 v51, v51, v4
	v_lshlrev_b32_e32 v5, 28, v50
	v_mov_b32_e32 v4, v1
	v_cmp_gt_i64_e32 vcc, 0, v[4:5]
	v_not_b32_e32 v4, v5
	v_ashrrev_i32_e32 v4, 31, v4
	;; [unrolled: 9-line block ×5, first 2 shown]
	v_xor_b32_e32 v5, vcc_hi, v4
	v_xor_b32_e32 v4, vcc_lo, v4
	v_and_b32_e32 v0, v0, v5
	v_lshlrev_b32_e32 v5, 24, v50
	v_and_b32_e32 v51, v51, v4
	v_mov_b32_e32 v4, v1
	v_not_b32_e32 v1, v5
	v_cmp_gt_i64_e32 vcc, 0, v[4:5]
	v_ashrrev_i32_e32 v1, 31, v1
	s_nop 0
	v_xor_b32_e32 v4, vcc_hi, v1
	v_xor_b32_e32 v5, vcc_lo, v1
	v_and_b32_e32 v1, v0, v4
	v_and_b32_e32 v0, v51, v5
	v_mbcnt_lo_u32_b32 v4, v0, 0
	v_mbcnt_hi_u32_b32 v51, v1, v4
	v_cmp_eq_u32_e32 vcc, 0, v51
	v_cmp_ne_u64_e64 s[0:1], 0, v[0:1]
	s_and_b64 s[4:5], s[0:1], vcc
	; wave barrier
	s_and_saveexec_b64 s[0:1], s[4:5]
	s_cbranch_execz .LBB199_173
; %bb.172:
	v_bcnt_u32_b32 v0, v0, 0
	v_bcnt_u32_b32 v0, v1, v0
	s_waitcnt lgkmcnt(0)
	v_add_u32_e32 v0, v48, v0
	ds_write_b32 v49, v0 offset:16
.LBB199_173:
	s_or_b64 exec, exec, s[0:1]
	v_mov_b32_e32 v55, 0xffff8000
	s_waitcnt vmcnt(1)
	v_cmp_lt_i16_e32 vcc, -1, v25
	s_movk_i32 s4, 0x7fff
	v_mov_b32_e32 v1, 0
	v_cndmask_b32_e32 v0, -1, v55, vcc
	v_xor_b32_e32 v50, v0, v25
	v_cmp_ne_u16_e32 vcc, s4, v50
	; wave barrier
	s_nop 1
	v_cndmask_b32_e32 v0, v55, v50, vcc
	v_lshrrev_b32_sdwa v0, s68, v0 dst_sel:DWORD dst_unused:UNUSED_PAD src0_sel:DWORD src1_sel:WORD_0
	v_and_b32_e32 v53, s11, v0
	v_and_b32_e32 v0, 1, v53
	v_lshl_add_u64 v[4:5], v[0:1], 0, -1
	v_cmp_ne_u32_e32 vcc, 0, v0
	v_mad_u32_u24 v25, v53, 20, v20
	ds_read_b32 v52, v25 offset:16
	v_xor_b32_e32 v4, vcc_lo, v4
	v_xor_b32_e32 v0, vcc_hi, v5
	v_and_b32_e32 v54, exec_lo, v4
	v_lshlrev_b32_e32 v5, 30, v53
	v_mov_b32_e32 v4, v1
	v_cmp_gt_i64_e32 vcc, 0, v[4:5]
	v_not_b32_e32 v4, v5
	v_ashrrev_i32_e32 v4, 31, v4
	v_and_b32_e32 v0, exec_hi, v0
	v_xor_b32_e32 v5, vcc_hi, v4
	v_xor_b32_e32 v4, vcc_lo, v4
	v_and_b32_e32 v0, v0, v5
	v_and_b32_e32 v54, v54, v4
	v_lshlrev_b32_e32 v5, 29, v53
	v_mov_b32_e32 v4, v1
	v_cmp_gt_i64_e32 vcc, 0, v[4:5]
	v_not_b32_e32 v4, v5
	v_ashrrev_i32_e32 v4, 31, v4
	v_xor_b32_e32 v5, vcc_hi, v4
	v_xor_b32_e32 v4, vcc_lo, v4
	v_and_b32_e32 v0, v0, v5
	v_and_b32_e32 v54, v54, v4
	v_lshlrev_b32_e32 v5, 28, v53
	v_mov_b32_e32 v4, v1
	v_cmp_gt_i64_e32 vcc, 0, v[4:5]
	v_not_b32_e32 v4, v5
	v_ashrrev_i32_e32 v4, 31, v4
	;; [unrolled: 9-line block ×6, first 2 shown]
	v_xor_b32_e32 v5, vcc_hi, v4
	v_xor_b32_e32 v4, vcc_lo, v4
	v_and_b32_e32 v4, v54, v4
	v_and_b32_e32 v5, v0, v5
	v_mbcnt_lo_u32_b32 v0, v4, 0
	v_mbcnt_hi_u32_b32 v54, v5, v0
	v_cmp_eq_u32_e32 vcc, 0, v54
	v_cmp_ne_u64_e64 s[0:1], 0, v[4:5]
	s_and_b64 s[6:7], s[0:1], vcc
	; wave barrier
	s_and_saveexec_b64 s[0:1], s[6:7]
	s_cbranch_execz .LBB199_175
; %bb.174:
	v_bcnt_u32_b32 v0, v4, 0
	v_bcnt_u32_b32 v0, v5, v0
	s_waitcnt lgkmcnt(0)
	v_add_u32_e32 v0, v52, v0
	ds_write_b32 v25, v0 offset:16
.LBB199_175:
	s_or_b64 exec, exec, s[0:1]
	s_waitcnt vmcnt(0)
	v_cmp_lt_i16_e32 vcc, -1, v19
	; wave barrier
	s_nop 1
	v_cndmask_b32_e32 v0, -1, v55, vcc
	v_xor_b32_e32 v53, v0, v19
	v_cmp_ne_u16_e32 vcc, s4, v53
	s_nop 1
	v_cndmask_b32_e32 v0, v55, v53, vcc
	v_lshrrev_b32_sdwa v0, s68, v0 dst_sel:DWORD dst_unused:UNUSED_PAD src0_sel:DWORD src1_sel:WORD_0
	v_and_b32_e32 v56, s11, v0
	v_and_b32_e32 v0, 1, v56
	v_lshl_add_u64 v[4:5], v[0:1], 0, -1
	v_cmp_ne_u32_e32 vcc, 0, v0
	v_mad_u32_u24 v19, v56, 20, v20
	ds_read_b32 v55, v19 offset:16
	v_xor_b32_e32 v4, vcc_lo, v4
	v_xor_b32_e32 v0, vcc_hi, v5
	v_and_b32_e32 v20, exec_lo, v4
	v_lshlrev_b32_e32 v5, 30, v56
	v_mov_b32_e32 v4, v1
	v_cmp_gt_i64_e32 vcc, 0, v[4:5]
	v_not_b32_e32 v4, v5
	v_ashrrev_i32_e32 v4, 31, v4
	v_and_b32_e32 v0, exec_hi, v0
	v_xor_b32_e32 v5, vcc_hi, v4
	v_xor_b32_e32 v4, vcc_lo, v4
	v_and_b32_e32 v0, v0, v5
	v_and_b32_e32 v20, v20, v4
	v_lshlrev_b32_e32 v5, 29, v56
	v_mov_b32_e32 v4, v1
	v_cmp_gt_i64_e32 vcc, 0, v[4:5]
	v_not_b32_e32 v4, v5
	v_ashrrev_i32_e32 v4, 31, v4
	v_xor_b32_e32 v5, vcc_hi, v4
	v_xor_b32_e32 v4, vcc_lo, v4
	v_and_b32_e32 v0, v0, v5
	v_and_b32_e32 v20, v20, v4
	v_lshlrev_b32_e32 v5, 28, v56
	v_mov_b32_e32 v4, v1
	v_cmp_gt_i64_e32 vcc, 0, v[4:5]
	v_not_b32_e32 v4, v5
	v_ashrrev_i32_e32 v4, 31, v4
	;; [unrolled: 9-line block ×5, first 2 shown]
	v_xor_b32_e32 v5, vcc_hi, v4
	v_xor_b32_e32 v4, vcc_lo, v4
	v_and_b32_e32 v0, v0, v5
	v_lshlrev_b32_e32 v5, 24, v56
	v_and_b32_e32 v20, v20, v4
	v_mov_b32_e32 v4, v1
	v_not_b32_e32 v1, v5
	v_cmp_gt_i64_e32 vcc, 0, v[4:5]
	v_ashrrev_i32_e32 v1, 31, v1
	s_nop 0
	v_xor_b32_e32 v4, vcc_hi, v1
	v_xor_b32_e32 v5, vcc_lo, v1
	v_and_b32_e32 v1, v0, v4
	v_and_b32_e32 v0, v20, v5
	v_mbcnt_lo_u32_b32 v4, v0, 0
	v_mbcnt_hi_u32_b32 v56, v1, v4
	v_cmp_eq_u32_e32 vcc, 0, v56
	v_cmp_ne_u64_e64 s[0:1], 0, v[0:1]
	s_and_b64 s[4:5], s[0:1], vcc
	; wave barrier
	s_and_saveexec_b64 s[0:1], s[4:5]
	s_cbranch_execz .LBB199_177
; %bb.176:
	v_bcnt_u32_b32 v0, v0, 0
	v_bcnt_u32_b32 v0, v1, v0
	s_waitcnt lgkmcnt(0)
	v_add_u32_e32 v0, v55, v0
	ds_write_b32 v19, v0 offset:16
.LBB199_177:
	s_or_b64 exec, exec, s[0:1]
	; wave barrier
	s_waitcnt lgkmcnt(0)
	s_barrier
	ds_read2_b32 v[4:5], v6 offset0:4 offset1:5
	ds_read2_b32 v[0:1], v6 offset0:6 offset1:7
	ds_read_b32 v20, v6 offset:32
	v_min_u32_e32 v7, 0xc0, v7
	v_or_b32_e32 v7, 63, v7
	s_waitcnt lgkmcnt(1)
	v_add3_u32 v57, v5, v4, v0
	s_waitcnt lgkmcnt(0)
	v_add3_u32 v20, v57, v1, v20
	v_and_b32_e32 v57, 15, v12
	v_cmp_ne_u32_e32 vcc, 0, v57
	v_mov_b32_dpp v58, v20 row_shr:1 row_mask:0xf bank_mask:0xf
	s_nop 0
	v_cndmask_b32_e32 v58, 0, v58, vcc
	v_add_u32_e32 v20, v58, v20
	v_cmp_lt_u32_e32 vcc, 1, v57
	s_nop 0
	v_mov_b32_dpp v58, v20 row_shr:2 row_mask:0xf bank_mask:0xf
	v_cndmask_b32_e32 v58, 0, v58, vcc
	v_add_u32_e32 v20, v20, v58
	v_cmp_lt_u32_e32 vcc, 3, v57
	s_nop 0
	v_mov_b32_dpp v58, v20 row_shr:4 row_mask:0xf bank_mask:0xf
	;; [unrolled: 5-line block ×3, first 2 shown]
	v_cndmask_b32_e32 v57, 0, v58, vcc
	v_add_u32_e32 v20, v20, v57
	v_bfe_i32 v58, v12, 4, 1
	v_cmp_lt_u32_e32 vcc, 31, v12
	v_mov_b32_dpp v57, v20 row_bcast:15 row_mask:0xf bank_mask:0xf
	v_and_b32_e32 v57, v58, v57
	v_add_u32_e32 v20, v20, v57
	s_nop 1
	v_mov_b32_dpp v57, v20 row_bcast:31 row_mask:0xf bank_mask:0xf
	v_cndmask_b32_e32 v57, 0, v57, vcc
	v_add_u32_e32 v20, v20, v57
	v_lshrrev_b32_e32 v57, 6, v2
	v_cmp_eq_u32_e32 vcc, v2, v7
	s_and_saveexec_b64 s[0:1], vcc
; %bb.178:
	v_lshlrev_b32_e32 v7, 2, v57
	ds_write_b32 v7, v20
; %bb.179:
	s_or_b64 exec, exec, s[0:1]
	v_cmp_gt_u32_e32 vcc, 4, v2
	s_waitcnt lgkmcnt(0)
	s_barrier
	s_and_saveexec_b64 s[0:1], vcc
	s_cbranch_execz .LBB199_181
; %bb.180:
	v_lshlrev_b32_e32 v7, 2, v2
	ds_read_b32 v58, v7
	v_and_b32_e32 v59, 3, v12
	v_cmp_ne_u32_e32 vcc, 0, v59
	s_waitcnt lgkmcnt(0)
	v_mov_b32_dpp v60, v58 row_shr:1 row_mask:0xf bank_mask:0xf
	v_cndmask_b32_e32 v60, 0, v60, vcc
	v_add_u32_e32 v58, v60, v58
	v_cmp_lt_u32_e32 vcc, 1, v59
	s_nop 0
	v_mov_b32_dpp v60, v58 row_shr:2 row_mask:0xf bank_mask:0xf
	v_cndmask_b32_e32 v59, 0, v60, vcc
	v_add_u32_e32 v58, v58, v59
	ds_write_b32 v7, v58
.LBB199_181:
	s_or_b64 exec, exec, s[0:1]
	v_cmp_lt_u32_e32 vcc, 63, v2
	v_mov_b32_e32 v7, 0
	s_waitcnt lgkmcnt(0)
	s_barrier
	s_and_saveexec_b64 s[0:1], vcc
; %bb.182:
	v_lshl_add_u32 v7, v57, 2, -4
	ds_read_b32 v7, v7
; %bb.183:
	s_or_b64 exec, exec, s[0:1]
	v_add_u32_e32 v57, -1, v12
	v_and_b32_e32 v58, 64, v12
	v_cmp_lt_i32_e32 vcc, v57, v58
	s_waitcnt lgkmcnt(0)
	v_add_u32_e32 v20, v7, v20
	s_movk_i32 s0, 0x100
	v_cndmask_b32_e32 v57, v57, v12, vcc
	v_lshlrev_b32_e32 v57, 2, v57
	ds_bpermute_b32 v20, v57, v20
	v_cmp_eq_u32_e32 vcc, 0, v12
	s_waitcnt lgkmcnt(0)
	s_nop 0
	v_cndmask_b32_e32 v7, v20, v7, vcc
	v_cmp_ne_u32_e32 vcc, 0, v2
	s_nop 1
	v_cndmask_b32_e32 v7, 0, v7, vcc
	v_add_u32_e32 v4, v7, v4
	v_add_u32_e32 v5, v4, v5
	v_add_u32_e32 v0, v5, v0
	v_add_u32_e32 v1, v0, v1
	ds_write2_b32 v6, v7, v4 offset0:4 offset1:5
	ds_write2_b32 v6, v5, v0 offset0:6 offset1:7
	ds_write_b32 v6, v1 offset:32
	s_waitcnt lgkmcnt(0)
	s_barrier
	ds_read_b32 v4, v43 offset:16
	ds_read_b32 v5, v46 offset:16
	;; [unrolled: 1-line block ×13, first 2 shown]
	v_add_u32_e32 v6, 1, v2
	v_cmp_ne_u32_e32 vcc, s0, v6
	v_mov_b32_e32 v1, 0xc00
	s_and_saveexec_b64 s[0:1], vcc
; %bb.184:
	v_mul_u32_u24_e32 v1, 20, v6
	ds_read_b32 v1, v1 offset:16
; %bb.185:
	s_or_b64 exec, exec, s[0:1]
	s_waitcnt lgkmcnt(7)
	v_add_u32_e32 v29, v9, v10
	s_waitcnt lgkmcnt(6)
	v_add3_u32 v25, v15, v13, v14
	s_waitcnt lgkmcnt(5)
	v_add3_u32 v24, v22, v17, v18
	v_add3_u32 v17, v44, v42, v4
	v_lshlrev_b32_e32 v4, 1, v29
	s_waitcnt lgkmcnt(0)
	s_barrier
	ds_write_b16 v4, v8 offset:2048
	v_lshlrev_b32_e32 v4, 1, v25
	v_add3_u32 v22, v27, v23, v19
	ds_write_b16 v4, v11 offset:2048
	v_lshlrev_b32_e32 v4, 1, v24
	v_add3_u32 v20, v32, v28, v20
	;; [unrolled: 3-line block ×4, first 2 shown]
	ds_write_b16 v4, v26 offset:2048
	v_lshlrev_b32_e32 v4, 1, v19
	ds_write_b16 v4, v31 offset:2048
	v_lshlrev_b32_e32 v4, 1, v18
	v_add3_u32 v15, v47, v45, v5
	ds_write_b16 v4, v36 offset:2048
	v_lshlrev_b32_e32 v4, 1, v17
	v_add3_u32 v14, v51, v48, v7
	;; [unrolled: 3-line block ×4, first 2 shown]
	ds_write_b16 v4, v30 offset:2048
	v_lshlrev_b32_e32 v4, 1, v13
	ds_write_b16 v4, v50 offset:2048
	v_lshlrev_b32_e32 v4, 1, v5
	ds_write_b16 v4, v53 offset:2048
	v_sub_u32_e32 v4, v1, v0
	v_lshl_add_u32 v6, s2, 8, v2
	v_mov_b32_e32 v7, 0
	v_lshl_add_u64 v[8:9], v[6:7], 2, s[72:73]
	v_or_b32_e32 v1, 2.0, v4
	s_mov_b64 s[0:1], 0
	s_brev_b32 s8, -4
	v_mov_b32_e32 v16, 0
	s_waitcnt lgkmcnt(0)
	s_barrier
	global_store_dword v[8:9], v1, off sc1
                                        ; implicit-def: $sgpr4_sgpr5
	s_branch .LBB199_188
.LBB199_186:                            ;   in Loop: Header=BB199_188 Depth=1
	s_or_b64 exec, exec, s[6:7]
.LBB199_187:                            ;   in Loop: Header=BB199_188 Depth=1
	s_or_b64 exec, exec, s[4:5]
	v_and_b32_e32 v6, 0x3fffffff, v1
	v_add_u32_e32 v16, v6, v16
	v_cmp_gt_i32_e64 s[4:5], -2.0, v1
	s_and_b64 s[6:7], exec, s[4:5]
	s_or_b64 s[0:1], s[6:7], s[0:1]
	s_andn2_b64 exec, exec, s[0:1]
	s_cbranch_execz .LBB199_193
.LBB199_188:                            ; =>This Loop Header: Depth=1
                                        ;     Child Loop BB199_191 Depth 2
	s_or_b64 s[4:5], s[4:5], exec
	s_cmp_eq_u32 s3, 0
	s_cbranch_scc1 .LBB199_192
; %bb.189:                              ;   in Loop: Header=BB199_188 Depth=1
	s_add_i32 s3, s3, -1
	v_lshl_add_u32 v6, s3, 8, v2
	v_lshl_add_u64 v[10:11], v[6:7], 2, s[72:73]
	global_load_dword v1, v[10:11], off sc1
	s_waitcnt vmcnt(0)
	v_cmp_gt_u32_e32 vcc, 2.0, v1
	s_and_saveexec_b64 s[4:5], vcc
	s_cbranch_execz .LBB199_187
; %bb.190:                              ;   in Loop: Header=BB199_188 Depth=1
	s_mov_b64 s[6:7], 0
.LBB199_191:                            ;   Parent Loop BB199_188 Depth=1
                                        ; =>  This Inner Loop Header: Depth=2
	global_load_dword v1, v[10:11], off sc1
	s_waitcnt vmcnt(0)
	v_cmp_lt_u32_e32 vcc, s8, v1
	s_or_b64 s[6:7], vcc, s[6:7]
	s_andn2_b64 exec, exec, s[6:7]
	s_cbranch_execnz .LBB199_191
	s_branch .LBB199_186
.LBB199_192:                            ;   in Loop: Header=BB199_188 Depth=1
                                        ; implicit-def: $sgpr3
	s_and_b64 s[6:7], exec, s[4:5]
	s_or_b64 s[0:1], s[6:7], s[0:1]
	s_andn2_b64 exec, exec, s[0:1]
	s_cbranch_execnz .LBB199_188
.LBB199_193:
	s_or_b64 exec, exec, s[0:1]
	v_add_u32_e32 v1, v16, v4
	v_or_b32_e32 v1, 0x80000000, v1
	v_lshlrev_b32_e32 v6, 3, v2
	global_store_dword v[8:9], v1, off sc1
	global_load_dwordx2 v[8:9], v6, s[64:65]
	v_sub_co_u32_e32 v10, vcc, v16, v0
	v_mad_i32_i24 v16, v2, -6, v6
	s_nop 0
	v_subb_co_u32_e64 v11, s[0:1], 0, 0, vcc
	s_movk_i32 s0, 0x7fff
	v_mov_b32_e32 v7, 0xffff8000
	v_mov_b32_e32 v1, 0
	v_lshlrev_b32_e32 v26, 1, v2
	v_mov_b32_e32 v27, v1
	v_add_u32_e32 v61, 0xa00, v2
	v_add_u32_e32 v62, 0xb00, v2
	s_waitcnt vmcnt(0)
	v_lshl_add_u64 v[8:9], v[10:11], 0, v[8:9]
	ds_write_b64 v6, v[8:9]
	s_waitcnt lgkmcnt(0)
	s_barrier
	ds_read_u16 v8, v16 offset:2048
	ds_read_u16 v9, v16 offset:2560
	;; [unrolled: 1-line block ×8, first 2 shown]
	s_waitcnt lgkmcnt(7)
	v_cmp_ne_u16_e32 vcc, s0, v8
	s_nop 1
	v_cndmask_b32_e32 v30, v7, v8, vcc
	v_cmp_lt_i16_e32 vcc, -1, v8
	v_lshrrev_b32_sdwa v30, s68, v30 dst_sel:DWORD dst_unused:UNUSED_PAD src0_sel:DWORD src1_sel:WORD_0
	v_and_b32_e32 v30, s11, v30
	v_cndmask_b32_e64 v31, v7, -1, vcc
	s_waitcnt lgkmcnt(6)
	v_cmp_ne_u16_e32 vcc, s0, v9
	v_xor_b32_e32 v43, v31, v8
	v_lshlrev_b32_e32 v50, 3, v30
	v_cndmask_b32_e32 v32, v7, v9, vcc
	v_cmp_lt_i16_e32 vcc, -1, v9
	v_lshrrev_b32_sdwa v8, s68, v32 dst_sel:DWORD dst_unused:UNUSED_PAD src0_sel:DWORD src1_sel:WORD_0
	v_and_b32_e32 v8, s11, v8
	v_cndmask_b32_e64 v33, v7, -1, vcc
	s_waitcnt lgkmcnt(5)
	v_cmp_ne_u16_e32 vcc, s0, v10
	v_xor_b32_e32 v44, v33, v9
	v_lshlrev_b32_e32 v51, 3, v8
	v_cndmask_b32_e32 v34, v7, v10, vcc
	v_cmp_lt_i16_e32 vcc, -1, v10
	v_lshrrev_b32_sdwa v9, s68, v34 dst_sel:DWORD dst_unused:UNUSED_PAD src0_sel:DWORD src1_sel:WORD_0
	v_and_b32_e32 v9, s11, v9
	v_cndmask_b32_e64 v35, v7, -1, vcc
	s_waitcnt lgkmcnt(4)
	v_cmp_ne_u16_e32 vcc, s0, v11
	v_xor_b32_e32 v45, v35, v10
	v_lshlrev_b32_e32 v52, 3, v9
	v_cndmask_b32_e32 v36, v7, v11, vcc
	v_cmp_lt_i16_e32 vcc, -1, v11
	v_lshrrev_b32_sdwa v10, s68, v36 dst_sel:DWORD dst_unused:UNUSED_PAD src0_sel:DWORD src1_sel:WORD_0
	v_and_b32_e32 v10, s11, v10
	v_cndmask_b32_e64 v37, v7, -1, vcc
	s_waitcnt lgkmcnt(3)
	v_cmp_ne_u16_e32 vcc, s0, v21
	v_xor_b32_e32 v46, v37, v11
	v_lshlrev_b32_e32 v53, 3, v10
	v_cndmask_b32_e32 v39, v7, v21, vcc
	v_cmp_lt_i16_e32 vcc, -1, v21
	v_lshrrev_b32_sdwa v11, s68, v39 dst_sel:DWORD dst_unused:UNUSED_PAD src0_sel:DWORD src1_sel:WORD_0
	v_and_b32_e32 v11, s11, v11
	v_cndmask_b32_e64 v40, v7, -1, vcc
	s_waitcnt lgkmcnt(2)
	v_cmp_ne_u16_e32 vcc, s0, v23
	v_xor_b32_e32 v21, v40, v21
	v_lshlrev_b32_e32 v54, 3, v11
	v_cndmask_b32_e32 v41, v7, v23, vcc
	v_cmp_lt_i16_e32 vcc, -1, v23
	v_lshrrev_b32_sdwa v31, s68, v41 dst_sel:DWORD dst_unused:UNUSED_PAD src0_sel:DWORD src1_sel:WORD_0
	v_and_b32_e32 v31, s11, v31
	v_cndmask_b32_e64 v42, v7, -1, vcc
	v_xor_b32_e32 v23, v42, v23
	v_lshlrev_b32_e32 v55, 3, v31
	ds_read_b64 v[8:9], v51
	ds_read_b64 v[10:11], v52
	;; [unrolled: 1-line block ×6, first 2 shown]
	ds_read_u16 v39, v16 offset:6144
	ds_read_u16 v40, v16 offset:6656
	;; [unrolled: 1-line block ×4, first 2 shown]
	s_waitcnt lgkmcnt(4)
	v_lshl_add_u64 v[36:37], v[36:37], 1, s[58:59]
	v_lshl_add_u64 v[8:9], v[8:9], 1, s[58:59]
	;; [unrolled: 1-line block ×7, first 2 shown]
	v_cmp_ne_u16_e32 vcc, s0, v28
	v_lshl_add_u64 v[10:11], v[10:11], 0, v[26:27]
	v_lshl_add_u64 v[30:31], v[30:31], 0, v[26:27]
	;; [unrolled: 1-line block ×3, first 2 shown]
	global_store_short v[36:37], v43, off
	global_store_short v[8:9], v44, off offset:512
	global_store_short v[10:11], v45, off offset:1024
	;; [unrolled: 1-line block ×4, first 2 shown]
	v_cndmask_b32_e32 v8, v7, v28, vcc
	v_lshrrev_b32_sdwa v8, s68, v8 dst_sel:DWORD dst_unused:UNUSED_PAD src0_sel:DWORD src1_sel:WORD_0
	v_and_b32_e32 v8, s11, v8
	v_cmp_ne_u16_e32 vcc, s0, v38
	v_lshlrev_b32_e32 v21, 3, v8
	v_lshl_add_u64 v[32:33], v[34:35], 1, s[58:59]
	v_cndmask_b32_e32 v8, v7, v38, vcc
	v_lshrrev_b32_sdwa v8, s68, v8 dst_sel:DWORD dst_unused:UNUSED_PAD src0_sel:DWORD src1_sel:WORD_0
	v_and_b32_e32 v8, s11, v8
	s_waitcnt lgkmcnt(3)
	v_cmp_ne_u16_e32 vcc, s0, v39
	v_lshlrev_b32_e32 v56, 3, v8
	v_lshl_add_u64 v[32:33], v[32:33], 0, v[26:27]
	v_cndmask_b32_e32 v8, v7, v39, vcc
	v_lshrrev_b32_sdwa v8, s68, v8 dst_sel:DWORD dst_unused:UNUSED_PAD src0_sel:DWORD src1_sel:WORD_0
	v_and_b32_e32 v8, s11, v8
	v_lshlrev_b32_e32 v57, 3, v8
	ds_read_b64 v[8:9], v21
	ds_read_b64 v[10:11], v56
	;; [unrolled: 1-line block ×3, first 2 shown]
	v_cmp_lt_i16_e32 vcc, -1, v28
	global_store_short v[32:33], v23, off offset:2560
	s_waitcnt lgkmcnt(2)
	v_lshl_add_u64 v[8:9], v[8:9], 1, s[58:59]
	v_cndmask_b32_e64 v23, v7, -1, vcc
	v_xor_b32_e32 v23, v23, v28
	v_lshl_add_u64 v[8:9], v[8:9], 0, v[26:27]
	v_cmp_lt_i16_e32 vcc, -1, v38
	global_store_short v[8:9], v23, off offset:3072
	v_add_u32_e32 v28, 0x900, v2
	v_cndmask_b32_e64 v8, v7, -1, vcc
	v_xor_b32_e32 v23, v8, v38
	s_waitcnt lgkmcnt(1)
	v_lshl_add_u64 v[8:9], v[10:11], 1, s[58:59]
	v_lshl_add_u64 v[8:9], v[8:9], 0, v[26:27]
	v_cmp_lt_i16_e32 vcc, -1, v39
	global_store_short v[8:9], v23, off offset:3584
	v_or_b32_e32 v23, 0x800, v2
	v_cndmask_b32_e64 v8, v7, -1, vcc
	v_xor_b32_e32 v26, v8, v39
	s_waitcnt lgkmcnt(0)
	v_lshl_add_u64 v[8:9], v[30:31], 1, s[58:59]
	v_lshlrev_b32_e32 v10, 1, v23
	v_mov_b32_e32 v11, v1
	v_lshl_add_u64 v[8:9], v[8:9], 0, v[10:11]
	v_cmp_ne_u16_e32 vcc, s0, v40
	global_store_short v[8:9], v26, off
	v_lshlrev_b32_e32 v30, 1, v28
	v_cndmask_b32_e32 v8, v7, v40, vcc
	v_cmp_lt_i16_e32 vcc, -1, v40
	v_lshrrev_b32_sdwa v8, s68, v8 dst_sel:DWORD dst_unused:UNUSED_PAD src0_sel:DWORD src1_sel:WORD_0
	v_and_b32_e32 v8, s11, v8
	v_cndmask_b32_e64 v9, v7, -1, vcc
	v_cmp_ne_u16_e32 vcc, s0, v41
	v_lshlrev_b32_e32 v58, 3, v8
	v_xor_b32_e32 v32, v9, v40
	v_cndmask_b32_e32 v10, v7, v41, vcc
	v_lshrrev_b32_sdwa v10, s68, v10 dst_sel:DWORD dst_unused:UNUSED_PAD src0_sel:DWORD src1_sel:WORD_0
	ds_read_b64 v[8:9], v58
	v_and_b32_e32 v10, s11, v10
	v_cmp_ne_u16_e32 vcc, s0, v42
	v_lshlrev_b32_e32 v59, 3, v10
	v_mov_b32_e32 v31, v1
	v_cndmask_b32_e32 v10, v7, v42, vcc
	v_lshrrev_b32_sdwa v10, s68, v10 dst_sel:DWORD dst_unused:UNUSED_PAD src0_sel:DWORD src1_sel:WORD_0
	v_and_b32_e32 v10, s11, v10
	v_lshlrev_b32_e32 v60, 3, v10
	ds_read_b64 v[10:11], v59
	ds_read_b64 v[26:27], v60
	s_waitcnt lgkmcnt(2)
	v_lshl_add_u64 v[8:9], v[8:9], 1, s[58:59]
	v_lshl_add_u64 v[8:9], v[8:9], 0, v[30:31]
	v_cmp_lt_i16_e32 vcc, -1, v41
	global_store_short v[8:9], v32, off
	s_lshl_b64 s[0:1], s[54:55], 3
	v_cndmask_b32_e64 v8, v7, -1, vcc
	v_xor_b32_e32 v30, v8, v41
	s_waitcnt lgkmcnt(1)
	v_lshl_add_u64 v[8:9], v[10:11], 1, s[58:59]
	v_lshlrev_b32_e32 v10, 1, v61
	v_mov_b32_e32 v11, v1
	v_lshl_add_u64 v[8:9], v[8:9], 0, v[10:11]
	v_cmp_lt_i16_e32 vcc, -1, v42
	global_store_short v[8:9], v30, off
	s_waitcnt lgkmcnt(0)
	v_lshl_add_u64 v[8:9], v[26:27], 1, s[58:59]
	v_cndmask_b32_e64 v7, v7, -1, vcc
	v_lshlrev_b32_e32 v10, 1, v62
	v_xor_b32_e32 v7, v7, v42
	v_lshl_add_u64 v[8:9], v[8:9], 0, v[10:11]
	s_add_u32 s0, s60, s0
	global_store_short v[8:9], v7, off
	s_addc_u32 s1, s61, s1
	v_lshlrev_b32_e32 v8, 3, v12
	v_mov_b32_e32 v9, v1
	v_lshl_add_u64 v[8:9], s[0:1], 0, v[8:9]
	v_lshlrev_b32_e32 v10, 3, v3
	v_lshl_add_u64 v[8:9], v[8:9], 0, v[10:11]
	global_load_dwordx2 v[10:11], v[8:9], off
	global_load_dwordx2 v[26:27], v[8:9], off offset:512
	global_load_dwordx2 v[30:31], v[8:9], off offset:1024
	;; [unrolled: 1-line block ×7, first 2 shown]
	s_movk_i32 s0, 0x1000
	v_add_co_u32_e32 v8, vcc, s0, v8
	v_lshlrev_b32_e32 v3, 3, v29
	s_nop 0
	v_addc_co_u32_e32 v9, vcc, 0, v9, vcc
	global_load_dwordx2 v[42:43], v[8:9], off
	global_load_dwordx2 v[44:45], v[8:9], off offset:512
	global_load_dwordx2 v[46:47], v[8:9], off offset:1024
	;; [unrolled: 1-line block ×3, first 2 shown]
	s_barrier
	v_mov_b32_e32 v7, v1
	s_add_i32 s10, s10, -1
	s_cmp_lg_u32 s2, s10
	s_waitcnt vmcnt(11)
	ds_write_b64 v3, v[10:11] offset:2048
	v_lshlrev_b32_e32 v3, 3, v25
	s_waitcnt vmcnt(10)
	ds_write_b64 v3, v[26:27] offset:2048
	v_lshlrev_b32_e32 v3, 3, v24
	;; [unrolled: 3-line block ×11, first 2 shown]
	s_waitcnt vmcnt(0)
	ds_write_b64 v3, v[48:49] offset:2048
	s_waitcnt lgkmcnt(0)
	s_barrier
	v_mad_u32_u24 v5, v2, 6, v16
	ds_read_b64 v[2:3], v50
	ds_read2st64_b64 v[8:11], v5 offset0:4 offset1:8
	ds_read_b64 v[12:13], v51
	ds_read_b64 v[14:15], v52
	;; [unrolled: 1-line block ×3, first 2 shown]
	s_waitcnt lgkmcnt(4)
	v_lshl_add_u64 v[2:3], v[2:3], 3, s[62:63]
	v_lshl_add_u64 v[2:3], v[2:3], 0, v[6:7]
	s_waitcnt lgkmcnt(3)
	global_store_dwordx2 v[2:3], v[8:9], off
	s_waitcnt lgkmcnt(2)
	v_lshl_add_u64 v[2:3], v[12:13], 3, s[62:63]
	v_lshl_add_u64 v[2:3], v[2:3], 0, v[6:7]
	global_store_dwordx2 v[2:3], v[10:11], off offset:2048
	ds_read2st64_b64 v[8:11], v5 offset0:12 offset1:16
	s_waitcnt lgkmcnt(2)
	v_lshl_add_u64 v[2:3], v[14:15], 3, s[62:63]
	v_add_u32_e32 v12, 0x1000, v6
	v_mov_b32_e32 v13, v1
	v_lshl_add_u64 v[2:3], v[2:3], 0, v[12:13]
	s_waitcnt lgkmcnt(0)
	global_store_dwordx2 v[2:3], v[8:9], off
	v_lshl_add_u64 v[2:3], v[16:17], 3, s[62:63]
	v_add_u32_e32 v8, 0x1800, v6
	v_mov_b32_e32 v9, v1
	v_lshl_add_u64 v[2:3], v[2:3], 0, v[8:9]
	global_store_dwordx2 v[2:3], v[10:11], off
	ds_read_b64 v[2:3], v54
	ds_read2st64_b64 v[8:11], v5 offset0:20 offset1:24
	ds_read_b64 v[12:13], v55
	ds_read_b64 v[14:15], v21
	;; [unrolled: 1-line block ×3, first 2 shown]
	s_waitcnt lgkmcnt(4)
	v_lshl_add_u64 v[2:3], v[2:3], 3, s[62:63]
	v_or_b32_e32 v18, 0x2000, v6
	v_mov_b32_e32 v19, v1
	v_lshl_add_u64 v[2:3], v[2:3], 0, v[18:19]
	s_waitcnt lgkmcnt(3)
	global_store_dwordx2 v[2:3], v[8:9], off
	s_waitcnt lgkmcnt(2)
	v_lshl_add_u64 v[2:3], v[12:13], 3, s[62:63]
	v_add_u32_e32 v8, 0x2800, v6
	v_mov_b32_e32 v9, v1
	v_lshl_add_u64 v[2:3], v[2:3], 0, v[8:9]
	global_store_dwordx2 v[2:3], v[10:11], off
	ds_read2st64_b64 v[8:11], v5 offset0:28 offset1:32
	s_waitcnt lgkmcnt(2)
	v_lshl_add_u64 v[2:3], v[14:15], 3, s[62:63]
	v_add_u32_e32 v12, 0x3000, v6
	v_mov_b32_e32 v13, v1
	v_lshl_add_u64 v[2:3], v[2:3], 0, v[12:13]
	s_waitcnt lgkmcnt(0)
	global_store_dwordx2 v[2:3], v[8:9], off
	v_lshl_add_u64 v[2:3], v[16:17], 3, s[62:63]
	v_add_u32_e32 v8, 0x3800, v6
	v_mov_b32_e32 v9, v1
	v_lshl_add_u64 v[2:3], v[2:3], 0, v[8:9]
	global_store_dwordx2 v[2:3], v[10:11], off
	ds_read_b64 v[2:3], v57
	ds_read2st64_b64 v[8:11], v5 offset0:36 offset1:40
	ds_read_b64 v[12:13], v58
	ds_read_b64 v[14:15], v59
	ds_read_b64 v[16:17], v60
	s_waitcnt lgkmcnt(4)
	v_lshl_add_u64 v[2:3], v[2:3], 3, s[62:63]
	v_lshlrev_b32_e32 v18, 3, v23
	v_lshl_add_u64 v[2:3], v[2:3], 0, v[18:19]
	s_waitcnt lgkmcnt(3)
	global_store_dwordx2 v[2:3], v[8:9], off
	s_waitcnt lgkmcnt(2)
	v_lshl_add_u64 v[2:3], v[12:13], 3, s[62:63]
	v_lshlrev_b32_e32 v8, 3, v28
	v_mov_b32_e32 v9, v1
	v_lshl_add_u64 v[2:3], v[2:3], 0, v[8:9]
	global_store_dwordx2 v[2:3], v[10:11], off
	ds_read2st64_b64 v[8:11], v5 offset0:44 offset1:48
	s_waitcnt lgkmcnt(2)
	v_lshl_add_u64 v[2:3], v[14:15], 3, s[62:63]
	v_lshlrev_b32_e32 v12, 3, v61
	v_mov_b32_e32 v13, v1
	v_lshl_add_u64 v[2:3], v[2:3], 0, v[12:13]
	s_waitcnt lgkmcnt(0)
	global_store_dwordx2 v[2:3], v[8:9], off
	v_lshl_add_u64 v[2:3], v[16:17], 3, s[62:63]
	v_lshlrev_b32_e32 v8, 3, v62
	v_mov_b32_e32 v9, v1
	v_lshl_add_u64 v[2:3], v[2:3], 0, v[8:9]
	global_store_dwordx2 v[2:3], v[10:11], off
	s_cbranch_scc1 .LBB199_195
; %bb.194:
	ds_read_b64 v[2:3], v6
	v_mov_b32_e32 v5, v1
	v_lshl_add_u64 v[0:1], v[4:5], 0, v[0:1]
	s_waitcnt lgkmcnt(0)
	v_lshl_add_u64 v[0:1], v[0:1], 0, v[2:3]
	global_store_dwordx2 v6, v[0:1], s[66:67]
.LBB199_195:
	s_endpgm
.LBB199_196:
	s_or_b64 exec, exec, s[4:5]
	s_and_saveexec_b64 s[4:5], s[26:27]
	s_cbranch_execz .LBB199_139
.LBB199_197:
	v_lshlrev_b32_e32 v2, 3, v3
	ds_read_b64 v[2:3], v2
	ds_read_b64 v[16:17], v8 offset:4096
	v_mov_b32_e32 v9, 0
	s_waitcnt lgkmcnt(1)
	v_lshl_add_u64 v[2:3], v[2:3], 3, s[62:63]
	v_lshl_add_u64 v[2:3], v[2:3], 0, v[8:9]
	s_waitcnt lgkmcnt(0)
	global_store_dwordx2 v[2:3], v[16:17], off offset:2048
	s_or_b64 exec, exec, s[4:5]
	s_and_saveexec_b64 s[4:5], s[28:29]
	s_cbranch_execnz .LBB199_140
.LBB199_198:
	s_or_b64 exec, exec, s[4:5]
	s_and_saveexec_b64 s[4:5], s[30:31]
	s_cbranch_execz .LBB199_141
.LBB199_199:
	v_lshlrev_b32_e32 v2, 3, v10
	ds_read_b64 v[2:3], v2
	ds_read_b64 v[16:17], v8 offset:8192
	v_lshlrev_b32_e32 v12, 3, v13
	v_mov_b32_e32 v13, 0
	s_waitcnt lgkmcnt(1)
	v_lshl_add_u64 v[2:3], v[2:3], 3, s[62:63]
	v_lshl_add_u64 v[2:3], v[2:3], 0, v[12:13]
	s_waitcnt lgkmcnt(0)
	global_store_dwordx2 v[2:3], v[16:17], off
	s_or_b64 exec, exec, s[4:5]
	s_and_saveexec_b64 s[4:5], s[34:35]
	s_cbranch_execnz .LBB199_142
.LBB199_200:
	s_or_b64 exec, exec, s[4:5]
	s_and_saveexec_b64 s[4:5], s[36:37]
	s_cbranch_execz .LBB199_143
.LBB199_201:
	v_lshlrev_b32_e32 v2, 3, v11
	ds_read_b64 v[2:3], v2
	ds_read_b64 v[10:11], v8 offset:12288
	v_lshlrev_b32_e32 v12, 3, v23
	v_mov_b32_e32 v13, 0
	s_waitcnt lgkmcnt(1)
	v_lshl_add_u64 v[2:3], v[2:3], 3, s[62:63]
	v_lshl_add_u64 v[2:3], v[2:3], 0, v[12:13]
	s_waitcnt lgkmcnt(0)
	global_store_dwordx2 v[2:3], v[10:11], off
	s_or_b64 exec, exec, s[4:5]
	s_and_saveexec_b64 s[4:5], s[38:39]
	s_cbranch_execnz .LBB199_144
.LBB199_202:
	s_or_b64 exec, exec, s[4:5]
	s_and_saveexec_b64 s[4:5], s[40:41]
	s_cbranch_execz .LBB199_145
.LBB199_203:
	v_lshlrev_b32_e32 v2, 3, v14
	ds_read_b64 v[2:3], v2
	ds_read_b64 v[10:11], v8 offset:16384
	v_lshlrev_b32_e32 v12, 3, v29
	v_mov_b32_e32 v13, 0
	s_waitcnt lgkmcnt(1)
	v_lshl_add_u64 v[2:3], v[2:3], 3, s[62:63]
	v_lshl_add_u64 v[2:3], v[2:3], 0, v[12:13]
	s_waitcnt lgkmcnt(0)
	global_store_dwordx2 v[2:3], v[10:11], off
	s_or_b64 exec, exec, s[4:5]
	s_and_saveexec_b64 s[4:5], s[42:43]
	s_cbranch_execnz .LBB199_146
.LBB199_204:
	s_or_b64 exec, exec, s[4:5]
	s_and_saveexec_b64 s[4:5], s[44:45]
	s_cbranch_execz .LBB199_147
.LBB199_205:
	v_lshlrev_b32_e32 v2, 3, v34
	ds_read_b64 v[2:3], v2
	ds_read_b64 v[10:11], v8 offset:20480
	v_lshlrev_b32_e32 v12, 3, v31
	v_mov_b32_e32 v13, 0
	s_waitcnt lgkmcnt(1)
	v_lshl_add_u64 v[2:3], v[2:3], 3, s[62:63]
	v_lshl_add_u64 v[2:3], v[2:3], 0, v[12:13]
	s_waitcnt lgkmcnt(0)
	global_store_dwordx2 v[2:3], v[10:11], off
	s_or_b64 exec, exec, s[4:5]
	s_and_saveexec_b64 s[4:5], s[46:47]
	s_cbranch_execnz .LBB199_148
.LBB199_206:
	s_or_b64 exec, exec, s[4:5]
	s_and_saveexec_b64 s[4:5], s[48:49]
	s_cbranch_execz .LBB199_149
.LBB199_207:
	v_lshlrev_b32_e32 v2, 3, v35
	ds_read_b64 v[2:3], v2
	ds_read_b64 v[10:11], v8 offset:24576
	v_lshlrev_b32_e32 v12, 3, v33
	v_mov_b32_e32 v13, 0
	s_waitcnt lgkmcnt(1)
	v_lshl_add_u64 v[2:3], v[2:3], 3, s[62:63]
	v_lshl_add_u64 v[2:3], v[2:3], 0, v[12:13]
	s_waitcnt lgkmcnt(0)
	global_store_dwordx2 v[2:3], v[10:11], off
	s_or_b64 exec, exec, s[4:5]
	s_add_i32 s33, s33, -1
	s_cmp_eq_u32 s2, s33
	s_cbranch_scc1 .LBB199_150
	s_branch .LBB199_151
	.section	.rodata,"a",@progbits
	.p2align	6, 0x0
	.amdhsa_kernel _ZN7rocprim17ROCPRIM_304000_NS6detail25onesweep_iteration_kernelINS1_34wrapped_radix_sort_onesweep_configINS0_14default_configE6__halfN2at4cuda3cub6detail10OpaqueTypeILi8EEEEELb0EPS5_SD_PSB_SE_mNS0_19identity_decomposerEEEvT1_T2_T3_T4_jPT5_SL_PNS1_23onesweep_lookback_stateET6_jjj
		.amdhsa_group_segment_fixed_size 26624
		.amdhsa_private_segment_fixed_size 0
		.amdhsa_kernarg_size 336
		.amdhsa_user_sgpr_count 2
		.amdhsa_user_sgpr_dispatch_ptr 0
		.amdhsa_user_sgpr_queue_ptr 0
		.amdhsa_user_sgpr_kernarg_segment_ptr 1
		.amdhsa_user_sgpr_dispatch_id 0
		.amdhsa_user_sgpr_kernarg_preload_length 0
		.amdhsa_user_sgpr_kernarg_preload_offset 0
		.amdhsa_user_sgpr_private_segment_size 0
		.amdhsa_uses_dynamic_stack 0
		.amdhsa_enable_private_segment 0
		.amdhsa_system_sgpr_workgroup_id_x 1
		.amdhsa_system_sgpr_workgroup_id_y 0
		.amdhsa_system_sgpr_workgroup_id_z 0
		.amdhsa_system_sgpr_workgroup_info 0
		.amdhsa_system_vgpr_workitem_id 2
		.amdhsa_next_free_vgpr 73
		.amdhsa_next_free_sgpr 91
		.amdhsa_accum_offset 68
		.amdhsa_reserve_vcc 1
		.amdhsa_float_round_mode_32 0
		.amdhsa_float_round_mode_16_64 0
		.amdhsa_float_denorm_mode_32 3
		.amdhsa_float_denorm_mode_16_64 3
		.amdhsa_dx10_clamp 1
		.amdhsa_ieee_mode 1
		.amdhsa_fp16_overflow 0
		.amdhsa_tg_split 0
		.amdhsa_exception_fp_ieee_invalid_op 0
		.amdhsa_exception_fp_denorm_src 0
		.amdhsa_exception_fp_ieee_div_zero 0
		.amdhsa_exception_fp_ieee_overflow 0
		.amdhsa_exception_fp_ieee_underflow 0
		.amdhsa_exception_fp_ieee_inexact 0
		.amdhsa_exception_int_div_zero 0
	.end_amdhsa_kernel
	.section	.text._ZN7rocprim17ROCPRIM_304000_NS6detail25onesweep_iteration_kernelINS1_34wrapped_radix_sort_onesweep_configINS0_14default_configE6__halfN2at4cuda3cub6detail10OpaqueTypeILi8EEEEELb0EPS5_SD_PSB_SE_mNS0_19identity_decomposerEEEvT1_T2_T3_T4_jPT5_SL_PNS1_23onesweep_lookback_stateET6_jjj,"axG",@progbits,_ZN7rocprim17ROCPRIM_304000_NS6detail25onesweep_iteration_kernelINS1_34wrapped_radix_sort_onesweep_configINS0_14default_configE6__halfN2at4cuda3cub6detail10OpaqueTypeILi8EEEEELb0EPS5_SD_PSB_SE_mNS0_19identity_decomposerEEEvT1_T2_T3_T4_jPT5_SL_PNS1_23onesweep_lookback_stateET6_jjj,comdat
.Lfunc_end199:
	.size	_ZN7rocprim17ROCPRIM_304000_NS6detail25onesweep_iteration_kernelINS1_34wrapped_radix_sort_onesweep_configINS0_14default_configE6__halfN2at4cuda3cub6detail10OpaqueTypeILi8EEEEELb0EPS5_SD_PSB_SE_mNS0_19identity_decomposerEEEvT1_T2_T3_T4_jPT5_SL_PNS1_23onesweep_lookback_stateET6_jjj, .Lfunc_end199-_ZN7rocprim17ROCPRIM_304000_NS6detail25onesweep_iteration_kernelINS1_34wrapped_radix_sort_onesweep_configINS0_14default_configE6__halfN2at4cuda3cub6detail10OpaqueTypeILi8EEEEELb0EPS5_SD_PSB_SE_mNS0_19identity_decomposerEEEvT1_T2_T3_T4_jPT5_SL_PNS1_23onesweep_lookback_stateET6_jjj
                                        ; -- End function
	.set _ZN7rocprim17ROCPRIM_304000_NS6detail25onesweep_iteration_kernelINS1_34wrapped_radix_sort_onesweep_configINS0_14default_configE6__halfN2at4cuda3cub6detail10OpaqueTypeILi8EEEEELb0EPS5_SD_PSB_SE_mNS0_19identity_decomposerEEEvT1_T2_T3_T4_jPT5_SL_PNS1_23onesweep_lookback_stateET6_jjj.num_vgpr, 66
	.set _ZN7rocprim17ROCPRIM_304000_NS6detail25onesweep_iteration_kernelINS1_34wrapped_radix_sort_onesweep_configINS0_14default_configE6__halfN2at4cuda3cub6detail10OpaqueTypeILi8EEEEELb0EPS5_SD_PSB_SE_mNS0_19identity_decomposerEEEvT1_T2_T3_T4_jPT5_SL_PNS1_23onesweep_lookback_stateET6_jjj.num_agpr, 0
	.set _ZN7rocprim17ROCPRIM_304000_NS6detail25onesweep_iteration_kernelINS1_34wrapped_radix_sort_onesweep_configINS0_14default_configE6__halfN2at4cuda3cub6detail10OpaqueTypeILi8EEEEELb0EPS5_SD_PSB_SE_mNS0_19identity_decomposerEEEvT1_T2_T3_T4_jPT5_SL_PNS1_23onesweep_lookback_stateET6_jjj.numbered_sgpr, 75
	.set _ZN7rocprim17ROCPRIM_304000_NS6detail25onesweep_iteration_kernelINS1_34wrapped_radix_sort_onesweep_configINS0_14default_configE6__halfN2at4cuda3cub6detail10OpaqueTypeILi8EEEEELb0EPS5_SD_PSB_SE_mNS0_19identity_decomposerEEEvT1_T2_T3_T4_jPT5_SL_PNS1_23onesweep_lookback_stateET6_jjj.num_named_barrier, 0
	.set _ZN7rocprim17ROCPRIM_304000_NS6detail25onesweep_iteration_kernelINS1_34wrapped_radix_sort_onesweep_configINS0_14default_configE6__halfN2at4cuda3cub6detail10OpaqueTypeILi8EEEEELb0EPS5_SD_PSB_SE_mNS0_19identity_decomposerEEEvT1_T2_T3_T4_jPT5_SL_PNS1_23onesweep_lookback_stateET6_jjj.private_seg_size, 0
	.set _ZN7rocprim17ROCPRIM_304000_NS6detail25onesweep_iteration_kernelINS1_34wrapped_radix_sort_onesweep_configINS0_14default_configE6__halfN2at4cuda3cub6detail10OpaqueTypeILi8EEEEELb0EPS5_SD_PSB_SE_mNS0_19identity_decomposerEEEvT1_T2_T3_T4_jPT5_SL_PNS1_23onesweep_lookback_stateET6_jjj.uses_vcc, 1
	.set _ZN7rocprim17ROCPRIM_304000_NS6detail25onesweep_iteration_kernelINS1_34wrapped_radix_sort_onesweep_configINS0_14default_configE6__halfN2at4cuda3cub6detail10OpaqueTypeILi8EEEEELb0EPS5_SD_PSB_SE_mNS0_19identity_decomposerEEEvT1_T2_T3_T4_jPT5_SL_PNS1_23onesweep_lookback_stateET6_jjj.uses_flat_scratch, 0
	.set _ZN7rocprim17ROCPRIM_304000_NS6detail25onesweep_iteration_kernelINS1_34wrapped_radix_sort_onesweep_configINS0_14default_configE6__halfN2at4cuda3cub6detail10OpaqueTypeILi8EEEEELb0EPS5_SD_PSB_SE_mNS0_19identity_decomposerEEEvT1_T2_T3_T4_jPT5_SL_PNS1_23onesweep_lookback_stateET6_jjj.has_dyn_sized_stack, 0
	.set _ZN7rocprim17ROCPRIM_304000_NS6detail25onesweep_iteration_kernelINS1_34wrapped_radix_sort_onesweep_configINS0_14default_configE6__halfN2at4cuda3cub6detail10OpaqueTypeILi8EEEEELb0EPS5_SD_PSB_SE_mNS0_19identity_decomposerEEEvT1_T2_T3_T4_jPT5_SL_PNS1_23onesweep_lookback_stateET6_jjj.has_recursion, 0
	.set _ZN7rocprim17ROCPRIM_304000_NS6detail25onesweep_iteration_kernelINS1_34wrapped_radix_sort_onesweep_configINS0_14default_configE6__halfN2at4cuda3cub6detail10OpaqueTypeILi8EEEEELb0EPS5_SD_PSB_SE_mNS0_19identity_decomposerEEEvT1_T2_T3_T4_jPT5_SL_PNS1_23onesweep_lookback_stateET6_jjj.has_indirect_call, 0
	.section	.AMDGPU.csdata,"",@progbits
; Kernel info:
; codeLenInByte = 20996
; TotalNumSgprs: 81
; NumVgprs: 66
; NumAgprs: 0
; TotalNumVgprs: 66
; ScratchSize: 0
; MemoryBound: 0
; FloatMode: 240
; IeeeMode: 1
; LDSByteSize: 26624 bytes/workgroup (compile time only)
; SGPRBlocks: 12
; VGPRBlocks: 9
; NumSGPRsForWavesPerEU: 97
; NumVGPRsForWavesPerEU: 73
; AccumOffset: 68
; Occupancy: 6
; WaveLimiterHint : 1
; COMPUTE_PGM_RSRC2:SCRATCH_EN: 0
; COMPUTE_PGM_RSRC2:USER_SGPR: 2
; COMPUTE_PGM_RSRC2:TRAP_HANDLER: 0
; COMPUTE_PGM_RSRC2:TGID_X_EN: 1
; COMPUTE_PGM_RSRC2:TGID_Y_EN: 0
; COMPUTE_PGM_RSRC2:TGID_Z_EN: 0
; COMPUTE_PGM_RSRC2:TIDIG_COMP_CNT: 2
; COMPUTE_PGM_RSRC3_GFX90A:ACCUM_OFFSET: 16
; COMPUTE_PGM_RSRC3_GFX90A:TG_SPLIT: 0
	.section	.AMDGPU.gpr_maximums,"",@progbits
	.set amdgpu.max_num_vgpr, 0
	.set amdgpu.max_num_agpr, 0
	.set amdgpu.max_num_sgpr, 0
	.section	.AMDGPU.csdata,"",@progbits
	.type	__hip_cuid_b380aa7e173ec57b,@object ; @__hip_cuid_b380aa7e173ec57b
	.section	.bss,"aw",@nobits
	.globl	__hip_cuid_b380aa7e173ec57b
__hip_cuid_b380aa7e173ec57b:
	.byte	0                               ; 0x0
	.size	__hip_cuid_b380aa7e173ec57b, 1

	.ident	"AMD clang version 22.0.0git (https://github.com/RadeonOpenCompute/llvm-project roc-7.2.4 26084 f58b06dce1f9c15707c5f808fd002e18c2accf7e)"
	.section	".note.GNU-stack","",@progbits
	.addrsig
	.addrsig_sym __hip_cuid_b380aa7e173ec57b
	.amdgpu_metadata
---
amdhsa.kernels:
  - .agpr_count:     0
    .args:
      - .address_space:  global
        .offset:         0
        .size:           8
        .value_kind:     global_buffer
      - .address_space:  global
        .offset:         8
        .size:           8
        .value_kind:     global_buffer
      - .address_space:  global
        .offset:         16
        .size:           8
        .value_kind:     global_buffer
      - .address_space:  global
        .offset:         24
        .size:           8
        .value_kind:     global_buffer
      - .offset:         32
        .size:           4
        .value_kind:     by_value
      - .offset:         36
        .size:           1
        .value_kind:     by_value
      - .offset:         40
        .size:           4
        .value_kind:     by_value
      - .offset:         44
        .size:           4
        .value_kind:     by_value
      - .offset:         48
        .size:           4
        .value_kind:     hidden_block_count_x
      - .offset:         52
        .size:           4
        .value_kind:     hidden_block_count_y
      - .offset:         56
        .size:           4
        .value_kind:     hidden_block_count_z
      - .offset:         60
        .size:           2
        .value_kind:     hidden_group_size_x
      - .offset:         62
        .size:           2
        .value_kind:     hidden_group_size_y
      - .offset:         64
        .size:           2
        .value_kind:     hidden_group_size_z
      - .offset:         66
        .size:           2
        .value_kind:     hidden_remainder_x
      - .offset:         68
        .size:           2
        .value_kind:     hidden_remainder_y
      - .offset:         70
        .size:           2
        .value_kind:     hidden_remainder_z
      - .offset:         88
        .size:           8
        .value_kind:     hidden_global_offset_x
      - .offset:         96
        .size:           8
        .value_kind:     hidden_global_offset_y
      - .offset:         104
        .size:           8
        .value_kind:     hidden_global_offset_z
      - .offset:         112
        .size:           2
        .value_kind:     hidden_grid_dims
    .group_segment_fixed_size: 8192
    .kernarg_segment_align: 8
    .kernarg_segment_size: 304
    .language:       OpenCL C
    .language_version:
      - 2
      - 0
    .max_flat_workgroup_size: 256
    .name:           _ZN7rocprim17ROCPRIM_304000_NS6detail28radix_sort_block_sort_kernelINS1_36wrapped_radix_sort_block_sort_configINS0_13kernel_configILj256ELj4ELj4294967295EEEhN2at4cuda3cub6detail10OpaqueTypeILi8EEEEELb1EPKhPhPKSB_PSB_NS0_19identity_decomposerEEEvT1_T2_T3_T4_jT5_jj
    .private_segment_fixed_size: 0
    .sgpr_count:     52
    .sgpr_spill_count: 0
    .symbol:         _ZN7rocprim17ROCPRIM_304000_NS6detail28radix_sort_block_sort_kernelINS1_36wrapped_radix_sort_block_sort_configINS0_13kernel_configILj256ELj4ELj4294967295EEEhN2at4cuda3cub6detail10OpaqueTypeILi8EEEEELb1EPKhPhPKSB_PSB_NS0_19identity_decomposerEEEvT1_T2_T3_T4_jT5_jj.kd
    .uniform_work_group_size: 1
    .uses_dynamic_stack: false
    .vgpr_count:     50
    .vgpr_spill_count: 0
    .wavefront_size: 64
  - .agpr_count:     0
    .args:           []
    .group_segment_fixed_size: 0
    .kernarg_segment_align: 4
    .kernarg_segment_size: 0
    .language:       OpenCL C
    .language_version:
      - 2
      - 0
    .max_flat_workgroup_size: 1024
    .name:           _ZN7rocprim17ROCPRIM_304000_NS6detail39device_merge_sort_compile_time_verifierINS1_36wrapped_merge_sort_block_sort_configINS1_28merge_sort_block_sort_configILj256ELj4ELNS0_20block_sort_algorithmE0EEEhN2at4cuda3cub6detail10OpaqueTypeILi8EEEEENS1_37wrapped_merge_sort_block_merge_configINS0_14default_configEhSC_EEEEvv
    .private_segment_fixed_size: 0
    .sgpr_count:     6
    .sgpr_spill_count: 0
    .symbol:         _ZN7rocprim17ROCPRIM_304000_NS6detail39device_merge_sort_compile_time_verifierINS1_36wrapped_merge_sort_block_sort_configINS1_28merge_sort_block_sort_configILj256ELj4ELNS0_20block_sort_algorithmE0EEEhN2at4cuda3cub6detail10OpaqueTypeILi8EEEEENS1_37wrapped_merge_sort_block_merge_configINS0_14default_configEhSC_EEEEvv.kd
    .uniform_work_group_size: 1
    .uses_dynamic_stack: false
    .vgpr_count:     0
    .vgpr_spill_count: 0
    .wavefront_size: 64
  - .agpr_count:     0
    .args:
      - .address_space:  global
        .offset:         0
        .size:           8
        .value_kind:     global_buffer
      - .offset:         8
        .size:           4
        .value_kind:     by_value
      - .offset:         12
        .size:           4
        .value_kind:     by_value
      - .address_space:  global
        .offset:         16
        .size:           8
        .value_kind:     global_buffer
      - .offset:         24
        .size:           1
        .value_kind:     by_value
      - .offset:         28
        .size:           4
        .value_kind:     by_value
    .group_segment_fixed_size: 0
    .kernarg_segment_align: 8
    .kernarg_segment_size: 32
    .language:       OpenCL C
    .language_version:
      - 2
      - 0
    .max_flat_workgroup_size: 128
    .name:           _ZN7rocprim17ROCPRIM_304000_NS6detail45device_block_merge_mergepath_partition_kernelINS1_37wrapped_merge_sort_block_merge_configINS0_14default_configEhN2at4cuda3cub6detail10OpaqueTypeILi8EEEEEPhjNS1_19radix_merge_compareILb1ELb0EhNS0_19identity_decomposerEEEEEvT0_T1_jPSH_T2_SH_
    .private_segment_fixed_size: 0
    .sgpr_count:     12
    .sgpr_spill_count: 0
    .symbol:         _ZN7rocprim17ROCPRIM_304000_NS6detail45device_block_merge_mergepath_partition_kernelINS1_37wrapped_merge_sort_block_merge_configINS0_14default_configEhN2at4cuda3cub6detail10OpaqueTypeILi8EEEEEPhjNS1_19radix_merge_compareILb1ELb0EhNS0_19identity_decomposerEEEEEvT0_T1_jPSH_T2_SH_.kd
    .uniform_work_group_size: 1
    .uses_dynamic_stack: false
    .vgpr_count:     17
    .vgpr_spill_count: 0
    .wavefront_size: 64
  - .agpr_count:     0
    .args:
      - .address_space:  global
        .offset:         0
        .size:           8
        .value_kind:     global_buffer
      - .address_space:  global
        .offset:         8
        .size:           8
        .value_kind:     global_buffer
      - .address_space:  global
        .offset:         16
        .size:           8
        .value_kind:     global_buffer
      - .address_space:  global
        .offset:         24
        .size:           8
        .value_kind:     global_buffer
      - .offset:         32
        .size:           4
        .value_kind:     by_value
      - .offset:         36
        .size:           4
        .value_kind:     by_value
      - .offset:         40
        .size:           4
        .value_kind:     by_value
      - .offset:         44
        .size:           1
        .value_kind:     by_value
      - .address_space:  global
        .offset:         48
        .size:           8
        .value_kind:     global_buffer
      - .address_space:  global
        .offset:         56
        .size:           8
        .value_kind:     global_buffer
      - .offset:         64
        .size:           4
        .value_kind:     hidden_block_count_x
      - .offset:         68
        .size:           4
        .value_kind:     hidden_block_count_y
      - .offset:         72
        .size:           4
        .value_kind:     hidden_block_count_z
      - .offset:         76
        .size:           2
        .value_kind:     hidden_group_size_x
      - .offset:         78
        .size:           2
        .value_kind:     hidden_group_size_y
      - .offset:         80
        .size:           2
        .value_kind:     hidden_group_size_z
      - .offset:         82
        .size:           2
        .value_kind:     hidden_remainder_x
      - .offset:         84
        .size:           2
        .value_kind:     hidden_remainder_y
      - .offset:         86
        .size:           2
        .value_kind:     hidden_remainder_z
      - .offset:         104
        .size:           8
        .value_kind:     hidden_global_offset_x
      - .offset:         112
        .size:           8
        .value_kind:     hidden_global_offset_y
      - .offset:         120
        .size:           8
        .value_kind:     hidden_global_offset_z
      - .offset:         128
        .size:           2
        .value_kind:     hidden_grid_dims
    .group_segment_fixed_size: 8208
    .kernarg_segment_align: 8
    .kernarg_segment_size: 320
    .language:       OpenCL C
    .language_version:
      - 2
      - 0
    .max_flat_workgroup_size: 512
    .name:           _ZN7rocprim17ROCPRIM_304000_NS6detail35device_block_merge_mergepath_kernelINS1_37wrapped_merge_sort_block_merge_configINS0_14default_configEhN2at4cuda3cub6detail10OpaqueTypeILi8EEEEEPhSC_PSA_SD_jNS1_19radix_merge_compareILb1ELb0EhNS0_19identity_decomposerEEEEEvT0_T1_T2_T3_T4_SL_jT5_PKSL_NS1_7vsmem_tE
    .private_segment_fixed_size: 0
    .sgpr_count:     34
    .sgpr_spill_count: 0
    .symbol:         _ZN7rocprim17ROCPRIM_304000_NS6detail35device_block_merge_mergepath_kernelINS1_37wrapped_merge_sort_block_merge_configINS0_14default_configEhN2at4cuda3cub6detail10OpaqueTypeILi8EEEEEPhSC_PSA_SD_jNS1_19radix_merge_compareILb1ELb0EhNS0_19identity_decomposerEEEEEvT0_T1_T2_T3_T4_SL_jT5_PKSL_NS1_7vsmem_tE.kd
    .uniform_work_group_size: 1
    .uses_dynamic_stack: false
    .vgpr_count:     16
    .vgpr_spill_count: 0
    .wavefront_size: 64
  - .agpr_count:     0
    .args:
      - .address_space:  global
        .offset:         0
        .size:           8
        .value_kind:     global_buffer
      - .address_space:  global
        .offset:         8
        .size:           8
        .value_kind:     global_buffer
      - .address_space:  global
        .offset:         16
        .size:           8
        .value_kind:     global_buffer
      - .address_space:  global
        .offset:         24
        .size:           8
        .value_kind:     global_buffer
      - .offset:         32
        .size:           4
        .value_kind:     by_value
      - .offset:         36
        .size:           4
        .value_kind:     by_value
      - .offset:         40
        .size:           1
        .value_kind:     by_value
    .group_segment_fixed_size: 0
    .kernarg_segment_align: 8
    .kernarg_segment_size: 44
    .language:       OpenCL C
    .language_version:
      - 2
      - 0
    .max_flat_workgroup_size: 256
    .name:           _ZN7rocprim17ROCPRIM_304000_NS6detail33device_block_merge_oddeven_kernelINS1_37wrapped_merge_sort_block_merge_configINS0_14default_configEhN2at4cuda3cub6detail10OpaqueTypeILi8EEEEEPhSC_PSA_SD_jNS1_19radix_merge_compareILb1ELb0EhNS0_19identity_decomposerEEEEEvT0_T1_T2_T3_T4_SL_T5_
    .private_segment_fixed_size: 0
    .sgpr_count:     28
    .sgpr_spill_count: 0
    .symbol:         _ZN7rocprim17ROCPRIM_304000_NS6detail33device_block_merge_oddeven_kernelINS1_37wrapped_merge_sort_block_merge_configINS0_14default_configEhN2at4cuda3cub6detail10OpaqueTypeILi8EEEEEPhSC_PSA_SD_jNS1_19radix_merge_compareILb1ELb0EhNS0_19identity_decomposerEEEEEvT0_T1_T2_T3_T4_SL_T5_.kd
    .uniform_work_group_size: 1
    .uses_dynamic_stack: false
    .vgpr_count:     10
    .vgpr_spill_count: 0
    .wavefront_size: 64
  - .agpr_count:     0
    .args:
      - .address_space:  global
        .offset:         0
        .size:           8
        .value_kind:     global_buffer
      - .offset:         8
        .size:           8
        .value_kind:     by_value
      - .address_space:  global
        .offset:         16
        .size:           8
        .value_kind:     global_buffer
      - .offset:         24
        .size:           1
        .value_kind:     by_value
      - .offset:         32
        .size:           4
        .value_kind:     hidden_block_count_x
      - .offset:         36
        .size:           4
        .value_kind:     hidden_block_count_y
      - .offset:         40
        .size:           4
        .value_kind:     hidden_block_count_z
      - .offset:         44
        .size:           2
        .value_kind:     hidden_group_size_x
      - .offset:         46
        .size:           2
        .value_kind:     hidden_group_size_y
      - .offset:         48
        .size:           2
        .value_kind:     hidden_group_size_z
      - .offset:         50
        .size:           2
        .value_kind:     hidden_remainder_x
      - .offset:         52
        .size:           2
        .value_kind:     hidden_remainder_y
      - .offset:         54
        .size:           2
        .value_kind:     hidden_remainder_z
      - .offset:         72
        .size:           8
        .value_kind:     hidden_global_offset_x
      - .offset:         80
        .size:           8
        .value_kind:     hidden_global_offset_y
      - .offset:         88
        .size:           8
        .value_kind:     hidden_global_offset_z
      - .offset:         96
        .size:           2
        .value_kind:     hidden_grid_dims
    .group_segment_fixed_size: 0
    .kernarg_segment_align: 8
    .kernarg_segment_size: 288
    .language:       OpenCL C
    .language_version:
      - 2
      - 0
    .max_flat_workgroup_size: 128
    .name:           _ZN7rocprim17ROCPRIM_304000_NS6detail16transform_kernelINS1_24wrapped_transform_configINS0_14default_configEhEEhPhS6_NS0_8identityIhEEEEvT1_mT2_T3_
    .private_segment_fixed_size: 0
    .sgpr_count:     27
    .sgpr_spill_count: 0
    .symbol:         _ZN7rocprim17ROCPRIM_304000_NS6detail16transform_kernelINS1_24wrapped_transform_configINS0_14default_configEhEEhPhS6_NS0_8identityIhEEEEvT1_mT2_T3_.kd
    .uniform_work_group_size: 1
    .uses_dynamic_stack: false
    .vgpr_count:     19
    .vgpr_spill_count: 0
    .wavefront_size: 64
  - .agpr_count:     0
    .args:
      - .address_space:  global
        .offset:         0
        .size:           8
        .value_kind:     global_buffer
      - .offset:         8
        .size:           8
        .value_kind:     by_value
      - .address_space:  global
        .offset:         16
        .size:           8
        .value_kind:     global_buffer
      - .offset:         24
        .size:           1
        .value_kind:     by_value
      - .offset:         32
        .size:           4
        .value_kind:     hidden_block_count_x
      - .offset:         36
        .size:           4
        .value_kind:     hidden_block_count_y
      - .offset:         40
        .size:           4
        .value_kind:     hidden_block_count_z
      - .offset:         44
        .size:           2
        .value_kind:     hidden_group_size_x
      - .offset:         46
        .size:           2
        .value_kind:     hidden_group_size_y
      - .offset:         48
        .size:           2
        .value_kind:     hidden_group_size_z
      - .offset:         50
        .size:           2
        .value_kind:     hidden_remainder_x
      - .offset:         52
        .size:           2
        .value_kind:     hidden_remainder_y
      - .offset:         54
        .size:           2
        .value_kind:     hidden_remainder_z
      - .offset:         72
        .size:           8
        .value_kind:     hidden_global_offset_x
      - .offset:         80
        .size:           8
        .value_kind:     hidden_global_offset_y
      - .offset:         88
        .size:           8
        .value_kind:     hidden_global_offset_z
      - .offset:         96
        .size:           2
        .value_kind:     hidden_grid_dims
    .group_segment_fixed_size: 0
    .kernarg_segment_align: 8
    .kernarg_segment_size: 288
    .language:       OpenCL C
    .language_version:
      - 2
      - 0
    .max_flat_workgroup_size: 128
    .name:           _ZN7rocprim17ROCPRIM_304000_NS6detail16transform_kernelINS1_24wrapped_transform_configINS0_14default_configEN2at4cuda3cub6detail10OpaqueTypeILi8EEEEESA_PSA_SC_NS0_8identityISA_EEEEvT1_mT2_T3_
    .private_segment_fixed_size: 0
    .sgpr_count:     16
    .sgpr_spill_count: 0
    .symbol:         _ZN7rocprim17ROCPRIM_304000_NS6detail16transform_kernelINS1_24wrapped_transform_configINS0_14default_configEN2at4cuda3cub6detail10OpaqueTypeILi8EEEEESA_PSA_SC_NS0_8identityISA_EEEEvT1_mT2_T3_.kd
    .uniform_work_group_size: 1
    .uses_dynamic_stack: false
    .vgpr_count:     3
    .vgpr_spill_count: 0
    .wavefront_size: 64
  - .agpr_count:     0
    .args:
      - .address_space:  global
        .offset:         0
        .size:           8
        .value_kind:     global_buffer
      - .offset:         8
        .size:           4
        .value_kind:     by_value
      - .offset:         12
        .size:           4
        .value_kind:     by_value
      - .address_space:  global
        .offset:         16
        .size:           8
        .value_kind:     global_buffer
      - .offset:         24
        .size:           1
        .value_kind:     by_value
      - .offset:         28
        .size:           4
        .value_kind:     by_value
    .group_segment_fixed_size: 0
    .kernarg_segment_align: 8
    .kernarg_segment_size: 32
    .language:       OpenCL C
    .language_version:
      - 2
      - 0
    .max_flat_workgroup_size: 128
    .name:           _ZN7rocprim17ROCPRIM_304000_NS6detail45device_block_merge_mergepath_partition_kernelINS1_37wrapped_merge_sort_block_merge_configINS0_14default_configEhN2at4cuda3cub6detail10OpaqueTypeILi8EEEEEPhjNS1_19radix_merge_compareILb1ELb1EhNS0_19identity_decomposerEEEEEvT0_T1_jPSH_T2_SH_
    .private_segment_fixed_size: 0
    .sgpr_count:     16
    .sgpr_spill_count: 0
    .symbol:         _ZN7rocprim17ROCPRIM_304000_NS6detail45device_block_merge_mergepath_partition_kernelINS1_37wrapped_merge_sort_block_merge_configINS0_14default_configEhN2at4cuda3cub6detail10OpaqueTypeILi8EEEEEPhjNS1_19radix_merge_compareILb1ELb1EhNS0_19identity_decomposerEEEEEvT0_T1_jPSH_T2_SH_.kd
    .uniform_work_group_size: 1
    .uses_dynamic_stack: false
    .vgpr_count:     18
    .vgpr_spill_count: 0
    .wavefront_size: 64
  - .agpr_count:     0
    .args:
      - .address_space:  global
        .offset:         0
        .size:           8
        .value_kind:     global_buffer
      - .address_space:  global
        .offset:         8
        .size:           8
        .value_kind:     global_buffer
      - .address_space:  global
        .offset:         16
        .size:           8
        .value_kind:     global_buffer
      - .address_space:  global
        .offset:         24
        .size:           8
        .value_kind:     global_buffer
      - .offset:         32
        .size:           4
        .value_kind:     by_value
      - .offset:         36
        .size:           4
        .value_kind:     by_value
      - .offset:         40
        .size:           4
        .value_kind:     by_value
      - .offset:         44
        .size:           1
        .value_kind:     by_value
      - .address_space:  global
        .offset:         48
        .size:           8
        .value_kind:     global_buffer
      - .address_space:  global
        .offset:         56
        .size:           8
        .value_kind:     global_buffer
      - .offset:         64
        .size:           4
        .value_kind:     hidden_block_count_x
      - .offset:         68
        .size:           4
        .value_kind:     hidden_block_count_y
      - .offset:         72
        .size:           4
        .value_kind:     hidden_block_count_z
      - .offset:         76
        .size:           2
        .value_kind:     hidden_group_size_x
      - .offset:         78
        .size:           2
        .value_kind:     hidden_group_size_y
      - .offset:         80
        .size:           2
        .value_kind:     hidden_group_size_z
      - .offset:         82
        .size:           2
        .value_kind:     hidden_remainder_x
      - .offset:         84
        .size:           2
        .value_kind:     hidden_remainder_y
      - .offset:         86
        .size:           2
        .value_kind:     hidden_remainder_z
      - .offset:         104
        .size:           8
        .value_kind:     hidden_global_offset_x
      - .offset:         112
        .size:           8
        .value_kind:     hidden_global_offset_y
      - .offset:         120
        .size:           8
        .value_kind:     hidden_global_offset_z
      - .offset:         128
        .size:           2
        .value_kind:     hidden_grid_dims
    .group_segment_fixed_size: 8208
    .kernarg_segment_align: 8
    .kernarg_segment_size: 320
    .language:       OpenCL C
    .language_version:
      - 2
      - 0
    .max_flat_workgroup_size: 512
    .name:           _ZN7rocprim17ROCPRIM_304000_NS6detail35device_block_merge_mergepath_kernelINS1_37wrapped_merge_sort_block_merge_configINS0_14default_configEhN2at4cuda3cub6detail10OpaqueTypeILi8EEEEEPhSC_PSA_SD_jNS1_19radix_merge_compareILb1ELb1EhNS0_19identity_decomposerEEEEEvT0_T1_T2_T3_T4_SL_jT5_PKSL_NS1_7vsmem_tE
    .private_segment_fixed_size: 0
    .sgpr_count:     35
    .sgpr_spill_count: 0
    .symbol:         _ZN7rocprim17ROCPRIM_304000_NS6detail35device_block_merge_mergepath_kernelINS1_37wrapped_merge_sort_block_merge_configINS0_14default_configEhN2at4cuda3cub6detail10OpaqueTypeILi8EEEEEPhSC_PSA_SD_jNS1_19radix_merge_compareILb1ELb1EhNS0_19identity_decomposerEEEEEvT0_T1_T2_T3_T4_SL_jT5_PKSL_NS1_7vsmem_tE.kd
    .uniform_work_group_size: 1
    .uses_dynamic_stack: false
    .vgpr_count:     16
    .vgpr_spill_count: 0
    .wavefront_size: 64
  - .agpr_count:     0
    .args:
      - .address_space:  global
        .offset:         0
        .size:           8
        .value_kind:     global_buffer
      - .address_space:  global
        .offset:         8
        .size:           8
        .value_kind:     global_buffer
      - .address_space:  global
        .offset:         16
        .size:           8
        .value_kind:     global_buffer
      - .address_space:  global
        .offset:         24
        .size:           8
        .value_kind:     global_buffer
      - .offset:         32
        .size:           4
        .value_kind:     by_value
      - .offset:         36
        .size:           4
        .value_kind:     by_value
      - .offset:         40
        .size:           1
        .value_kind:     by_value
    .group_segment_fixed_size: 0
    .kernarg_segment_align: 8
    .kernarg_segment_size: 44
    .language:       OpenCL C
    .language_version:
      - 2
      - 0
    .max_flat_workgroup_size: 256
    .name:           _ZN7rocprim17ROCPRIM_304000_NS6detail33device_block_merge_oddeven_kernelINS1_37wrapped_merge_sort_block_merge_configINS0_14default_configEhN2at4cuda3cub6detail10OpaqueTypeILi8EEEEEPhSC_PSA_SD_jNS1_19radix_merge_compareILb1ELb1EhNS0_19identity_decomposerEEEEEvT0_T1_T2_T3_T4_SL_T5_
    .private_segment_fixed_size: 0
    .sgpr_count:     30
    .sgpr_spill_count: 0
    .symbol:         _ZN7rocprim17ROCPRIM_304000_NS6detail33device_block_merge_oddeven_kernelINS1_37wrapped_merge_sort_block_merge_configINS0_14default_configEhN2at4cuda3cub6detail10OpaqueTypeILi8EEEEEPhSC_PSA_SD_jNS1_19radix_merge_compareILb1ELb1EhNS0_19identity_decomposerEEEEEvT0_T1_T2_T3_T4_SL_T5_.kd
    .uniform_work_group_size: 1
    .uses_dynamic_stack: false
    .vgpr_count:     11
    .vgpr_spill_count: 0
    .wavefront_size: 64
  - .agpr_count:     0
    .args:
      - .address_space:  global
        .offset:         0
        .size:           8
        .value_kind:     global_buffer
      - .address_space:  global
        .offset:         8
        .size:           8
        .value_kind:     global_buffer
      - .offset:         16
        .size:           8
        .value_kind:     by_value
      - .offset:         24
        .size:           8
        .value_kind:     by_value
      - .offset:         32
        .size:           1
        .value_kind:     by_value
      - .offset:         36
        .size:           4
        .value_kind:     by_value
      - .offset:         40
        .size:           4
        .value_kind:     by_value
    .group_segment_fixed_size: 4096
    .kernarg_segment_align: 8
    .kernarg_segment_size: 44
    .language:       OpenCL C
    .language_version:
      - 2
      - 0
    .max_flat_workgroup_size: 512
    .name:           _ZN7rocprim17ROCPRIM_304000_NS6detail26onesweep_histograms_kernelINS1_34wrapped_radix_sort_onesweep_configINS0_14default_configEhN2at4cuda3cub6detail10OpaqueTypeILi8EEEEELb1EPKhmNS0_19identity_decomposerEEEvT1_PT2_SG_SG_T3_jj
    .private_segment_fixed_size: 0
    .sgpr_count:     34
    .sgpr_spill_count: 0
    .symbol:         _ZN7rocprim17ROCPRIM_304000_NS6detail26onesweep_histograms_kernelINS1_34wrapped_radix_sort_onesweep_configINS0_14default_configEhN2at4cuda3cub6detail10OpaqueTypeILi8EEEEELb1EPKhmNS0_19identity_decomposerEEEvT1_PT2_SG_SG_T3_jj.kd
    .uniform_work_group_size: 1
    .uses_dynamic_stack: false
    .vgpr_count:     18
    .vgpr_spill_count: 0
    .wavefront_size: 64
  - .agpr_count:     0
    .args:
      - .address_space:  global
        .offset:         0
        .size:           8
        .value_kind:     global_buffer
    .group_segment_fixed_size: 64
    .kernarg_segment_align: 8
    .kernarg_segment_size: 8
    .language:       OpenCL C
    .language_version:
      - 2
      - 0
    .max_flat_workgroup_size: 512
    .name:           _ZN7rocprim17ROCPRIM_304000_NS6detail31onesweep_scan_histograms_kernelINS1_34wrapped_radix_sort_onesweep_configINS0_14default_configEhN2at4cuda3cub6detail10OpaqueTypeILi8EEEEEmEEvPT0_
    .private_segment_fixed_size: 0
    .sgpr_count:     16
    .sgpr_spill_count: 0
    .symbol:         _ZN7rocprim17ROCPRIM_304000_NS6detail31onesweep_scan_histograms_kernelINS1_34wrapped_radix_sort_onesweep_configINS0_14default_configEhN2at4cuda3cub6detail10OpaqueTypeILi8EEEEEmEEvPT0_.kd
    .uniform_work_group_size: 1
    .uses_dynamic_stack: false
    .vgpr_count:     16
    .vgpr_spill_count: 0
    .wavefront_size: 64
  - .agpr_count:     0
    .args:
      - .address_space:  global
        .offset:         0
        .size:           8
        .value_kind:     global_buffer
      - .offset:         8
        .size:           8
        .value_kind:     by_value
      - .address_space:  global
        .offset:         16
        .size:           8
        .value_kind:     global_buffer
      - .offset:         24
        .size:           1
        .value_kind:     by_value
      - .offset:         32
        .size:           4
        .value_kind:     hidden_block_count_x
      - .offset:         36
        .size:           4
        .value_kind:     hidden_block_count_y
      - .offset:         40
        .size:           4
        .value_kind:     hidden_block_count_z
      - .offset:         44
        .size:           2
        .value_kind:     hidden_group_size_x
      - .offset:         46
        .size:           2
        .value_kind:     hidden_group_size_y
      - .offset:         48
        .size:           2
        .value_kind:     hidden_group_size_z
      - .offset:         50
        .size:           2
        .value_kind:     hidden_remainder_x
      - .offset:         52
        .size:           2
        .value_kind:     hidden_remainder_y
      - .offset:         54
        .size:           2
        .value_kind:     hidden_remainder_z
      - .offset:         72
        .size:           8
        .value_kind:     hidden_global_offset_x
      - .offset:         80
        .size:           8
        .value_kind:     hidden_global_offset_y
      - .offset:         88
        .size:           8
        .value_kind:     hidden_global_offset_z
      - .offset:         96
        .size:           2
        .value_kind:     hidden_grid_dims
    .group_segment_fixed_size: 0
    .kernarg_segment_align: 8
    .kernarg_segment_size: 288
    .language:       OpenCL C
    .language_version:
      - 2
      - 0
    .max_flat_workgroup_size: 128
    .name:           _ZN7rocprim17ROCPRIM_304000_NS6detail16transform_kernelINS1_24wrapped_transform_configINS0_14default_configEhEEhPKhPhNS0_8identityIhEEEEvT1_mT2_T3_
    .private_segment_fixed_size: 0
    .sgpr_count:     27
    .sgpr_spill_count: 0
    .symbol:         _ZN7rocprim17ROCPRIM_304000_NS6detail16transform_kernelINS1_24wrapped_transform_configINS0_14default_configEhEEhPKhPhNS0_8identityIhEEEEvT1_mT2_T3_.kd
    .uniform_work_group_size: 1
    .uses_dynamic_stack: false
    .vgpr_count:     19
    .vgpr_spill_count: 0
    .wavefront_size: 64
  - .agpr_count:     0
    .args:
      - .address_space:  global
        .offset:         0
        .size:           8
        .value_kind:     global_buffer
      - .offset:         8
        .size:           8
        .value_kind:     by_value
      - .address_space:  global
        .offset:         16
        .size:           8
        .value_kind:     global_buffer
      - .offset:         24
        .size:           1
        .value_kind:     by_value
      - .offset:         32
        .size:           4
        .value_kind:     hidden_block_count_x
      - .offset:         36
        .size:           4
        .value_kind:     hidden_block_count_y
      - .offset:         40
        .size:           4
        .value_kind:     hidden_block_count_z
      - .offset:         44
        .size:           2
        .value_kind:     hidden_group_size_x
      - .offset:         46
        .size:           2
        .value_kind:     hidden_group_size_y
      - .offset:         48
        .size:           2
        .value_kind:     hidden_group_size_z
      - .offset:         50
        .size:           2
        .value_kind:     hidden_remainder_x
      - .offset:         52
        .size:           2
        .value_kind:     hidden_remainder_y
      - .offset:         54
        .size:           2
        .value_kind:     hidden_remainder_z
      - .offset:         72
        .size:           8
        .value_kind:     hidden_global_offset_x
      - .offset:         80
        .size:           8
        .value_kind:     hidden_global_offset_y
      - .offset:         88
        .size:           8
        .value_kind:     hidden_global_offset_z
      - .offset:         96
        .size:           2
        .value_kind:     hidden_grid_dims
    .group_segment_fixed_size: 0
    .kernarg_segment_align: 8
    .kernarg_segment_size: 288
    .language:       OpenCL C
    .language_version:
      - 2
      - 0
    .max_flat_workgroup_size: 128
    .name:           _ZN7rocprim17ROCPRIM_304000_NS6detail16transform_kernelINS1_24wrapped_transform_configINS0_14default_configEN2at4cuda3cub6detail10OpaqueTypeILi8EEEEESA_PKSA_PSA_NS0_8identityISA_EEEEvT1_mT2_T3_
    .private_segment_fixed_size: 0
    .sgpr_count:     16
    .sgpr_spill_count: 0
    .symbol:         _ZN7rocprim17ROCPRIM_304000_NS6detail16transform_kernelINS1_24wrapped_transform_configINS0_14default_configEN2at4cuda3cub6detail10OpaqueTypeILi8EEEEESA_PKSA_PSA_NS0_8identityISA_EEEEvT1_mT2_T3_.kd
    .uniform_work_group_size: 1
    .uses_dynamic_stack: false
    .vgpr_count:     3
    .vgpr_spill_count: 0
    .wavefront_size: 64
  - .agpr_count:     0
    .args:
      - .address_space:  global
        .offset:         0
        .size:           8
        .value_kind:     global_buffer
      - .address_space:  global
        .offset:         8
        .size:           8
        .value_kind:     global_buffer
      - .address_space:  global
        .offset:         16
        .size:           8
        .value_kind:     global_buffer
      - .address_space:  global
        .offset:         24
        .size:           8
        .value_kind:     global_buffer
      - .offset:         32
        .size:           4
        .value_kind:     by_value
      - .address_space:  global
        .offset:         40
        .size:           8
        .value_kind:     global_buffer
      - .address_space:  global
        .offset:         48
        .size:           8
        .value_kind:     global_buffer
      - .address_space:  global
        .offset:         56
        .size:           8
        .value_kind:     global_buffer
      - .offset:         64
        .size:           1
        .value_kind:     by_value
      - .offset:         68
        .size:           4
        .value_kind:     by_value
      - .offset:         72
        .size:           4
        .value_kind:     by_value
      - .offset:         76
        .size:           4
        .value_kind:     by_value
      - .offset:         80
        .size:           4
        .value_kind:     hidden_block_count_x
      - .offset:         84
        .size:           4
        .value_kind:     hidden_block_count_y
      - .offset:         88
        .size:           4
        .value_kind:     hidden_block_count_z
      - .offset:         92
        .size:           2
        .value_kind:     hidden_group_size_x
      - .offset:         94
        .size:           2
        .value_kind:     hidden_group_size_y
      - .offset:         96
        .size:           2
        .value_kind:     hidden_group_size_z
      - .offset:         98
        .size:           2
        .value_kind:     hidden_remainder_x
      - .offset:         100
        .size:           2
        .value_kind:     hidden_remainder_y
      - .offset:         102
        .size:           2
        .value_kind:     hidden_remainder_z
      - .offset:         120
        .size:           8
        .value_kind:     hidden_global_offset_x
      - .offset:         128
        .size:           8
        .value_kind:     hidden_global_offset_y
      - .offset:         136
        .size:           8
        .value_kind:     hidden_global_offset_z
      - .offset:         144
        .size:           2
        .value_kind:     hidden_grid_dims
    .group_segment_fixed_size: 26624
    .kernarg_segment_align: 8
    .kernarg_segment_size: 336
    .language:       OpenCL C
    .language_version:
      - 2
      - 0
    .max_flat_workgroup_size: 512
    .name:           _ZN7rocprim17ROCPRIM_304000_NS6detail25onesweep_iteration_kernelINS1_34wrapped_radix_sort_onesweep_configINS0_14default_configEhN2at4cuda3cub6detail10OpaqueTypeILi8EEEEELb1EPKhPhPKSA_PSA_mNS0_19identity_decomposerEEEvT1_T2_T3_T4_jPT5_SO_PNS1_23onesweep_lookback_stateET6_jjj
    .private_segment_fixed_size: 0
    .sgpr_count:     57
    .sgpr_spill_count: 0
    .symbol:         _ZN7rocprim17ROCPRIM_304000_NS6detail25onesweep_iteration_kernelINS1_34wrapped_radix_sort_onesweep_configINS0_14default_configEhN2at4cuda3cub6detail10OpaqueTypeILi8EEEEELb1EPKhPhPKSA_PSA_mNS0_19identity_decomposerEEEvT1_T2_T3_T4_jPT5_SO_PNS1_23onesweep_lookback_stateET6_jjj.kd
    .uniform_work_group_size: 1
    .uses_dynamic_stack: false
    .vgpr_count:     39
    .vgpr_spill_count: 0
    .wavefront_size: 64
  - .agpr_count:     0
    .args:
      - .address_space:  global
        .offset:         0
        .size:           8
        .value_kind:     global_buffer
      - .address_space:  global
        .offset:         8
        .size:           8
        .value_kind:     global_buffer
      - .address_space:  global
        .offset:         16
        .size:           8
        .value_kind:     global_buffer
      - .address_space:  global
        .offset:         24
        .size:           8
        .value_kind:     global_buffer
      - .offset:         32
        .size:           4
        .value_kind:     by_value
      - .address_space:  global
        .offset:         40
        .size:           8
        .value_kind:     global_buffer
      - .address_space:  global
        .offset:         48
        .size:           8
        .value_kind:     global_buffer
      - .address_space:  global
        .offset:         56
        .size:           8
        .value_kind:     global_buffer
      - .offset:         64
        .size:           1
        .value_kind:     by_value
      - .offset:         68
        .size:           4
        .value_kind:     by_value
      - .offset:         72
        .size:           4
        .value_kind:     by_value
      - .offset:         76
        .size:           4
        .value_kind:     by_value
      - .offset:         80
        .size:           4
        .value_kind:     hidden_block_count_x
      - .offset:         84
        .size:           4
        .value_kind:     hidden_block_count_y
      - .offset:         88
        .size:           4
        .value_kind:     hidden_block_count_z
      - .offset:         92
        .size:           2
        .value_kind:     hidden_group_size_x
      - .offset:         94
        .size:           2
        .value_kind:     hidden_group_size_y
      - .offset:         96
        .size:           2
        .value_kind:     hidden_group_size_z
      - .offset:         98
        .size:           2
        .value_kind:     hidden_remainder_x
      - .offset:         100
        .size:           2
        .value_kind:     hidden_remainder_y
      - .offset:         102
        .size:           2
        .value_kind:     hidden_remainder_z
      - .offset:         120
        .size:           8
        .value_kind:     hidden_global_offset_x
      - .offset:         128
        .size:           8
        .value_kind:     hidden_global_offset_y
      - .offset:         136
        .size:           8
        .value_kind:     hidden_global_offset_z
      - .offset:         144
        .size:           2
        .value_kind:     hidden_grid_dims
    .group_segment_fixed_size: 26624
    .kernarg_segment_align: 8
    .kernarg_segment_size: 336
    .language:       OpenCL C
    .language_version:
      - 2
      - 0
    .max_flat_workgroup_size: 512
    .name:           _ZN7rocprim17ROCPRIM_304000_NS6detail25onesweep_iteration_kernelINS1_34wrapped_radix_sort_onesweep_configINS0_14default_configEhN2at4cuda3cub6detail10OpaqueTypeILi8EEEEELb1EPhSC_PSA_SD_mNS0_19identity_decomposerEEEvT1_T2_T3_T4_jPT5_SK_PNS1_23onesweep_lookback_stateET6_jjj
    .private_segment_fixed_size: 0
    .sgpr_count:     57
    .sgpr_spill_count: 0
    .symbol:         _ZN7rocprim17ROCPRIM_304000_NS6detail25onesweep_iteration_kernelINS1_34wrapped_radix_sort_onesweep_configINS0_14default_configEhN2at4cuda3cub6detail10OpaqueTypeILi8EEEEELb1EPhSC_PSA_SD_mNS0_19identity_decomposerEEEvT1_T2_T3_T4_jPT5_SK_PNS1_23onesweep_lookback_stateET6_jjj.kd
    .uniform_work_group_size: 1
    .uses_dynamic_stack: false
    .vgpr_count:     39
    .vgpr_spill_count: 0
    .wavefront_size: 64
  - .agpr_count:     0
    .args:
      - .address_space:  global
        .offset:         0
        .size:           8
        .value_kind:     global_buffer
      - .address_space:  global
        .offset:         8
        .size:           8
        .value_kind:     global_buffer
      - .address_space:  global
        .offset:         16
        .size:           8
        .value_kind:     global_buffer
      - .address_space:  global
        .offset:         24
        .size:           8
        .value_kind:     global_buffer
      - .offset:         32
        .size:           4
        .value_kind:     by_value
      - .offset:         36
        .size:           1
        .value_kind:     by_value
      - .offset:         40
        .size:           4
        .value_kind:     by_value
      - .offset:         44
        .size:           4
        .value_kind:     by_value
      - .offset:         48
        .size:           4
        .value_kind:     hidden_block_count_x
      - .offset:         52
        .size:           4
        .value_kind:     hidden_block_count_y
      - .offset:         56
        .size:           4
        .value_kind:     hidden_block_count_z
      - .offset:         60
        .size:           2
        .value_kind:     hidden_group_size_x
      - .offset:         62
        .size:           2
        .value_kind:     hidden_group_size_y
      - .offset:         64
        .size:           2
        .value_kind:     hidden_group_size_z
      - .offset:         66
        .size:           2
        .value_kind:     hidden_remainder_x
      - .offset:         68
        .size:           2
        .value_kind:     hidden_remainder_y
      - .offset:         70
        .size:           2
        .value_kind:     hidden_remainder_z
      - .offset:         88
        .size:           8
        .value_kind:     hidden_global_offset_x
      - .offset:         96
        .size:           8
        .value_kind:     hidden_global_offset_y
      - .offset:         104
        .size:           8
        .value_kind:     hidden_global_offset_z
      - .offset:         112
        .size:           2
        .value_kind:     hidden_grid_dims
    .group_segment_fixed_size: 8192
    .kernarg_segment_align: 8
    .kernarg_segment_size: 304
    .language:       OpenCL C
    .language_version:
      - 2
      - 0
    .max_flat_workgroup_size: 256
    .name:           _ZN7rocprim17ROCPRIM_304000_NS6detail28radix_sort_block_sort_kernelINS1_36wrapped_radix_sort_block_sort_configINS0_13kernel_configILj256ELj4ELj4294967295EEEhN2at4cuda3cub6detail10OpaqueTypeILi8EEEEELb0EPKhPhPKSB_PSB_NS0_19identity_decomposerEEEvT1_T2_T3_T4_jT5_jj
    .private_segment_fixed_size: 0
    .sgpr_count:     50
    .sgpr_spill_count: 0
    .symbol:         _ZN7rocprim17ROCPRIM_304000_NS6detail28radix_sort_block_sort_kernelINS1_36wrapped_radix_sort_block_sort_configINS0_13kernel_configILj256ELj4ELj4294967295EEEhN2at4cuda3cub6detail10OpaqueTypeILi8EEEEELb0EPKhPhPKSB_PSB_NS0_19identity_decomposerEEEvT1_T2_T3_T4_jT5_jj.kd
    .uniform_work_group_size: 1
    .uses_dynamic_stack: false
    .vgpr_count:     52
    .vgpr_spill_count: 0
    .wavefront_size: 64
  - .agpr_count:     0
    .args:
      - .address_space:  global
        .offset:         0
        .size:           8
        .value_kind:     global_buffer
      - .offset:         8
        .size:           4
        .value_kind:     by_value
      - .offset:         12
        .size:           4
        .value_kind:     by_value
      - .address_space:  global
        .offset:         16
        .size:           8
        .value_kind:     global_buffer
      - .offset:         24
        .size:           1
        .value_kind:     by_value
      - .offset:         28
        .size:           4
        .value_kind:     by_value
    .group_segment_fixed_size: 0
    .kernarg_segment_align: 8
    .kernarg_segment_size: 32
    .language:       OpenCL C
    .language_version:
      - 2
      - 0
    .max_flat_workgroup_size: 128
    .name:           _ZN7rocprim17ROCPRIM_304000_NS6detail45device_block_merge_mergepath_partition_kernelINS1_37wrapped_merge_sort_block_merge_configINS0_14default_configEhN2at4cuda3cub6detail10OpaqueTypeILi8EEEEEPhjNS1_19radix_merge_compareILb0ELb0EhNS0_19identity_decomposerEEEEEvT0_T1_jPSH_T2_SH_
    .private_segment_fixed_size: 0
    .sgpr_count:     12
    .sgpr_spill_count: 0
    .symbol:         _ZN7rocprim17ROCPRIM_304000_NS6detail45device_block_merge_mergepath_partition_kernelINS1_37wrapped_merge_sort_block_merge_configINS0_14default_configEhN2at4cuda3cub6detail10OpaqueTypeILi8EEEEEPhjNS1_19radix_merge_compareILb0ELb0EhNS0_19identity_decomposerEEEEEvT0_T1_jPSH_T2_SH_.kd
    .uniform_work_group_size: 1
    .uses_dynamic_stack: false
    .vgpr_count:     17
    .vgpr_spill_count: 0
    .wavefront_size: 64
  - .agpr_count:     0
    .args:
      - .address_space:  global
        .offset:         0
        .size:           8
        .value_kind:     global_buffer
      - .address_space:  global
        .offset:         8
        .size:           8
        .value_kind:     global_buffer
      - .address_space:  global
        .offset:         16
        .size:           8
        .value_kind:     global_buffer
      - .address_space:  global
        .offset:         24
        .size:           8
        .value_kind:     global_buffer
      - .offset:         32
        .size:           4
        .value_kind:     by_value
      - .offset:         36
        .size:           4
        .value_kind:     by_value
      - .offset:         40
        .size:           4
        .value_kind:     by_value
      - .offset:         44
        .size:           1
        .value_kind:     by_value
      - .address_space:  global
        .offset:         48
        .size:           8
        .value_kind:     global_buffer
      - .address_space:  global
        .offset:         56
        .size:           8
        .value_kind:     global_buffer
      - .offset:         64
        .size:           4
        .value_kind:     hidden_block_count_x
      - .offset:         68
        .size:           4
        .value_kind:     hidden_block_count_y
      - .offset:         72
        .size:           4
        .value_kind:     hidden_block_count_z
      - .offset:         76
        .size:           2
        .value_kind:     hidden_group_size_x
      - .offset:         78
        .size:           2
        .value_kind:     hidden_group_size_y
      - .offset:         80
        .size:           2
        .value_kind:     hidden_group_size_z
      - .offset:         82
        .size:           2
        .value_kind:     hidden_remainder_x
      - .offset:         84
        .size:           2
        .value_kind:     hidden_remainder_y
      - .offset:         86
        .size:           2
        .value_kind:     hidden_remainder_z
      - .offset:         104
        .size:           8
        .value_kind:     hidden_global_offset_x
      - .offset:         112
        .size:           8
        .value_kind:     hidden_global_offset_y
      - .offset:         120
        .size:           8
        .value_kind:     hidden_global_offset_z
      - .offset:         128
        .size:           2
        .value_kind:     hidden_grid_dims
    .group_segment_fixed_size: 8208
    .kernarg_segment_align: 8
    .kernarg_segment_size: 320
    .language:       OpenCL C
    .language_version:
      - 2
      - 0
    .max_flat_workgroup_size: 512
    .name:           _ZN7rocprim17ROCPRIM_304000_NS6detail35device_block_merge_mergepath_kernelINS1_37wrapped_merge_sort_block_merge_configINS0_14default_configEhN2at4cuda3cub6detail10OpaqueTypeILi8EEEEEPhSC_PSA_SD_jNS1_19radix_merge_compareILb0ELb0EhNS0_19identity_decomposerEEEEEvT0_T1_T2_T3_T4_SL_jT5_PKSL_NS1_7vsmem_tE
    .private_segment_fixed_size: 0
    .sgpr_count:     34
    .sgpr_spill_count: 0
    .symbol:         _ZN7rocprim17ROCPRIM_304000_NS6detail35device_block_merge_mergepath_kernelINS1_37wrapped_merge_sort_block_merge_configINS0_14default_configEhN2at4cuda3cub6detail10OpaqueTypeILi8EEEEEPhSC_PSA_SD_jNS1_19radix_merge_compareILb0ELb0EhNS0_19identity_decomposerEEEEEvT0_T1_T2_T3_T4_SL_jT5_PKSL_NS1_7vsmem_tE.kd
    .uniform_work_group_size: 1
    .uses_dynamic_stack: false
    .vgpr_count:     16
    .vgpr_spill_count: 0
    .wavefront_size: 64
  - .agpr_count:     0
    .args:
      - .address_space:  global
        .offset:         0
        .size:           8
        .value_kind:     global_buffer
      - .address_space:  global
        .offset:         8
        .size:           8
        .value_kind:     global_buffer
      - .address_space:  global
        .offset:         16
        .size:           8
        .value_kind:     global_buffer
      - .address_space:  global
        .offset:         24
        .size:           8
        .value_kind:     global_buffer
      - .offset:         32
        .size:           4
        .value_kind:     by_value
      - .offset:         36
        .size:           4
        .value_kind:     by_value
      - .offset:         40
        .size:           1
        .value_kind:     by_value
    .group_segment_fixed_size: 0
    .kernarg_segment_align: 8
    .kernarg_segment_size: 44
    .language:       OpenCL C
    .language_version:
      - 2
      - 0
    .max_flat_workgroup_size: 256
    .name:           _ZN7rocprim17ROCPRIM_304000_NS6detail33device_block_merge_oddeven_kernelINS1_37wrapped_merge_sort_block_merge_configINS0_14default_configEhN2at4cuda3cub6detail10OpaqueTypeILi8EEEEEPhSC_PSA_SD_jNS1_19radix_merge_compareILb0ELb0EhNS0_19identity_decomposerEEEEEvT0_T1_T2_T3_T4_SL_T5_
    .private_segment_fixed_size: 0
    .sgpr_count:     28
    .sgpr_spill_count: 0
    .symbol:         _ZN7rocprim17ROCPRIM_304000_NS6detail33device_block_merge_oddeven_kernelINS1_37wrapped_merge_sort_block_merge_configINS0_14default_configEhN2at4cuda3cub6detail10OpaqueTypeILi8EEEEEPhSC_PSA_SD_jNS1_19radix_merge_compareILb0ELb0EhNS0_19identity_decomposerEEEEEvT0_T1_T2_T3_T4_SL_T5_.kd
    .uniform_work_group_size: 1
    .uses_dynamic_stack: false
    .vgpr_count:     10
    .vgpr_spill_count: 0
    .wavefront_size: 64
  - .agpr_count:     0
    .args:
      - .address_space:  global
        .offset:         0
        .size:           8
        .value_kind:     global_buffer
      - .offset:         8
        .size:           4
        .value_kind:     by_value
      - .offset:         12
        .size:           4
        .value_kind:     by_value
      - .address_space:  global
        .offset:         16
        .size:           8
        .value_kind:     global_buffer
      - .offset:         24
        .size:           1
        .value_kind:     by_value
      - .offset:         28
        .size:           4
        .value_kind:     by_value
    .group_segment_fixed_size: 0
    .kernarg_segment_align: 8
    .kernarg_segment_size: 32
    .language:       OpenCL C
    .language_version:
      - 2
      - 0
    .max_flat_workgroup_size: 128
    .name:           _ZN7rocprim17ROCPRIM_304000_NS6detail45device_block_merge_mergepath_partition_kernelINS1_37wrapped_merge_sort_block_merge_configINS0_14default_configEhN2at4cuda3cub6detail10OpaqueTypeILi8EEEEEPhjNS1_19radix_merge_compareILb0ELb1EhNS0_19identity_decomposerEEEEEvT0_T1_jPSH_T2_SH_
    .private_segment_fixed_size: 0
    .sgpr_count:     16
    .sgpr_spill_count: 0
    .symbol:         _ZN7rocprim17ROCPRIM_304000_NS6detail45device_block_merge_mergepath_partition_kernelINS1_37wrapped_merge_sort_block_merge_configINS0_14default_configEhN2at4cuda3cub6detail10OpaqueTypeILi8EEEEEPhjNS1_19radix_merge_compareILb0ELb1EhNS0_19identity_decomposerEEEEEvT0_T1_jPSH_T2_SH_.kd
    .uniform_work_group_size: 1
    .uses_dynamic_stack: false
    .vgpr_count:     18
    .vgpr_spill_count: 0
    .wavefront_size: 64
  - .agpr_count:     0
    .args:
      - .address_space:  global
        .offset:         0
        .size:           8
        .value_kind:     global_buffer
      - .address_space:  global
        .offset:         8
        .size:           8
        .value_kind:     global_buffer
      - .address_space:  global
        .offset:         16
        .size:           8
        .value_kind:     global_buffer
      - .address_space:  global
        .offset:         24
        .size:           8
        .value_kind:     global_buffer
      - .offset:         32
        .size:           4
        .value_kind:     by_value
      - .offset:         36
        .size:           4
        .value_kind:     by_value
      - .offset:         40
        .size:           4
        .value_kind:     by_value
      - .offset:         44
        .size:           1
        .value_kind:     by_value
      - .address_space:  global
        .offset:         48
        .size:           8
        .value_kind:     global_buffer
      - .address_space:  global
        .offset:         56
        .size:           8
        .value_kind:     global_buffer
      - .offset:         64
        .size:           4
        .value_kind:     hidden_block_count_x
      - .offset:         68
        .size:           4
        .value_kind:     hidden_block_count_y
      - .offset:         72
        .size:           4
        .value_kind:     hidden_block_count_z
      - .offset:         76
        .size:           2
        .value_kind:     hidden_group_size_x
      - .offset:         78
        .size:           2
        .value_kind:     hidden_group_size_y
      - .offset:         80
        .size:           2
        .value_kind:     hidden_group_size_z
      - .offset:         82
        .size:           2
        .value_kind:     hidden_remainder_x
      - .offset:         84
        .size:           2
        .value_kind:     hidden_remainder_y
      - .offset:         86
        .size:           2
        .value_kind:     hidden_remainder_z
      - .offset:         104
        .size:           8
        .value_kind:     hidden_global_offset_x
      - .offset:         112
        .size:           8
        .value_kind:     hidden_global_offset_y
      - .offset:         120
        .size:           8
        .value_kind:     hidden_global_offset_z
      - .offset:         128
        .size:           2
        .value_kind:     hidden_grid_dims
    .group_segment_fixed_size: 8208
    .kernarg_segment_align: 8
    .kernarg_segment_size: 320
    .language:       OpenCL C
    .language_version:
      - 2
      - 0
    .max_flat_workgroup_size: 512
    .name:           _ZN7rocprim17ROCPRIM_304000_NS6detail35device_block_merge_mergepath_kernelINS1_37wrapped_merge_sort_block_merge_configINS0_14default_configEhN2at4cuda3cub6detail10OpaqueTypeILi8EEEEEPhSC_PSA_SD_jNS1_19radix_merge_compareILb0ELb1EhNS0_19identity_decomposerEEEEEvT0_T1_T2_T3_T4_SL_jT5_PKSL_NS1_7vsmem_tE
    .private_segment_fixed_size: 0
    .sgpr_count:     35
    .sgpr_spill_count: 0
    .symbol:         _ZN7rocprim17ROCPRIM_304000_NS6detail35device_block_merge_mergepath_kernelINS1_37wrapped_merge_sort_block_merge_configINS0_14default_configEhN2at4cuda3cub6detail10OpaqueTypeILi8EEEEEPhSC_PSA_SD_jNS1_19radix_merge_compareILb0ELb1EhNS0_19identity_decomposerEEEEEvT0_T1_T2_T3_T4_SL_jT5_PKSL_NS1_7vsmem_tE.kd
    .uniform_work_group_size: 1
    .uses_dynamic_stack: false
    .vgpr_count:     16
    .vgpr_spill_count: 0
    .wavefront_size: 64
  - .agpr_count:     0
    .args:
      - .address_space:  global
        .offset:         0
        .size:           8
        .value_kind:     global_buffer
      - .address_space:  global
        .offset:         8
        .size:           8
        .value_kind:     global_buffer
      - .address_space:  global
        .offset:         16
        .size:           8
        .value_kind:     global_buffer
      - .address_space:  global
        .offset:         24
        .size:           8
        .value_kind:     global_buffer
      - .offset:         32
        .size:           4
        .value_kind:     by_value
      - .offset:         36
        .size:           4
        .value_kind:     by_value
      - .offset:         40
        .size:           1
        .value_kind:     by_value
    .group_segment_fixed_size: 0
    .kernarg_segment_align: 8
    .kernarg_segment_size: 44
    .language:       OpenCL C
    .language_version:
      - 2
      - 0
    .max_flat_workgroup_size: 256
    .name:           _ZN7rocprim17ROCPRIM_304000_NS6detail33device_block_merge_oddeven_kernelINS1_37wrapped_merge_sort_block_merge_configINS0_14default_configEhN2at4cuda3cub6detail10OpaqueTypeILi8EEEEEPhSC_PSA_SD_jNS1_19radix_merge_compareILb0ELb1EhNS0_19identity_decomposerEEEEEvT0_T1_T2_T3_T4_SL_T5_
    .private_segment_fixed_size: 0
    .sgpr_count:     30
    .sgpr_spill_count: 0
    .symbol:         _ZN7rocprim17ROCPRIM_304000_NS6detail33device_block_merge_oddeven_kernelINS1_37wrapped_merge_sort_block_merge_configINS0_14default_configEhN2at4cuda3cub6detail10OpaqueTypeILi8EEEEEPhSC_PSA_SD_jNS1_19radix_merge_compareILb0ELb1EhNS0_19identity_decomposerEEEEEvT0_T1_T2_T3_T4_SL_T5_.kd
    .uniform_work_group_size: 1
    .uses_dynamic_stack: false
    .vgpr_count:     11
    .vgpr_spill_count: 0
    .wavefront_size: 64
  - .agpr_count:     0
    .args:
      - .address_space:  global
        .offset:         0
        .size:           8
        .value_kind:     global_buffer
      - .address_space:  global
        .offset:         8
        .size:           8
        .value_kind:     global_buffer
      - .offset:         16
        .size:           8
        .value_kind:     by_value
      - .offset:         24
        .size:           8
        .value_kind:     by_value
      - .offset:         32
        .size:           1
        .value_kind:     by_value
      - .offset:         36
        .size:           4
        .value_kind:     by_value
      - .offset:         40
        .size:           4
        .value_kind:     by_value
    .group_segment_fixed_size: 4096
    .kernarg_segment_align: 8
    .kernarg_segment_size: 44
    .language:       OpenCL C
    .language_version:
      - 2
      - 0
    .max_flat_workgroup_size: 512
    .name:           _ZN7rocprim17ROCPRIM_304000_NS6detail26onesweep_histograms_kernelINS1_34wrapped_radix_sort_onesweep_configINS0_14default_configEhN2at4cuda3cub6detail10OpaqueTypeILi8EEEEELb0EPKhmNS0_19identity_decomposerEEEvT1_PT2_SG_SG_T3_jj
    .private_segment_fixed_size: 0
    .sgpr_count:     34
    .sgpr_spill_count: 0
    .symbol:         _ZN7rocprim17ROCPRIM_304000_NS6detail26onesweep_histograms_kernelINS1_34wrapped_radix_sort_onesweep_configINS0_14default_configEhN2at4cuda3cub6detail10OpaqueTypeILi8EEEEELb0EPKhmNS0_19identity_decomposerEEEvT1_PT2_SG_SG_T3_jj.kd
    .uniform_work_group_size: 1
    .uses_dynamic_stack: false
    .vgpr_count:     18
    .vgpr_spill_count: 0
    .wavefront_size: 64
  - .agpr_count:     0
    .args:
      - .address_space:  global
        .offset:         0
        .size:           8
        .value_kind:     global_buffer
      - .address_space:  global
        .offset:         8
        .size:           8
        .value_kind:     global_buffer
      - .address_space:  global
        .offset:         16
        .size:           8
        .value_kind:     global_buffer
      - .address_space:  global
        .offset:         24
        .size:           8
        .value_kind:     global_buffer
      - .offset:         32
        .size:           4
        .value_kind:     by_value
      - .address_space:  global
        .offset:         40
        .size:           8
        .value_kind:     global_buffer
      - .address_space:  global
        .offset:         48
        .size:           8
        .value_kind:     global_buffer
      - .address_space:  global
        .offset:         56
        .size:           8
        .value_kind:     global_buffer
      - .offset:         64
        .size:           1
        .value_kind:     by_value
      - .offset:         68
        .size:           4
        .value_kind:     by_value
      - .offset:         72
        .size:           4
        .value_kind:     by_value
      - .offset:         76
        .size:           4
        .value_kind:     by_value
      - .offset:         80
        .size:           4
        .value_kind:     hidden_block_count_x
      - .offset:         84
        .size:           4
        .value_kind:     hidden_block_count_y
      - .offset:         88
        .size:           4
        .value_kind:     hidden_block_count_z
      - .offset:         92
        .size:           2
        .value_kind:     hidden_group_size_x
      - .offset:         94
        .size:           2
        .value_kind:     hidden_group_size_y
      - .offset:         96
        .size:           2
        .value_kind:     hidden_group_size_z
      - .offset:         98
        .size:           2
        .value_kind:     hidden_remainder_x
      - .offset:         100
        .size:           2
        .value_kind:     hidden_remainder_y
      - .offset:         102
        .size:           2
        .value_kind:     hidden_remainder_z
      - .offset:         120
        .size:           8
        .value_kind:     hidden_global_offset_x
      - .offset:         128
        .size:           8
        .value_kind:     hidden_global_offset_y
      - .offset:         136
        .size:           8
        .value_kind:     hidden_global_offset_z
      - .offset:         144
        .size:           2
        .value_kind:     hidden_grid_dims
    .group_segment_fixed_size: 26624
    .kernarg_segment_align: 8
    .kernarg_segment_size: 336
    .language:       OpenCL C
    .language_version:
      - 2
      - 0
    .max_flat_workgroup_size: 512
    .name:           _ZN7rocprim17ROCPRIM_304000_NS6detail25onesweep_iteration_kernelINS1_34wrapped_radix_sort_onesweep_configINS0_14default_configEhN2at4cuda3cub6detail10OpaqueTypeILi8EEEEELb0EPKhPhPKSA_PSA_mNS0_19identity_decomposerEEEvT1_T2_T3_T4_jPT5_SO_PNS1_23onesweep_lookback_stateET6_jjj
    .private_segment_fixed_size: 0
    .sgpr_count:     57
    .sgpr_spill_count: 0
    .symbol:         _ZN7rocprim17ROCPRIM_304000_NS6detail25onesweep_iteration_kernelINS1_34wrapped_radix_sort_onesweep_configINS0_14default_configEhN2at4cuda3cub6detail10OpaqueTypeILi8EEEEELb0EPKhPhPKSA_PSA_mNS0_19identity_decomposerEEEvT1_T2_T3_T4_jPT5_SO_PNS1_23onesweep_lookback_stateET6_jjj.kd
    .uniform_work_group_size: 1
    .uses_dynamic_stack: false
    .vgpr_count:     40
    .vgpr_spill_count: 0
    .wavefront_size: 64
  - .agpr_count:     0
    .args:
      - .address_space:  global
        .offset:         0
        .size:           8
        .value_kind:     global_buffer
      - .address_space:  global
        .offset:         8
        .size:           8
        .value_kind:     global_buffer
      - .address_space:  global
        .offset:         16
        .size:           8
        .value_kind:     global_buffer
      - .address_space:  global
        .offset:         24
        .size:           8
        .value_kind:     global_buffer
      - .offset:         32
        .size:           4
        .value_kind:     by_value
      - .address_space:  global
        .offset:         40
        .size:           8
        .value_kind:     global_buffer
      - .address_space:  global
        .offset:         48
        .size:           8
        .value_kind:     global_buffer
      - .address_space:  global
        .offset:         56
        .size:           8
        .value_kind:     global_buffer
      - .offset:         64
        .size:           1
        .value_kind:     by_value
      - .offset:         68
        .size:           4
        .value_kind:     by_value
      - .offset:         72
        .size:           4
        .value_kind:     by_value
      - .offset:         76
        .size:           4
        .value_kind:     by_value
      - .offset:         80
        .size:           4
        .value_kind:     hidden_block_count_x
      - .offset:         84
        .size:           4
        .value_kind:     hidden_block_count_y
      - .offset:         88
        .size:           4
        .value_kind:     hidden_block_count_z
      - .offset:         92
        .size:           2
        .value_kind:     hidden_group_size_x
      - .offset:         94
        .size:           2
        .value_kind:     hidden_group_size_y
      - .offset:         96
        .size:           2
        .value_kind:     hidden_group_size_z
      - .offset:         98
        .size:           2
        .value_kind:     hidden_remainder_x
      - .offset:         100
        .size:           2
        .value_kind:     hidden_remainder_y
      - .offset:         102
        .size:           2
        .value_kind:     hidden_remainder_z
      - .offset:         120
        .size:           8
        .value_kind:     hidden_global_offset_x
      - .offset:         128
        .size:           8
        .value_kind:     hidden_global_offset_y
      - .offset:         136
        .size:           8
        .value_kind:     hidden_global_offset_z
      - .offset:         144
        .size:           2
        .value_kind:     hidden_grid_dims
    .group_segment_fixed_size: 26624
    .kernarg_segment_align: 8
    .kernarg_segment_size: 336
    .language:       OpenCL C
    .language_version:
      - 2
      - 0
    .max_flat_workgroup_size: 512
    .name:           _ZN7rocprim17ROCPRIM_304000_NS6detail25onesweep_iteration_kernelINS1_34wrapped_radix_sort_onesweep_configINS0_14default_configEhN2at4cuda3cub6detail10OpaqueTypeILi8EEEEELb0EPhSC_PSA_SD_mNS0_19identity_decomposerEEEvT1_T2_T3_T4_jPT5_SK_PNS1_23onesweep_lookback_stateET6_jjj
    .private_segment_fixed_size: 0
    .sgpr_count:     57
    .sgpr_spill_count: 0
    .symbol:         _ZN7rocprim17ROCPRIM_304000_NS6detail25onesweep_iteration_kernelINS1_34wrapped_radix_sort_onesweep_configINS0_14default_configEhN2at4cuda3cub6detail10OpaqueTypeILi8EEEEELb0EPhSC_PSA_SD_mNS0_19identity_decomposerEEEvT1_T2_T3_T4_jPT5_SK_PNS1_23onesweep_lookback_stateET6_jjj.kd
    .uniform_work_group_size: 1
    .uses_dynamic_stack: false
    .vgpr_count:     40
    .vgpr_spill_count: 0
    .wavefront_size: 64
  - .agpr_count:     0
    .args:
      - .address_space:  global
        .offset:         0
        .size:           8
        .value_kind:     global_buffer
      - .address_space:  global
        .offset:         8
        .size:           8
        .value_kind:     global_buffer
      - .address_space:  global
        .offset:         16
        .size:           8
        .value_kind:     global_buffer
      - .address_space:  global
        .offset:         24
        .size:           8
        .value_kind:     global_buffer
      - .offset:         32
        .size:           4
        .value_kind:     by_value
      - .offset:         36
        .size:           1
        .value_kind:     by_value
      - .offset:         40
        .size:           4
        .value_kind:     by_value
      - .offset:         44
        .size:           4
        .value_kind:     by_value
      - .offset:         48
        .size:           4
        .value_kind:     hidden_block_count_x
      - .offset:         52
        .size:           4
        .value_kind:     hidden_block_count_y
      - .offset:         56
        .size:           4
        .value_kind:     hidden_block_count_z
      - .offset:         60
        .size:           2
        .value_kind:     hidden_group_size_x
      - .offset:         62
        .size:           2
        .value_kind:     hidden_group_size_y
      - .offset:         64
        .size:           2
        .value_kind:     hidden_group_size_z
      - .offset:         66
        .size:           2
        .value_kind:     hidden_remainder_x
      - .offset:         68
        .size:           2
        .value_kind:     hidden_remainder_y
      - .offset:         70
        .size:           2
        .value_kind:     hidden_remainder_z
      - .offset:         88
        .size:           8
        .value_kind:     hidden_global_offset_x
      - .offset:         96
        .size:           8
        .value_kind:     hidden_global_offset_y
      - .offset:         104
        .size:           8
        .value_kind:     hidden_global_offset_z
      - .offset:         112
        .size:           2
        .value_kind:     hidden_grid_dims
    .group_segment_fixed_size: 8192
    .kernarg_segment_align: 8
    .kernarg_segment_size: 304
    .language:       OpenCL C
    .language_version:
      - 2
      - 0
    .max_flat_workgroup_size: 256
    .name:           _ZN7rocprim17ROCPRIM_304000_NS6detail28radix_sort_block_sort_kernelINS1_36wrapped_radix_sort_block_sort_configINS0_13kernel_configILj256ELj4ELj4294967295EEEaN2at4cuda3cub6detail10OpaqueTypeILi8EEEEELb1EPKaPaPKSB_PSB_NS0_19identity_decomposerEEEvT1_T2_T3_T4_jT5_jj
    .private_segment_fixed_size: 0
    .sgpr_count:     52
    .sgpr_spill_count: 0
    .symbol:         _ZN7rocprim17ROCPRIM_304000_NS6detail28radix_sort_block_sort_kernelINS1_36wrapped_radix_sort_block_sort_configINS0_13kernel_configILj256ELj4ELj4294967295EEEaN2at4cuda3cub6detail10OpaqueTypeILi8EEEEELb1EPKaPaPKSB_PSB_NS0_19identity_decomposerEEEvT1_T2_T3_T4_jT5_jj.kd
    .uniform_work_group_size: 1
    .uses_dynamic_stack: false
    .vgpr_count:     50
    .vgpr_spill_count: 0
    .wavefront_size: 64
  - .agpr_count:     0
    .args:           []
    .group_segment_fixed_size: 0
    .kernarg_segment_align: 4
    .kernarg_segment_size: 0
    .language:       OpenCL C
    .language_version:
      - 2
      - 0
    .max_flat_workgroup_size: 1024
    .name:           _ZN7rocprim17ROCPRIM_304000_NS6detail39device_merge_sort_compile_time_verifierINS1_36wrapped_merge_sort_block_sort_configINS1_28merge_sort_block_sort_configILj256ELj4ELNS0_20block_sort_algorithmE0EEEaN2at4cuda3cub6detail10OpaqueTypeILi8EEEEENS1_37wrapped_merge_sort_block_merge_configINS0_14default_configEaSC_EEEEvv
    .private_segment_fixed_size: 0
    .sgpr_count:     6
    .sgpr_spill_count: 0
    .symbol:         _ZN7rocprim17ROCPRIM_304000_NS6detail39device_merge_sort_compile_time_verifierINS1_36wrapped_merge_sort_block_sort_configINS1_28merge_sort_block_sort_configILj256ELj4ELNS0_20block_sort_algorithmE0EEEaN2at4cuda3cub6detail10OpaqueTypeILi8EEEEENS1_37wrapped_merge_sort_block_merge_configINS0_14default_configEaSC_EEEEvv.kd
    .uniform_work_group_size: 1
    .uses_dynamic_stack: false
    .vgpr_count:     0
    .vgpr_spill_count: 0
    .wavefront_size: 64
  - .agpr_count:     0
    .args:
      - .address_space:  global
        .offset:         0
        .size:           8
        .value_kind:     global_buffer
      - .offset:         8
        .size:           4
        .value_kind:     by_value
      - .offset:         12
        .size:           4
        .value_kind:     by_value
      - .address_space:  global
        .offset:         16
        .size:           8
        .value_kind:     global_buffer
      - .offset:         24
        .size:           1
        .value_kind:     by_value
      - .offset:         28
        .size:           4
        .value_kind:     by_value
    .group_segment_fixed_size: 0
    .kernarg_segment_align: 8
    .kernarg_segment_size: 32
    .language:       OpenCL C
    .language_version:
      - 2
      - 0
    .max_flat_workgroup_size: 128
    .name:           _ZN7rocprim17ROCPRIM_304000_NS6detail45device_block_merge_mergepath_partition_kernelINS1_37wrapped_merge_sort_block_merge_configINS0_14default_configEaN2at4cuda3cub6detail10OpaqueTypeILi8EEEEEPajNS1_19radix_merge_compareILb1ELb0EaNS0_19identity_decomposerEEEEEvT0_T1_jPSH_T2_SH_
    .private_segment_fixed_size: 0
    .sgpr_count:     12
    .sgpr_spill_count: 0
    .symbol:         _ZN7rocprim17ROCPRIM_304000_NS6detail45device_block_merge_mergepath_partition_kernelINS1_37wrapped_merge_sort_block_merge_configINS0_14default_configEaN2at4cuda3cub6detail10OpaqueTypeILi8EEEEEPajNS1_19radix_merge_compareILb1ELb0EaNS0_19identity_decomposerEEEEEvT0_T1_jPSH_T2_SH_.kd
    .uniform_work_group_size: 1
    .uses_dynamic_stack: false
    .vgpr_count:     17
    .vgpr_spill_count: 0
    .wavefront_size: 64
  - .agpr_count:     0
    .args:
      - .address_space:  global
        .offset:         0
        .size:           8
        .value_kind:     global_buffer
      - .address_space:  global
        .offset:         8
        .size:           8
        .value_kind:     global_buffer
      - .address_space:  global
        .offset:         16
        .size:           8
        .value_kind:     global_buffer
      - .address_space:  global
        .offset:         24
        .size:           8
        .value_kind:     global_buffer
      - .offset:         32
        .size:           4
        .value_kind:     by_value
      - .offset:         36
        .size:           4
        .value_kind:     by_value
      - .offset:         40
        .size:           4
        .value_kind:     by_value
      - .offset:         44
        .size:           1
        .value_kind:     by_value
      - .address_space:  global
        .offset:         48
        .size:           8
        .value_kind:     global_buffer
      - .address_space:  global
        .offset:         56
        .size:           8
        .value_kind:     global_buffer
      - .offset:         64
        .size:           4
        .value_kind:     hidden_block_count_x
      - .offset:         68
        .size:           4
        .value_kind:     hidden_block_count_y
      - .offset:         72
        .size:           4
        .value_kind:     hidden_block_count_z
      - .offset:         76
        .size:           2
        .value_kind:     hidden_group_size_x
      - .offset:         78
        .size:           2
        .value_kind:     hidden_group_size_y
      - .offset:         80
        .size:           2
        .value_kind:     hidden_group_size_z
      - .offset:         82
        .size:           2
        .value_kind:     hidden_remainder_x
      - .offset:         84
        .size:           2
        .value_kind:     hidden_remainder_y
      - .offset:         86
        .size:           2
        .value_kind:     hidden_remainder_z
      - .offset:         104
        .size:           8
        .value_kind:     hidden_global_offset_x
      - .offset:         112
        .size:           8
        .value_kind:     hidden_global_offset_y
      - .offset:         120
        .size:           8
        .value_kind:     hidden_global_offset_z
      - .offset:         128
        .size:           2
        .value_kind:     hidden_grid_dims
    .group_segment_fixed_size: 8208
    .kernarg_segment_align: 8
    .kernarg_segment_size: 320
    .language:       OpenCL C
    .language_version:
      - 2
      - 0
    .max_flat_workgroup_size: 512
    .name:           _ZN7rocprim17ROCPRIM_304000_NS6detail35device_block_merge_mergepath_kernelINS1_37wrapped_merge_sort_block_merge_configINS0_14default_configEaN2at4cuda3cub6detail10OpaqueTypeILi8EEEEEPaSC_PSA_SD_jNS1_19radix_merge_compareILb1ELb0EaNS0_19identity_decomposerEEEEEvT0_T1_T2_T3_T4_SL_jT5_PKSL_NS1_7vsmem_tE
    .private_segment_fixed_size: 0
    .sgpr_count:     34
    .sgpr_spill_count: 0
    .symbol:         _ZN7rocprim17ROCPRIM_304000_NS6detail35device_block_merge_mergepath_kernelINS1_37wrapped_merge_sort_block_merge_configINS0_14default_configEaN2at4cuda3cub6detail10OpaqueTypeILi8EEEEEPaSC_PSA_SD_jNS1_19radix_merge_compareILb1ELb0EaNS0_19identity_decomposerEEEEEvT0_T1_T2_T3_T4_SL_jT5_PKSL_NS1_7vsmem_tE.kd
    .uniform_work_group_size: 1
    .uses_dynamic_stack: false
    .vgpr_count:     16
    .vgpr_spill_count: 0
    .wavefront_size: 64
  - .agpr_count:     0
    .args:
      - .address_space:  global
        .offset:         0
        .size:           8
        .value_kind:     global_buffer
      - .address_space:  global
        .offset:         8
        .size:           8
        .value_kind:     global_buffer
      - .address_space:  global
        .offset:         16
        .size:           8
        .value_kind:     global_buffer
      - .address_space:  global
        .offset:         24
        .size:           8
        .value_kind:     global_buffer
      - .offset:         32
        .size:           4
        .value_kind:     by_value
      - .offset:         36
        .size:           4
        .value_kind:     by_value
      - .offset:         40
        .size:           1
        .value_kind:     by_value
    .group_segment_fixed_size: 0
    .kernarg_segment_align: 8
    .kernarg_segment_size: 44
    .language:       OpenCL C
    .language_version:
      - 2
      - 0
    .max_flat_workgroup_size: 256
    .name:           _ZN7rocprim17ROCPRIM_304000_NS6detail33device_block_merge_oddeven_kernelINS1_37wrapped_merge_sort_block_merge_configINS0_14default_configEaN2at4cuda3cub6detail10OpaqueTypeILi8EEEEEPaSC_PSA_SD_jNS1_19radix_merge_compareILb1ELb0EaNS0_19identity_decomposerEEEEEvT0_T1_T2_T3_T4_SL_T5_
    .private_segment_fixed_size: 0
    .sgpr_count:     28
    .sgpr_spill_count: 0
    .symbol:         _ZN7rocprim17ROCPRIM_304000_NS6detail33device_block_merge_oddeven_kernelINS1_37wrapped_merge_sort_block_merge_configINS0_14default_configEaN2at4cuda3cub6detail10OpaqueTypeILi8EEEEEPaSC_PSA_SD_jNS1_19radix_merge_compareILb1ELb0EaNS0_19identity_decomposerEEEEEvT0_T1_T2_T3_T4_SL_T5_.kd
    .uniform_work_group_size: 1
    .uses_dynamic_stack: false
    .vgpr_count:     10
    .vgpr_spill_count: 0
    .wavefront_size: 64
  - .agpr_count:     0
    .args:
      - .address_space:  global
        .offset:         0
        .size:           8
        .value_kind:     global_buffer
      - .offset:         8
        .size:           8
        .value_kind:     by_value
      - .address_space:  global
        .offset:         16
        .size:           8
        .value_kind:     global_buffer
      - .offset:         24
        .size:           1
        .value_kind:     by_value
      - .offset:         32
        .size:           4
        .value_kind:     hidden_block_count_x
      - .offset:         36
        .size:           4
        .value_kind:     hidden_block_count_y
      - .offset:         40
        .size:           4
        .value_kind:     hidden_block_count_z
      - .offset:         44
        .size:           2
        .value_kind:     hidden_group_size_x
      - .offset:         46
        .size:           2
        .value_kind:     hidden_group_size_y
      - .offset:         48
        .size:           2
        .value_kind:     hidden_group_size_z
      - .offset:         50
        .size:           2
        .value_kind:     hidden_remainder_x
      - .offset:         52
        .size:           2
        .value_kind:     hidden_remainder_y
      - .offset:         54
        .size:           2
        .value_kind:     hidden_remainder_z
      - .offset:         72
        .size:           8
        .value_kind:     hidden_global_offset_x
      - .offset:         80
        .size:           8
        .value_kind:     hidden_global_offset_y
      - .offset:         88
        .size:           8
        .value_kind:     hidden_global_offset_z
      - .offset:         96
        .size:           2
        .value_kind:     hidden_grid_dims
    .group_segment_fixed_size: 0
    .kernarg_segment_align: 8
    .kernarg_segment_size: 288
    .language:       OpenCL C
    .language_version:
      - 2
      - 0
    .max_flat_workgroup_size: 128
    .name:           _ZN7rocprim17ROCPRIM_304000_NS6detail16transform_kernelINS1_24wrapped_transform_configINS0_14default_configEaEEaPaS6_NS0_8identityIaEEEEvT1_mT2_T3_
    .private_segment_fixed_size: 0
    .sgpr_count:     27
    .sgpr_spill_count: 0
    .symbol:         _ZN7rocprim17ROCPRIM_304000_NS6detail16transform_kernelINS1_24wrapped_transform_configINS0_14default_configEaEEaPaS6_NS0_8identityIaEEEEvT1_mT2_T3_.kd
    .uniform_work_group_size: 1
    .uses_dynamic_stack: false
    .vgpr_count:     19
    .vgpr_spill_count: 0
    .wavefront_size: 64
  - .agpr_count:     0
    .args:
      - .address_space:  global
        .offset:         0
        .size:           8
        .value_kind:     global_buffer
      - .offset:         8
        .size:           4
        .value_kind:     by_value
      - .offset:         12
        .size:           4
        .value_kind:     by_value
      - .address_space:  global
        .offset:         16
        .size:           8
        .value_kind:     global_buffer
      - .offset:         24
        .size:           1
        .value_kind:     by_value
      - .offset:         28
        .size:           4
        .value_kind:     by_value
    .group_segment_fixed_size: 0
    .kernarg_segment_align: 8
    .kernarg_segment_size: 32
    .language:       OpenCL C
    .language_version:
      - 2
      - 0
    .max_flat_workgroup_size: 128
    .name:           _ZN7rocprim17ROCPRIM_304000_NS6detail45device_block_merge_mergepath_partition_kernelINS1_37wrapped_merge_sort_block_merge_configINS0_14default_configEaN2at4cuda3cub6detail10OpaqueTypeILi8EEEEEPajNS1_19radix_merge_compareILb1ELb1EaNS0_19identity_decomposerEEEEEvT0_T1_jPSH_T2_SH_
    .private_segment_fixed_size: 0
    .sgpr_count:     14
    .sgpr_spill_count: 0
    .symbol:         _ZN7rocprim17ROCPRIM_304000_NS6detail45device_block_merge_mergepath_partition_kernelINS1_37wrapped_merge_sort_block_merge_configINS0_14default_configEaN2at4cuda3cub6detail10OpaqueTypeILi8EEEEEPajNS1_19radix_merge_compareILb1ELb1EaNS0_19identity_decomposerEEEEEvT0_T1_jPSH_T2_SH_.kd
    .uniform_work_group_size: 1
    .uses_dynamic_stack: false
    .vgpr_count:     17
    .vgpr_spill_count: 0
    .wavefront_size: 64
  - .agpr_count:     0
    .args:
      - .address_space:  global
        .offset:         0
        .size:           8
        .value_kind:     global_buffer
      - .address_space:  global
        .offset:         8
        .size:           8
        .value_kind:     global_buffer
      - .address_space:  global
        .offset:         16
        .size:           8
        .value_kind:     global_buffer
      - .address_space:  global
        .offset:         24
        .size:           8
        .value_kind:     global_buffer
      - .offset:         32
        .size:           4
        .value_kind:     by_value
      - .offset:         36
        .size:           4
        .value_kind:     by_value
      - .offset:         40
        .size:           4
        .value_kind:     by_value
      - .offset:         44
        .size:           1
        .value_kind:     by_value
      - .address_space:  global
        .offset:         48
        .size:           8
        .value_kind:     global_buffer
      - .address_space:  global
        .offset:         56
        .size:           8
        .value_kind:     global_buffer
      - .offset:         64
        .size:           4
        .value_kind:     hidden_block_count_x
      - .offset:         68
        .size:           4
        .value_kind:     hidden_block_count_y
      - .offset:         72
        .size:           4
        .value_kind:     hidden_block_count_z
      - .offset:         76
        .size:           2
        .value_kind:     hidden_group_size_x
      - .offset:         78
        .size:           2
        .value_kind:     hidden_group_size_y
      - .offset:         80
        .size:           2
        .value_kind:     hidden_group_size_z
      - .offset:         82
        .size:           2
        .value_kind:     hidden_remainder_x
      - .offset:         84
        .size:           2
        .value_kind:     hidden_remainder_y
      - .offset:         86
        .size:           2
        .value_kind:     hidden_remainder_z
      - .offset:         104
        .size:           8
        .value_kind:     hidden_global_offset_x
      - .offset:         112
        .size:           8
        .value_kind:     hidden_global_offset_y
      - .offset:         120
        .size:           8
        .value_kind:     hidden_global_offset_z
      - .offset:         128
        .size:           2
        .value_kind:     hidden_grid_dims
    .group_segment_fixed_size: 8208
    .kernarg_segment_align: 8
    .kernarg_segment_size: 320
    .language:       OpenCL C
    .language_version:
      - 2
      - 0
    .max_flat_workgroup_size: 512
    .name:           _ZN7rocprim17ROCPRIM_304000_NS6detail35device_block_merge_mergepath_kernelINS1_37wrapped_merge_sort_block_merge_configINS0_14default_configEaN2at4cuda3cub6detail10OpaqueTypeILi8EEEEEPaSC_PSA_SD_jNS1_19radix_merge_compareILb1ELb1EaNS0_19identity_decomposerEEEEEvT0_T1_T2_T3_T4_SL_jT5_PKSL_NS1_7vsmem_tE
    .private_segment_fixed_size: 0
    .sgpr_count:     35
    .sgpr_spill_count: 0
    .symbol:         _ZN7rocprim17ROCPRIM_304000_NS6detail35device_block_merge_mergepath_kernelINS1_37wrapped_merge_sort_block_merge_configINS0_14default_configEaN2at4cuda3cub6detail10OpaqueTypeILi8EEEEEPaSC_PSA_SD_jNS1_19radix_merge_compareILb1ELb1EaNS0_19identity_decomposerEEEEEvT0_T1_T2_T3_T4_SL_jT5_PKSL_NS1_7vsmem_tE.kd
    .uniform_work_group_size: 1
    .uses_dynamic_stack: false
    .vgpr_count:     16
    .vgpr_spill_count: 0
    .wavefront_size: 64
  - .agpr_count:     0
    .args:
      - .address_space:  global
        .offset:         0
        .size:           8
        .value_kind:     global_buffer
      - .address_space:  global
        .offset:         8
        .size:           8
        .value_kind:     global_buffer
      - .address_space:  global
        .offset:         16
        .size:           8
        .value_kind:     global_buffer
      - .address_space:  global
        .offset:         24
        .size:           8
        .value_kind:     global_buffer
      - .offset:         32
        .size:           4
        .value_kind:     by_value
      - .offset:         36
        .size:           4
        .value_kind:     by_value
      - .offset:         40
        .size:           1
        .value_kind:     by_value
    .group_segment_fixed_size: 0
    .kernarg_segment_align: 8
    .kernarg_segment_size: 44
    .language:       OpenCL C
    .language_version:
      - 2
      - 0
    .max_flat_workgroup_size: 256
    .name:           _ZN7rocprim17ROCPRIM_304000_NS6detail33device_block_merge_oddeven_kernelINS1_37wrapped_merge_sort_block_merge_configINS0_14default_configEaN2at4cuda3cub6detail10OpaqueTypeILi8EEEEEPaSC_PSA_SD_jNS1_19radix_merge_compareILb1ELb1EaNS0_19identity_decomposerEEEEEvT0_T1_T2_T3_T4_SL_T5_
    .private_segment_fixed_size: 0
    .sgpr_count:     30
    .sgpr_spill_count: 0
    .symbol:         _ZN7rocprim17ROCPRIM_304000_NS6detail33device_block_merge_oddeven_kernelINS1_37wrapped_merge_sort_block_merge_configINS0_14default_configEaN2at4cuda3cub6detail10OpaqueTypeILi8EEEEEPaSC_PSA_SD_jNS1_19radix_merge_compareILb1ELb1EaNS0_19identity_decomposerEEEEEvT0_T1_T2_T3_T4_SL_T5_.kd
    .uniform_work_group_size: 1
    .uses_dynamic_stack: false
    .vgpr_count:     11
    .vgpr_spill_count: 0
    .wavefront_size: 64
  - .agpr_count:     0
    .args:
      - .address_space:  global
        .offset:         0
        .size:           8
        .value_kind:     global_buffer
      - .address_space:  global
        .offset:         8
        .size:           8
        .value_kind:     global_buffer
      - .offset:         16
        .size:           8
        .value_kind:     by_value
      - .offset:         24
        .size:           8
        .value_kind:     by_value
      - .offset:         32
        .size:           1
        .value_kind:     by_value
      - .offset:         36
        .size:           4
        .value_kind:     by_value
      - .offset:         40
        .size:           4
        .value_kind:     by_value
    .group_segment_fixed_size: 4096
    .kernarg_segment_align: 8
    .kernarg_segment_size: 44
    .language:       OpenCL C
    .language_version:
      - 2
      - 0
    .max_flat_workgroup_size: 512
    .name:           _ZN7rocprim17ROCPRIM_304000_NS6detail26onesweep_histograms_kernelINS1_34wrapped_radix_sort_onesweep_configINS0_14default_configEaN2at4cuda3cub6detail10OpaqueTypeILi8EEEEELb1EPKamNS0_19identity_decomposerEEEvT1_PT2_SG_SG_T3_jj
    .private_segment_fixed_size: 0
    .sgpr_count:     34
    .sgpr_spill_count: 0
    .symbol:         _ZN7rocprim17ROCPRIM_304000_NS6detail26onesweep_histograms_kernelINS1_34wrapped_radix_sort_onesweep_configINS0_14default_configEaN2at4cuda3cub6detail10OpaqueTypeILi8EEEEELb1EPKamNS0_19identity_decomposerEEEvT1_PT2_SG_SG_T3_jj.kd
    .uniform_work_group_size: 1
    .uses_dynamic_stack: false
    .vgpr_count:     18
    .vgpr_spill_count: 0
    .wavefront_size: 64
  - .agpr_count:     0
    .args:
      - .address_space:  global
        .offset:         0
        .size:           8
        .value_kind:     global_buffer
    .group_segment_fixed_size: 64
    .kernarg_segment_align: 8
    .kernarg_segment_size: 8
    .language:       OpenCL C
    .language_version:
      - 2
      - 0
    .max_flat_workgroup_size: 512
    .name:           _ZN7rocprim17ROCPRIM_304000_NS6detail31onesweep_scan_histograms_kernelINS1_34wrapped_radix_sort_onesweep_configINS0_14default_configEaN2at4cuda3cub6detail10OpaqueTypeILi8EEEEEmEEvPT0_
    .private_segment_fixed_size: 0
    .sgpr_count:     16
    .sgpr_spill_count: 0
    .symbol:         _ZN7rocprim17ROCPRIM_304000_NS6detail31onesweep_scan_histograms_kernelINS1_34wrapped_radix_sort_onesweep_configINS0_14default_configEaN2at4cuda3cub6detail10OpaqueTypeILi8EEEEEmEEvPT0_.kd
    .uniform_work_group_size: 1
    .uses_dynamic_stack: false
    .vgpr_count:     16
    .vgpr_spill_count: 0
    .wavefront_size: 64
  - .agpr_count:     0
    .args:
      - .address_space:  global
        .offset:         0
        .size:           8
        .value_kind:     global_buffer
      - .offset:         8
        .size:           8
        .value_kind:     by_value
      - .address_space:  global
        .offset:         16
        .size:           8
        .value_kind:     global_buffer
      - .offset:         24
        .size:           1
        .value_kind:     by_value
      - .offset:         32
        .size:           4
        .value_kind:     hidden_block_count_x
      - .offset:         36
        .size:           4
        .value_kind:     hidden_block_count_y
      - .offset:         40
        .size:           4
        .value_kind:     hidden_block_count_z
      - .offset:         44
        .size:           2
        .value_kind:     hidden_group_size_x
      - .offset:         46
        .size:           2
        .value_kind:     hidden_group_size_y
      - .offset:         48
        .size:           2
        .value_kind:     hidden_group_size_z
      - .offset:         50
        .size:           2
        .value_kind:     hidden_remainder_x
      - .offset:         52
        .size:           2
        .value_kind:     hidden_remainder_y
      - .offset:         54
        .size:           2
        .value_kind:     hidden_remainder_z
      - .offset:         72
        .size:           8
        .value_kind:     hidden_global_offset_x
      - .offset:         80
        .size:           8
        .value_kind:     hidden_global_offset_y
      - .offset:         88
        .size:           8
        .value_kind:     hidden_global_offset_z
      - .offset:         96
        .size:           2
        .value_kind:     hidden_grid_dims
    .group_segment_fixed_size: 0
    .kernarg_segment_align: 8
    .kernarg_segment_size: 288
    .language:       OpenCL C
    .language_version:
      - 2
      - 0
    .max_flat_workgroup_size: 128
    .name:           _ZN7rocprim17ROCPRIM_304000_NS6detail16transform_kernelINS1_24wrapped_transform_configINS0_14default_configEaEEaPKaPaNS0_8identityIaEEEEvT1_mT2_T3_
    .private_segment_fixed_size: 0
    .sgpr_count:     27
    .sgpr_spill_count: 0
    .symbol:         _ZN7rocprim17ROCPRIM_304000_NS6detail16transform_kernelINS1_24wrapped_transform_configINS0_14default_configEaEEaPKaPaNS0_8identityIaEEEEvT1_mT2_T3_.kd
    .uniform_work_group_size: 1
    .uses_dynamic_stack: false
    .vgpr_count:     19
    .vgpr_spill_count: 0
    .wavefront_size: 64
  - .agpr_count:     0
    .args:
      - .address_space:  global
        .offset:         0
        .size:           8
        .value_kind:     global_buffer
      - .address_space:  global
        .offset:         8
        .size:           8
        .value_kind:     global_buffer
      - .address_space:  global
        .offset:         16
        .size:           8
        .value_kind:     global_buffer
      - .address_space:  global
        .offset:         24
        .size:           8
        .value_kind:     global_buffer
      - .offset:         32
        .size:           4
        .value_kind:     by_value
      - .address_space:  global
        .offset:         40
        .size:           8
        .value_kind:     global_buffer
      - .address_space:  global
        .offset:         48
        .size:           8
        .value_kind:     global_buffer
      - .address_space:  global
        .offset:         56
        .size:           8
        .value_kind:     global_buffer
      - .offset:         64
        .size:           1
        .value_kind:     by_value
      - .offset:         68
        .size:           4
        .value_kind:     by_value
      - .offset:         72
        .size:           4
        .value_kind:     by_value
      - .offset:         76
        .size:           4
        .value_kind:     by_value
      - .offset:         80
        .size:           4
        .value_kind:     hidden_block_count_x
      - .offset:         84
        .size:           4
        .value_kind:     hidden_block_count_y
      - .offset:         88
        .size:           4
        .value_kind:     hidden_block_count_z
      - .offset:         92
        .size:           2
        .value_kind:     hidden_group_size_x
      - .offset:         94
        .size:           2
        .value_kind:     hidden_group_size_y
      - .offset:         96
        .size:           2
        .value_kind:     hidden_group_size_z
      - .offset:         98
        .size:           2
        .value_kind:     hidden_remainder_x
      - .offset:         100
        .size:           2
        .value_kind:     hidden_remainder_y
      - .offset:         102
        .size:           2
        .value_kind:     hidden_remainder_z
      - .offset:         120
        .size:           8
        .value_kind:     hidden_global_offset_x
      - .offset:         128
        .size:           8
        .value_kind:     hidden_global_offset_y
      - .offset:         136
        .size:           8
        .value_kind:     hidden_global_offset_z
      - .offset:         144
        .size:           2
        .value_kind:     hidden_grid_dims
    .group_segment_fixed_size: 26624
    .kernarg_segment_align: 8
    .kernarg_segment_size: 336
    .language:       OpenCL C
    .language_version:
      - 2
      - 0
    .max_flat_workgroup_size: 512
    .name:           _ZN7rocprim17ROCPRIM_304000_NS6detail25onesweep_iteration_kernelINS1_34wrapped_radix_sort_onesweep_configINS0_14default_configEaN2at4cuda3cub6detail10OpaqueTypeILi8EEEEELb1EPKaPaPKSA_PSA_mNS0_19identity_decomposerEEEvT1_T2_T3_T4_jPT5_SO_PNS1_23onesweep_lookback_stateET6_jjj
    .private_segment_fixed_size: 0
    .sgpr_count:     57
    .sgpr_spill_count: 0
    .symbol:         _ZN7rocprim17ROCPRIM_304000_NS6detail25onesweep_iteration_kernelINS1_34wrapped_radix_sort_onesweep_configINS0_14default_configEaN2at4cuda3cub6detail10OpaqueTypeILi8EEEEELb1EPKaPaPKSA_PSA_mNS0_19identity_decomposerEEEvT1_T2_T3_T4_jPT5_SO_PNS1_23onesweep_lookback_stateET6_jjj.kd
    .uniform_work_group_size: 1
    .uses_dynamic_stack: false
    .vgpr_count:     39
    .vgpr_spill_count: 0
    .wavefront_size: 64
  - .agpr_count:     0
    .args:
      - .address_space:  global
        .offset:         0
        .size:           8
        .value_kind:     global_buffer
      - .address_space:  global
        .offset:         8
        .size:           8
        .value_kind:     global_buffer
      - .address_space:  global
        .offset:         16
        .size:           8
        .value_kind:     global_buffer
      - .address_space:  global
        .offset:         24
        .size:           8
        .value_kind:     global_buffer
      - .offset:         32
        .size:           4
        .value_kind:     by_value
      - .address_space:  global
        .offset:         40
        .size:           8
        .value_kind:     global_buffer
      - .address_space:  global
        .offset:         48
        .size:           8
        .value_kind:     global_buffer
      - .address_space:  global
        .offset:         56
        .size:           8
        .value_kind:     global_buffer
      - .offset:         64
        .size:           1
        .value_kind:     by_value
      - .offset:         68
        .size:           4
        .value_kind:     by_value
      - .offset:         72
        .size:           4
        .value_kind:     by_value
      - .offset:         76
        .size:           4
        .value_kind:     by_value
      - .offset:         80
        .size:           4
        .value_kind:     hidden_block_count_x
      - .offset:         84
        .size:           4
        .value_kind:     hidden_block_count_y
      - .offset:         88
        .size:           4
        .value_kind:     hidden_block_count_z
      - .offset:         92
        .size:           2
        .value_kind:     hidden_group_size_x
      - .offset:         94
        .size:           2
        .value_kind:     hidden_group_size_y
      - .offset:         96
        .size:           2
        .value_kind:     hidden_group_size_z
      - .offset:         98
        .size:           2
        .value_kind:     hidden_remainder_x
      - .offset:         100
        .size:           2
        .value_kind:     hidden_remainder_y
      - .offset:         102
        .size:           2
        .value_kind:     hidden_remainder_z
      - .offset:         120
        .size:           8
        .value_kind:     hidden_global_offset_x
      - .offset:         128
        .size:           8
        .value_kind:     hidden_global_offset_y
      - .offset:         136
        .size:           8
        .value_kind:     hidden_global_offset_z
      - .offset:         144
        .size:           2
        .value_kind:     hidden_grid_dims
    .group_segment_fixed_size: 26624
    .kernarg_segment_align: 8
    .kernarg_segment_size: 336
    .language:       OpenCL C
    .language_version:
      - 2
      - 0
    .max_flat_workgroup_size: 512
    .name:           _ZN7rocprim17ROCPRIM_304000_NS6detail25onesweep_iteration_kernelINS1_34wrapped_radix_sort_onesweep_configINS0_14default_configEaN2at4cuda3cub6detail10OpaqueTypeILi8EEEEELb1EPaSC_PSA_SD_mNS0_19identity_decomposerEEEvT1_T2_T3_T4_jPT5_SK_PNS1_23onesweep_lookback_stateET6_jjj
    .private_segment_fixed_size: 0
    .sgpr_count:     57
    .sgpr_spill_count: 0
    .symbol:         _ZN7rocprim17ROCPRIM_304000_NS6detail25onesweep_iteration_kernelINS1_34wrapped_radix_sort_onesweep_configINS0_14default_configEaN2at4cuda3cub6detail10OpaqueTypeILi8EEEEELb1EPaSC_PSA_SD_mNS0_19identity_decomposerEEEvT1_T2_T3_T4_jPT5_SK_PNS1_23onesweep_lookback_stateET6_jjj.kd
    .uniform_work_group_size: 1
    .uses_dynamic_stack: false
    .vgpr_count:     39
    .vgpr_spill_count: 0
    .wavefront_size: 64
  - .agpr_count:     0
    .args:
      - .address_space:  global
        .offset:         0
        .size:           8
        .value_kind:     global_buffer
      - .address_space:  global
        .offset:         8
        .size:           8
        .value_kind:     global_buffer
      - .address_space:  global
        .offset:         16
        .size:           8
        .value_kind:     global_buffer
      - .address_space:  global
        .offset:         24
        .size:           8
        .value_kind:     global_buffer
      - .offset:         32
        .size:           4
        .value_kind:     by_value
      - .offset:         36
        .size:           1
        .value_kind:     by_value
      - .offset:         40
        .size:           4
        .value_kind:     by_value
      - .offset:         44
        .size:           4
        .value_kind:     by_value
      - .offset:         48
        .size:           4
        .value_kind:     hidden_block_count_x
      - .offset:         52
        .size:           4
        .value_kind:     hidden_block_count_y
      - .offset:         56
        .size:           4
        .value_kind:     hidden_block_count_z
      - .offset:         60
        .size:           2
        .value_kind:     hidden_group_size_x
      - .offset:         62
        .size:           2
        .value_kind:     hidden_group_size_y
      - .offset:         64
        .size:           2
        .value_kind:     hidden_group_size_z
      - .offset:         66
        .size:           2
        .value_kind:     hidden_remainder_x
      - .offset:         68
        .size:           2
        .value_kind:     hidden_remainder_y
      - .offset:         70
        .size:           2
        .value_kind:     hidden_remainder_z
      - .offset:         88
        .size:           8
        .value_kind:     hidden_global_offset_x
      - .offset:         96
        .size:           8
        .value_kind:     hidden_global_offset_y
      - .offset:         104
        .size:           8
        .value_kind:     hidden_global_offset_z
      - .offset:         112
        .size:           2
        .value_kind:     hidden_grid_dims
    .group_segment_fixed_size: 8192
    .kernarg_segment_align: 8
    .kernarg_segment_size: 304
    .language:       OpenCL C
    .language_version:
      - 2
      - 0
    .max_flat_workgroup_size: 256
    .name:           _ZN7rocprim17ROCPRIM_304000_NS6detail28radix_sort_block_sort_kernelINS1_36wrapped_radix_sort_block_sort_configINS0_13kernel_configILj256ELj4ELj4294967295EEEaN2at4cuda3cub6detail10OpaqueTypeILi8EEEEELb0EPKaPaPKSB_PSB_NS0_19identity_decomposerEEEvT1_T2_T3_T4_jT5_jj
    .private_segment_fixed_size: 0
    .sgpr_count:     52
    .sgpr_spill_count: 0
    .symbol:         _ZN7rocprim17ROCPRIM_304000_NS6detail28radix_sort_block_sort_kernelINS1_36wrapped_radix_sort_block_sort_configINS0_13kernel_configILj256ELj4ELj4294967295EEEaN2at4cuda3cub6detail10OpaqueTypeILi8EEEEELb0EPKaPaPKSB_PSB_NS0_19identity_decomposerEEEvT1_T2_T3_T4_jT5_jj.kd
    .uniform_work_group_size: 1
    .uses_dynamic_stack: false
    .vgpr_count:     50
    .vgpr_spill_count: 0
    .wavefront_size: 64
  - .agpr_count:     0
    .args:
      - .address_space:  global
        .offset:         0
        .size:           8
        .value_kind:     global_buffer
      - .offset:         8
        .size:           4
        .value_kind:     by_value
      - .offset:         12
        .size:           4
        .value_kind:     by_value
      - .address_space:  global
        .offset:         16
        .size:           8
        .value_kind:     global_buffer
      - .offset:         24
        .size:           1
        .value_kind:     by_value
      - .offset:         28
        .size:           4
        .value_kind:     by_value
    .group_segment_fixed_size: 0
    .kernarg_segment_align: 8
    .kernarg_segment_size: 32
    .language:       OpenCL C
    .language_version:
      - 2
      - 0
    .max_flat_workgroup_size: 128
    .name:           _ZN7rocprim17ROCPRIM_304000_NS6detail45device_block_merge_mergepath_partition_kernelINS1_37wrapped_merge_sort_block_merge_configINS0_14default_configEaN2at4cuda3cub6detail10OpaqueTypeILi8EEEEEPajNS1_19radix_merge_compareILb0ELb0EaNS0_19identity_decomposerEEEEEvT0_T1_jPSH_T2_SH_
    .private_segment_fixed_size: 0
    .sgpr_count:     12
    .sgpr_spill_count: 0
    .symbol:         _ZN7rocprim17ROCPRIM_304000_NS6detail45device_block_merge_mergepath_partition_kernelINS1_37wrapped_merge_sort_block_merge_configINS0_14default_configEaN2at4cuda3cub6detail10OpaqueTypeILi8EEEEEPajNS1_19radix_merge_compareILb0ELb0EaNS0_19identity_decomposerEEEEEvT0_T1_jPSH_T2_SH_.kd
    .uniform_work_group_size: 1
    .uses_dynamic_stack: false
    .vgpr_count:     17
    .vgpr_spill_count: 0
    .wavefront_size: 64
  - .agpr_count:     0
    .args:
      - .address_space:  global
        .offset:         0
        .size:           8
        .value_kind:     global_buffer
      - .address_space:  global
        .offset:         8
        .size:           8
        .value_kind:     global_buffer
      - .address_space:  global
        .offset:         16
        .size:           8
        .value_kind:     global_buffer
      - .address_space:  global
        .offset:         24
        .size:           8
        .value_kind:     global_buffer
      - .offset:         32
        .size:           4
        .value_kind:     by_value
      - .offset:         36
        .size:           4
        .value_kind:     by_value
      - .offset:         40
        .size:           4
        .value_kind:     by_value
      - .offset:         44
        .size:           1
        .value_kind:     by_value
      - .address_space:  global
        .offset:         48
        .size:           8
        .value_kind:     global_buffer
      - .address_space:  global
        .offset:         56
        .size:           8
        .value_kind:     global_buffer
      - .offset:         64
        .size:           4
        .value_kind:     hidden_block_count_x
      - .offset:         68
        .size:           4
        .value_kind:     hidden_block_count_y
      - .offset:         72
        .size:           4
        .value_kind:     hidden_block_count_z
      - .offset:         76
        .size:           2
        .value_kind:     hidden_group_size_x
      - .offset:         78
        .size:           2
        .value_kind:     hidden_group_size_y
      - .offset:         80
        .size:           2
        .value_kind:     hidden_group_size_z
      - .offset:         82
        .size:           2
        .value_kind:     hidden_remainder_x
      - .offset:         84
        .size:           2
        .value_kind:     hidden_remainder_y
      - .offset:         86
        .size:           2
        .value_kind:     hidden_remainder_z
      - .offset:         104
        .size:           8
        .value_kind:     hidden_global_offset_x
      - .offset:         112
        .size:           8
        .value_kind:     hidden_global_offset_y
      - .offset:         120
        .size:           8
        .value_kind:     hidden_global_offset_z
      - .offset:         128
        .size:           2
        .value_kind:     hidden_grid_dims
    .group_segment_fixed_size: 8208
    .kernarg_segment_align: 8
    .kernarg_segment_size: 320
    .language:       OpenCL C
    .language_version:
      - 2
      - 0
    .max_flat_workgroup_size: 512
    .name:           _ZN7rocprim17ROCPRIM_304000_NS6detail35device_block_merge_mergepath_kernelINS1_37wrapped_merge_sort_block_merge_configINS0_14default_configEaN2at4cuda3cub6detail10OpaqueTypeILi8EEEEEPaSC_PSA_SD_jNS1_19radix_merge_compareILb0ELb0EaNS0_19identity_decomposerEEEEEvT0_T1_T2_T3_T4_SL_jT5_PKSL_NS1_7vsmem_tE
    .private_segment_fixed_size: 0
    .sgpr_count:     34
    .sgpr_spill_count: 0
    .symbol:         _ZN7rocprim17ROCPRIM_304000_NS6detail35device_block_merge_mergepath_kernelINS1_37wrapped_merge_sort_block_merge_configINS0_14default_configEaN2at4cuda3cub6detail10OpaqueTypeILi8EEEEEPaSC_PSA_SD_jNS1_19radix_merge_compareILb0ELb0EaNS0_19identity_decomposerEEEEEvT0_T1_T2_T3_T4_SL_jT5_PKSL_NS1_7vsmem_tE.kd
    .uniform_work_group_size: 1
    .uses_dynamic_stack: false
    .vgpr_count:     16
    .vgpr_spill_count: 0
    .wavefront_size: 64
  - .agpr_count:     0
    .args:
      - .address_space:  global
        .offset:         0
        .size:           8
        .value_kind:     global_buffer
      - .address_space:  global
        .offset:         8
        .size:           8
        .value_kind:     global_buffer
      - .address_space:  global
        .offset:         16
        .size:           8
        .value_kind:     global_buffer
      - .address_space:  global
        .offset:         24
        .size:           8
        .value_kind:     global_buffer
      - .offset:         32
        .size:           4
        .value_kind:     by_value
      - .offset:         36
        .size:           4
        .value_kind:     by_value
      - .offset:         40
        .size:           1
        .value_kind:     by_value
    .group_segment_fixed_size: 0
    .kernarg_segment_align: 8
    .kernarg_segment_size: 44
    .language:       OpenCL C
    .language_version:
      - 2
      - 0
    .max_flat_workgroup_size: 256
    .name:           _ZN7rocprim17ROCPRIM_304000_NS6detail33device_block_merge_oddeven_kernelINS1_37wrapped_merge_sort_block_merge_configINS0_14default_configEaN2at4cuda3cub6detail10OpaqueTypeILi8EEEEEPaSC_PSA_SD_jNS1_19radix_merge_compareILb0ELb0EaNS0_19identity_decomposerEEEEEvT0_T1_T2_T3_T4_SL_T5_
    .private_segment_fixed_size: 0
    .sgpr_count:     28
    .sgpr_spill_count: 0
    .symbol:         _ZN7rocprim17ROCPRIM_304000_NS6detail33device_block_merge_oddeven_kernelINS1_37wrapped_merge_sort_block_merge_configINS0_14default_configEaN2at4cuda3cub6detail10OpaqueTypeILi8EEEEEPaSC_PSA_SD_jNS1_19radix_merge_compareILb0ELb0EaNS0_19identity_decomposerEEEEEvT0_T1_T2_T3_T4_SL_T5_.kd
    .uniform_work_group_size: 1
    .uses_dynamic_stack: false
    .vgpr_count:     10
    .vgpr_spill_count: 0
    .wavefront_size: 64
  - .agpr_count:     0
    .args:
      - .address_space:  global
        .offset:         0
        .size:           8
        .value_kind:     global_buffer
      - .offset:         8
        .size:           4
        .value_kind:     by_value
      - .offset:         12
        .size:           4
        .value_kind:     by_value
      - .address_space:  global
        .offset:         16
        .size:           8
        .value_kind:     global_buffer
      - .offset:         24
        .size:           1
        .value_kind:     by_value
      - .offset:         28
        .size:           4
        .value_kind:     by_value
    .group_segment_fixed_size: 0
    .kernarg_segment_align: 8
    .kernarg_segment_size: 32
    .language:       OpenCL C
    .language_version:
      - 2
      - 0
    .max_flat_workgroup_size: 128
    .name:           _ZN7rocprim17ROCPRIM_304000_NS6detail45device_block_merge_mergepath_partition_kernelINS1_37wrapped_merge_sort_block_merge_configINS0_14default_configEaN2at4cuda3cub6detail10OpaqueTypeILi8EEEEEPajNS1_19radix_merge_compareILb0ELb1EaNS0_19identity_decomposerEEEEEvT0_T1_jPSH_T2_SH_
    .private_segment_fixed_size: 0
    .sgpr_count:     14
    .sgpr_spill_count: 0
    .symbol:         _ZN7rocprim17ROCPRIM_304000_NS6detail45device_block_merge_mergepath_partition_kernelINS1_37wrapped_merge_sort_block_merge_configINS0_14default_configEaN2at4cuda3cub6detail10OpaqueTypeILi8EEEEEPajNS1_19radix_merge_compareILb0ELb1EaNS0_19identity_decomposerEEEEEvT0_T1_jPSH_T2_SH_.kd
    .uniform_work_group_size: 1
    .uses_dynamic_stack: false
    .vgpr_count:     17
    .vgpr_spill_count: 0
    .wavefront_size: 64
  - .agpr_count:     0
    .args:
      - .address_space:  global
        .offset:         0
        .size:           8
        .value_kind:     global_buffer
      - .address_space:  global
        .offset:         8
        .size:           8
        .value_kind:     global_buffer
      - .address_space:  global
        .offset:         16
        .size:           8
        .value_kind:     global_buffer
      - .address_space:  global
        .offset:         24
        .size:           8
        .value_kind:     global_buffer
      - .offset:         32
        .size:           4
        .value_kind:     by_value
      - .offset:         36
        .size:           4
        .value_kind:     by_value
      - .offset:         40
        .size:           4
        .value_kind:     by_value
      - .offset:         44
        .size:           1
        .value_kind:     by_value
      - .address_space:  global
        .offset:         48
        .size:           8
        .value_kind:     global_buffer
      - .address_space:  global
        .offset:         56
        .size:           8
        .value_kind:     global_buffer
      - .offset:         64
        .size:           4
        .value_kind:     hidden_block_count_x
      - .offset:         68
        .size:           4
        .value_kind:     hidden_block_count_y
      - .offset:         72
        .size:           4
        .value_kind:     hidden_block_count_z
      - .offset:         76
        .size:           2
        .value_kind:     hidden_group_size_x
      - .offset:         78
        .size:           2
        .value_kind:     hidden_group_size_y
      - .offset:         80
        .size:           2
        .value_kind:     hidden_group_size_z
      - .offset:         82
        .size:           2
        .value_kind:     hidden_remainder_x
      - .offset:         84
        .size:           2
        .value_kind:     hidden_remainder_y
      - .offset:         86
        .size:           2
        .value_kind:     hidden_remainder_z
      - .offset:         104
        .size:           8
        .value_kind:     hidden_global_offset_x
      - .offset:         112
        .size:           8
        .value_kind:     hidden_global_offset_y
      - .offset:         120
        .size:           8
        .value_kind:     hidden_global_offset_z
      - .offset:         128
        .size:           2
        .value_kind:     hidden_grid_dims
    .group_segment_fixed_size: 8208
    .kernarg_segment_align: 8
    .kernarg_segment_size: 320
    .language:       OpenCL C
    .language_version:
      - 2
      - 0
    .max_flat_workgroup_size: 512
    .name:           _ZN7rocprim17ROCPRIM_304000_NS6detail35device_block_merge_mergepath_kernelINS1_37wrapped_merge_sort_block_merge_configINS0_14default_configEaN2at4cuda3cub6detail10OpaqueTypeILi8EEEEEPaSC_PSA_SD_jNS1_19radix_merge_compareILb0ELb1EaNS0_19identity_decomposerEEEEEvT0_T1_T2_T3_T4_SL_jT5_PKSL_NS1_7vsmem_tE
    .private_segment_fixed_size: 0
    .sgpr_count:     35
    .sgpr_spill_count: 0
    .symbol:         _ZN7rocprim17ROCPRIM_304000_NS6detail35device_block_merge_mergepath_kernelINS1_37wrapped_merge_sort_block_merge_configINS0_14default_configEaN2at4cuda3cub6detail10OpaqueTypeILi8EEEEEPaSC_PSA_SD_jNS1_19radix_merge_compareILb0ELb1EaNS0_19identity_decomposerEEEEEvT0_T1_T2_T3_T4_SL_jT5_PKSL_NS1_7vsmem_tE.kd
    .uniform_work_group_size: 1
    .uses_dynamic_stack: false
    .vgpr_count:     16
    .vgpr_spill_count: 0
    .wavefront_size: 64
  - .agpr_count:     0
    .args:
      - .address_space:  global
        .offset:         0
        .size:           8
        .value_kind:     global_buffer
      - .address_space:  global
        .offset:         8
        .size:           8
        .value_kind:     global_buffer
      - .address_space:  global
        .offset:         16
        .size:           8
        .value_kind:     global_buffer
      - .address_space:  global
        .offset:         24
        .size:           8
        .value_kind:     global_buffer
      - .offset:         32
        .size:           4
        .value_kind:     by_value
      - .offset:         36
        .size:           4
        .value_kind:     by_value
      - .offset:         40
        .size:           1
        .value_kind:     by_value
    .group_segment_fixed_size: 0
    .kernarg_segment_align: 8
    .kernarg_segment_size: 44
    .language:       OpenCL C
    .language_version:
      - 2
      - 0
    .max_flat_workgroup_size: 256
    .name:           _ZN7rocprim17ROCPRIM_304000_NS6detail33device_block_merge_oddeven_kernelINS1_37wrapped_merge_sort_block_merge_configINS0_14default_configEaN2at4cuda3cub6detail10OpaqueTypeILi8EEEEEPaSC_PSA_SD_jNS1_19radix_merge_compareILb0ELb1EaNS0_19identity_decomposerEEEEEvT0_T1_T2_T3_T4_SL_T5_
    .private_segment_fixed_size: 0
    .sgpr_count:     30
    .sgpr_spill_count: 0
    .symbol:         _ZN7rocprim17ROCPRIM_304000_NS6detail33device_block_merge_oddeven_kernelINS1_37wrapped_merge_sort_block_merge_configINS0_14default_configEaN2at4cuda3cub6detail10OpaqueTypeILi8EEEEEPaSC_PSA_SD_jNS1_19radix_merge_compareILb0ELb1EaNS0_19identity_decomposerEEEEEvT0_T1_T2_T3_T4_SL_T5_.kd
    .uniform_work_group_size: 1
    .uses_dynamic_stack: false
    .vgpr_count:     11
    .vgpr_spill_count: 0
    .wavefront_size: 64
  - .agpr_count:     0
    .args:
      - .address_space:  global
        .offset:         0
        .size:           8
        .value_kind:     global_buffer
      - .address_space:  global
        .offset:         8
        .size:           8
        .value_kind:     global_buffer
      - .offset:         16
        .size:           8
        .value_kind:     by_value
      - .offset:         24
        .size:           8
        .value_kind:     by_value
      - .offset:         32
        .size:           1
        .value_kind:     by_value
      - .offset:         36
        .size:           4
        .value_kind:     by_value
      - .offset:         40
        .size:           4
        .value_kind:     by_value
    .group_segment_fixed_size: 4096
    .kernarg_segment_align: 8
    .kernarg_segment_size: 44
    .language:       OpenCL C
    .language_version:
      - 2
      - 0
    .max_flat_workgroup_size: 512
    .name:           _ZN7rocprim17ROCPRIM_304000_NS6detail26onesweep_histograms_kernelINS1_34wrapped_radix_sort_onesweep_configINS0_14default_configEaN2at4cuda3cub6detail10OpaqueTypeILi8EEEEELb0EPKamNS0_19identity_decomposerEEEvT1_PT2_SG_SG_T3_jj
    .private_segment_fixed_size: 0
    .sgpr_count:     34
    .sgpr_spill_count: 0
    .symbol:         _ZN7rocprim17ROCPRIM_304000_NS6detail26onesweep_histograms_kernelINS1_34wrapped_radix_sort_onesweep_configINS0_14default_configEaN2at4cuda3cub6detail10OpaqueTypeILi8EEEEELb0EPKamNS0_19identity_decomposerEEEvT1_PT2_SG_SG_T3_jj.kd
    .uniform_work_group_size: 1
    .uses_dynamic_stack: false
    .vgpr_count:     18
    .vgpr_spill_count: 0
    .wavefront_size: 64
  - .agpr_count:     0
    .args:
      - .address_space:  global
        .offset:         0
        .size:           8
        .value_kind:     global_buffer
      - .address_space:  global
        .offset:         8
        .size:           8
        .value_kind:     global_buffer
      - .address_space:  global
        .offset:         16
        .size:           8
        .value_kind:     global_buffer
      - .address_space:  global
        .offset:         24
        .size:           8
        .value_kind:     global_buffer
      - .offset:         32
        .size:           4
        .value_kind:     by_value
      - .address_space:  global
        .offset:         40
        .size:           8
        .value_kind:     global_buffer
      - .address_space:  global
        .offset:         48
        .size:           8
        .value_kind:     global_buffer
      - .address_space:  global
        .offset:         56
        .size:           8
        .value_kind:     global_buffer
      - .offset:         64
        .size:           1
        .value_kind:     by_value
      - .offset:         68
        .size:           4
        .value_kind:     by_value
      - .offset:         72
        .size:           4
        .value_kind:     by_value
      - .offset:         76
        .size:           4
        .value_kind:     by_value
      - .offset:         80
        .size:           4
        .value_kind:     hidden_block_count_x
      - .offset:         84
        .size:           4
        .value_kind:     hidden_block_count_y
      - .offset:         88
        .size:           4
        .value_kind:     hidden_block_count_z
      - .offset:         92
        .size:           2
        .value_kind:     hidden_group_size_x
      - .offset:         94
        .size:           2
        .value_kind:     hidden_group_size_y
      - .offset:         96
        .size:           2
        .value_kind:     hidden_group_size_z
      - .offset:         98
        .size:           2
        .value_kind:     hidden_remainder_x
      - .offset:         100
        .size:           2
        .value_kind:     hidden_remainder_y
      - .offset:         102
        .size:           2
        .value_kind:     hidden_remainder_z
      - .offset:         120
        .size:           8
        .value_kind:     hidden_global_offset_x
      - .offset:         128
        .size:           8
        .value_kind:     hidden_global_offset_y
      - .offset:         136
        .size:           8
        .value_kind:     hidden_global_offset_z
      - .offset:         144
        .size:           2
        .value_kind:     hidden_grid_dims
    .group_segment_fixed_size: 26624
    .kernarg_segment_align: 8
    .kernarg_segment_size: 336
    .language:       OpenCL C
    .language_version:
      - 2
      - 0
    .max_flat_workgroup_size: 512
    .name:           _ZN7rocprim17ROCPRIM_304000_NS6detail25onesweep_iteration_kernelINS1_34wrapped_radix_sort_onesweep_configINS0_14default_configEaN2at4cuda3cub6detail10OpaqueTypeILi8EEEEELb0EPKaPaPKSA_PSA_mNS0_19identity_decomposerEEEvT1_T2_T3_T4_jPT5_SO_PNS1_23onesweep_lookback_stateET6_jjj
    .private_segment_fixed_size: 0
    .sgpr_count:     57
    .sgpr_spill_count: 0
    .symbol:         _ZN7rocprim17ROCPRIM_304000_NS6detail25onesweep_iteration_kernelINS1_34wrapped_radix_sort_onesweep_configINS0_14default_configEaN2at4cuda3cub6detail10OpaqueTypeILi8EEEEELb0EPKaPaPKSA_PSA_mNS0_19identity_decomposerEEEvT1_T2_T3_T4_jPT5_SO_PNS1_23onesweep_lookback_stateET6_jjj.kd
    .uniform_work_group_size: 1
    .uses_dynamic_stack: false
    .vgpr_count:     39
    .vgpr_spill_count: 0
    .wavefront_size: 64
  - .agpr_count:     0
    .args:
      - .address_space:  global
        .offset:         0
        .size:           8
        .value_kind:     global_buffer
      - .address_space:  global
        .offset:         8
        .size:           8
        .value_kind:     global_buffer
      - .address_space:  global
        .offset:         16
        .size:           8
        .value_kind:     global_buffer
      - .address_space:  global
        .offset:         24
        .size:           8
        .value_kind:     global_buffer
      - .offset:         32
        .size:           4
        .value_kind:     by_value
      - .address_space:  global
        .offset:         40
        .size:           8
        .value_kind:     global_buffer
      - .address_space:  global
        .offset:         48
        .size:           8
        .value_kind:     global_buffer
      - .address_space:  global
        .offset:         56
        .size:           8
        .value_kind:     global_buffer
      - .offset:         64
        .size:           1
        .value_kind:     by_value
      - .offset:         68
        .size:           4
        .value_kind:     by_value
      - .offset:         72
        .size:           4
        .value_kind:     by_value
      - .offset:         76
        .size:           4
        .value_kind:     by_value
      - .offset:         80
        .size:           4
        .value_kind:     hidden_block_count_x
      - .offset:         84
        .size:           4
        .value_kind:     hidden_block_count_y
      - .offset:         88
        .size:           4
        .value_kind:     hidden_block_count_z
      - .offset:         92
        .size:           2
        .value_kind:     hidden_group_size_x
      - .offset:         94
        .size:           2
        .value_kind:     hidden_group_size_y
      - .offset:         96
        .size:           2
        .value_kind:     hidden_group_size_z
      - .offset:         98
        .size:           2
        .value_kind:     hidden_remainder_x
      - .offset:         100
        .size:           2
        .value_kind:     hidden_remainder_y
      - .offset:         102
        .size:           2
        .value_kind:     hidden_remainder_z
      - .offset:         120
        .size:           8
        .value_kind:     hidden_global_offset_x
      - .offset:         128
        .size:           8
        .value_kind:     hidden_global_offset_y
      - .offset:         136
        .size:           8
        .value_kind:     hidden_global_offset_z
      - .offset:         144
        .size:           2
        .value_kind:     hidden_grid_dims
    .group_segment_fixed_size: 26624
    .kernarg_segment_align: 8
    .kernarg_segment_size: 336
    .language:       OpenCL C
    .language_version:
      - 2
      - 0
    .max_flat_workgroup_size: 512
    .name:           _ZN7rocprim17ROCPRIM_304000_NS6detail25onesweep_iteration_kernelINS1_34wrapped_radix_sort_onesweep_configINS0_14default_configEaN2at4cuda3cub6detail10OpaqueTypeILi8EEEEELb0EPaSC_PSA_SD_mNS0_19identity_decomposerEEEvT1_T2_T3_T4_jPT5_SK_PNS1_23onesweep_lookback_stateET6_jjj
    .private_segment_fixed_size: 0
    .sgpr_count:     57
    .sgpr_spill_count: 0
    .symbol:         _ZN7rocprim17ROCPRIM_304000_NS6detail25onesweep_iteration_kernelINS1_34wrapped_radix_sort_onesweep_configINS0_14default_configEaN2at4cuda3cub6detail10OpaqueTypeILi8EEEEELb0EPaSC_PSA_SD_mNS0_19identity_decomposerEEEvT1_T2_T3_T4_jPT5_SK_PNS1_23onesweep_lookback_stateET6_jjj.kd
    .uniform_work_group_size: 1
    .uses_dynamic_stack: false
    .vgpr_count:     39
    .vgpr_spill_count: 0
    .wavefront_size: 64
  - .agpr_count:     0
    .args:
      - .address_space:  global
        .offset:         0
        .size:           8
        .value_kind:     global_buffer
      - .address_space:  global
        .offset:         8
        .size:           8
        .value_kind:     global_buffer
      - .address_space:  global
        .offset:         16
        .size:           8
        .value_kind:     global_buffer
      - .address_space:  global
        .offset:         24
        .size:           8
        .value_kind:     global_buffer
      - .offset:         32
        .size:           4
        .value_kind:     by_value
      - .offset:         36
        .size:           1
        .value_kind:     by_value
      - .offset:         40
        .size:           4
        .value_kind:     by_value
      - .offset:         44
        .size:           4
        .value_kind:     by_value
      - .offset:         48
        .size:           4
        .value_kind:     hidden_block_count_x
      - .offset:         52
        .size:           4
        .value_kind:     hidden_block_count_y
      - .offset:         56
        .size:           4
        .value_kind:     hidden_block_count_z
      - .offset:         60
        .size:           2
        .value_kind:     hidden_group_size_x
      - .offset:         62
        .size:           2
        .value_kind:     hidden_group_size_y
      - .offset:         64
        .size:           2
        .value_kind:     hidden_group_size_z
      - .offset:         66
        .size:           2
        .value_kind:     hidden_remainder_x
      - .offset:         68
        .size:           2
        .value_kind:     hidden_remainder_y
      - .offset:         70
        .size:           2
        .value_kind:     hidden_remainder_z
      - .offset:         88
        .size:           8
        .value_kind:     hidden_global_offset_x
      - .offset:         96
        .size:           8
        .value_kind:     hidden_global_offset_y
      - .offset:         104
        .size:           8
        .value_kind:     hidden_global_offset_z
      - .offset:         112
        .size:           2
        .value_kind:     hidden_grid_dims
    .group_segment_fixed_size: 8192
    .kernarg_segment_align: 8
    .kernarg_segment_size: 304
    .language:       OpenCL C
    .language_version:
      - 2
      - 0
    .max_flat_workgroup_size: 256
    .name:           _ZN7rocprim17ROCPRIM_304000_NS6detail28radix_sort_block_sort_kernelINS1_36wrapped_radix_sort_block_sort_configINS0_13kernel_configILj256ELj4ELj4294967295EEEsN2at4cuda3cub6detail10OpaqueTypeILi8EEEEELb1EPKsPsPKSB_PSB_NS0_19identity_decomposerEEEvT1_T2_T3_T4_jT5_jj
    .private_segment_fixed_size: 0
    .sgpr_count:     54
    .sgpr_spill_count: 0
    .symbol:         _ZN7rocprim17ROCPRIM_304000_NS6detail28radix_sort_block_sort_kernelINS1_36wrapped_radix_sort_block_sort_configINS0_13kernel_configILj256ELj4ELj4294967295EEEsN2at4cuda3cub6detail10OpaqueTypeILi8EEEEELb1EPKsPsPKSB_PSB_NS0_19identity_decomposerEEEvT1_T2_T3_T4_jT5_jj.kd
    .uniform_work_group_size: 1
    .uses_dynamic_stack: false
    .vgpr_count:     54
    .vgpr_spill_count: 0
    .wavefront_size: 64
  - .agpr_count:     0
    .args:           []
    .group_segment_fixed_size: 0
    .kernarg_segment_align: 4
    .kernarg_segment_size: 0
    .language:       OpenCL C
    .language_version:
      - 2
      - 0
    .max_flat_workgroup_size: 1024
    .name:           _ZN7rocprim17ROCPRIM_304000_NS6detail39device_merge_sort_compile_time_verifierINS1_36wrapped_merge_sort_block_sort_configINS1_28merge_sort_block_sort_configILj256ELj4ELNS0_20block_sort_algorithmE0EEEsN2at4cuda3cub6detail10OpaqueTypeILi8EEEEENS1_37wrapped_merge_sort_block_merge_configINS0_14default_configEsSC_EEEEvv
    .private_segment_fixed_size: 0
    .sgpr_count:     6
    .sgpr_spill_count: 0
    .symbol:         _ZN7rocprim17ROCPRIM_304000_NS6detail39device_merge_sort_compile_time_verifierINS1_36wrapped_merge_sort_block_sort_configINS1_28merge_sort_block_sort_configILj256ELj4ELNS0_20block_sort_algorithmE0EEEsN2at4cuda3cub6detail10OpaqueTypeILi8EEEEENS1_37wrapped_merge_sort_block_merge_configINS0_14default_configEsSC_EEEEvv.kd
    .uniform_work_group_size: 1
    .uses_dynamic_stack: false
    .vgpr_count:     0
    .vgpr_spill_count: 0
    .wavefront_size: 64
  - .agpr_count:     0
    .args:
      - .address_space:  global
        .offset:         0
        .size:           8
        .value_kind:     global_buffer
      - .offset:         8
        .size:           4
        .value_kind:     by_value
      - .offset:         12
        .size:           4
        .value_kind:     by_value
      - .address_space:  global
        .offset:         16
        .size:           8
        .value_kind:     global_buffer
      - .offset:         24
        .size:           1
        .value_kind:     by_value
      - .offset:         28
        .size:           4
        .value_kind:     by_value
    .group_segment_fixed_size: 0
    .kernarg_segment_align: 8
    .kernarg_segment_size: 32
    .language:       OpenCL C
    .language_version:
      - 2
      - 0
    .max_flat_workgroup_size: 128
    .name:           _ZN7rocprim17ROCPRIM_304000_NS6detail45device_block_merge_mergepath_partition_kernelINS1_37wrapped_merge_sort_block_merge_configINS0_14default_configEsN2at4cuda3cub6detail10OpaqueTypeILi8EEEEEPsjNS1_19radix_merge_compareILb1ELb0EsNS0_19identity_decomposerEEEEEvT0_T1_jPSH_T2_SH_
    .private_segment_fixed_size: 0
    .sgpr_count:     12
    .sgpr_spill_count: 0
    .symbol:         _ZN7rocprim17ROCPRIM_304000_NS6detail45device_block_merge_mergepath_partition_kernelINS1_37wrapped_merge_sort_block_merge_configINS0_14default_configEsN2at4cuda3cub6detail10OpaqueTypeILi8EEEEEPsjNS1_19radix_merge_compareILb1ELb0EsNS0_19identity_decomposerEEEEEvT0_T1_jPSH_T2_SH_.kd
    .uniform_work_group_size: 1
    .uses_dynamic_stack: false
    .vgpr_count:     17
    .vgpr_spill_count: 0
    .wavefront_size: 64
  - .agpr_count:     0
    .args:
      - .address_space:  global
        .offset:         0
        .size:           8
        .value_kind:     global_buffer
      - .address_space:  global
        .offset:         8
        .size:           8
        .value_kind:     global_buffer
      - .address_space:  global
        .offset:         16
        .size:           8
        .value_kind:     global_buffer
      - .address_space:  global
        .offset:         24
        .size:           8
        .value_kind:     global_buffer
      - .offset:         32
        .size:           4
        .value_kind:     by_value
      - .offset:         36
        .size:           4
        .value_kind:     by_value
      - .offset:         40
        .size:           4
        .value_kind:     by_value
      - .offset:         44
        .size:           1
        .value_kind:     by_value
      - .address_space:  global
        .offset:         48
        .size:           8
        .value_kind:     global_buffer
      - .address_space:  global
        .offset:         56
        .size:           8
        .value_kind:     global_buffer
      - .offset:         64
        .size:           4
        .value_kind:     hidden_block_count_x
      - .offset:         68
        .size:           4
        .value_kind:     hidden_block_count_y
      - .offset:         72
        .size:           4
        .value_kind:     hidden_block_count_z
      - .offset:         76
        .size:           2
        .value_kind:     hidden_group_size_x
      - .offset:         78
        .size:           2
        .value_kind:     hidden_group_size_y
      - .offset:         80
        .size:           2
        .value_kind:     hidden_group_size_z
      - .offset:         82
        .size:           2
        .value_kind:     hidden_remainder_x
      - .offset:         84
        .size:           2
        .value_kind:     hidden_remainder_y
      - .offset:         86
        .size:           2
        .value_kind:     hidden_remainder_z
      - .offset:         104
        .size:           8
        .value_kind:     hidden_global_offset_x
      - .offset:         112
        .size:           8
        .value_kind:     hidden_global_offset_y
      - .offset:         120
        .size:           8
        .value_kind:     hidden_global_offset_z
      - .offset:         128
        .size:           2
        .value_kind:     hidden_grid_dims
    .group_segment_fixed_size: 8208
    .kernarg_segment_align: 8
    .kernarg_segment_size: 320
    .language:       OpenCL C
    .language_version:
      - 2
      - 0
    .max_flat_workgroup_size: 512
    .name:           _ZN7rocprim17ROCPRIM_304000_NS6detail35device_block_merge_mergepath_kernelINS1_37wrapped_merge_sort_block_merge_configINS0_14default_configEsN2at4cuda3cub6detail10OpaqueTypeILi8EEEEEPsSC_PSA_SD_jNS1_19radix_merge_compareILb1ELb0EsNS0_19identity_decomposerEEEEEvT0_T1_T2_T3_T4_SL_jT5_PKSL_NS1_7vsmem_tE
    .private_segment_fixed_size: 0
    .sgpr_count:     37
    .sgpr_spill_count: 0
    .symbol:         _ZN7rocprim17ROCPRIM_304000_NS6detail35device_block_merge_mergepath_kernelINS1_37wrapped_merge_sort_block_merge_configINS0_14default_configEsN2at4cuda3cub6detail10OpaqueTypeILi8EEEEEPsSC_PSA_SD_jNS1_19radix_merge_compareILb1ELb0EsNS0_19identity_decomposerEEEEEvT0_T1_T2_T3_T4_SL_jT5_PKSL_NS1_7vsmem_tE.kd
    .uniform_work_group_size: 1
    .uses_dynamic_stack: false
    .vgpr_count:     14
    .vgpr_spill_count: 0
    .wavefront_size: 64
  - .agpr_count:     0
    .args:
      - .address_space:  global
        .offset:         0
        .size:           8
        .value_kind:     global_buffer
      - .address_space:  global
        .offset:         8
        .size:           8
        .value_kind:     global_buffer
      - .address_space:  global
        .offset:         16
        .size:           8
        .value_kind:     global_buffer
      - .address_space:  global
        .offset:         24
        .size:           8
        .value_kind:     global_buffer
      - .offset:         32
        .size:           4
        .value_kind:     by_value
      - .offset:         36
        .size:           4
        .value_kind:     by_value
      - .offset:         40
        .size:           1
        .value_kind:     by_value
    .group_segment_fixed_size: 0
    .kernarg_segment_align: 8
    .kernarg_segment_size: 44
    .language:       OpenCL C
    .language_version:
      - 2
      - 0
    .max_flat_workgroup_size: 256
    .name:           _ZN7rocprim17ROCPRIM_304000_NS6detail33device_block_merge_oddeven_kernelINS1_37wrapped_merge_sort_block_merge_configINS0_14default_configEsN2at4cuda3cub6detail10OpaqueTypeILi8EEEEEPsSC_PSA_SD_jNS1_19radix_merge_compareILb1ELb0EsNS0_19identity_decomposerEEEEEvT0_T1_T2_T3_T4_SL_T5_
    .private_segment_fixed_size: 0
    .sgpr_count:     28
    .sgpr_spill_count: 0
    .symbol:         _ZN7rocprim17ROCPRIM_304000_NS6detail33device_block_merge_oddeven_kernelINS1_37wrapped_merge_sort_block_merge_configINS0_14default_configEsN2at4cuda3cub6detail10OpaqueTypeILi8EEEEEPsSC_PSA_SD_jNS1_19radix_merge_compareILb1ELb0EsNS0_19identity_decomposerEEEEEvT0_T1_T2_T3_T4_SL_T5_.kd
    .uniform_work_group_size: 1
    .uses_dynamic_stack: false
    .vgpr_count:     10
    .vgpr_spill_count: 0
    .wavefront_size: 64
  - .agpr_count:     0
    .args:
      - .address_space:  global
        .offset:         0
        .size:           8
        .value_kind:     global_buffer
      - .offset:         8
        .size:           8
        .value_kind:     by_value
      - .address_space:  global
        .offset:         16
        .size:           8
        .value_kind:     global_buffer
      - .offset:         24
        .size:           1
        .value_kind:     by_value
      - .offset:         32
        .size:           4
        .value_kind:     hidden_block_count_x
      - .offset:         36
        .size:           4
        .value_kind:     hidden_block_count_y
      - .offset:         40
        .size:           4
        .value_kind:     hidden_block_count_z
      - .offset:         44
        .size:           2
        .value_kind:     hidden_group_size_x
      - .offset:         46
        .size:           2
        .value_kind:     hidden_group_size_y
      - .offset:         48
        .size:           2
        .value_kind:     hidden_group_size_z
      - .offset:         50
        .size:           2
        .value_kind:     hidden_remainder_x
      - .offset:         52
        .size:           2
        .value_kind:     hidden_remainder_y
      - .offset:         54
        .size:           2
        .value_kind:     hidden_remainder_z
      - .offset:         72
        .size:           8
        .value_kind:     hidden_global_offset_x
      - .offset:         80
        .size:           8
        .value_kind:     hidden_global_offset_y
      - .offset:         88
        .size:           8
        .value_kind:     hidden_global_offset_z
      - .offset:         96
        .size:           2
        .value_kind:     hidden_grid_dims
    .group_segment_fixed_size: 0
    .kernarg_segment_align: 8
    .kernarg_segment_size: 288
    .language:       OpenCL C
    .language_version:
      - 2
      - 0
    .max_flat_workgroup_size: 128
    .name:           _ZN7rocprim17ROCPRIM_304000_NS6detail16transform_kernelINS1_24wrapped_transform_configINS0_14default_configEsEEsPsS6_NS0_8identityIsEEEEvT1_mT2_T3_
    .private_segment_fixed_size: 0
    .sgpr_count:     21
    .sgpr_spill_count: 0
    .symbol:         _ZN7rocprim17ROCPRIM_304000_NS6detail16transform_kernelINS1_24wrapped_transform_configINS0_14default_configEsEEsPsS6_NS0_8identityIsEEEEvT1_mT2_T3_.kd
    .uniform_work_group_size: 1
    .uses_dynamic_stack: false
    .vgpr_count:     10
    .vgpr_spill_count: 0
    .wavefront_size: 64
  - .agpr_count:     0
    .args:
      - .address_space:  global
        .offset:         0
        .size:           8
        .value_kind:     global_buffer
      - .offset:         8
        .size:           4
        .value_kind:     by_value
      - .offset:         12
        .size:           4
        .value_kind:     by_value
      - .address_space:  global
        .offset:         16
        .size:           8
        .value_kind:     global_buffer
      - .offset:         24
        .size:           2
        .value_kind:     by_value
      - .offset:         28
        .size:           4
        .value_kind:     by_value
    .group_segment_fixed_size: 0
    .kernarg_segment_align: 8
    .kernarg_segment_size: 32
    .language:       OpenCL C
    .language_version:
      - 2
      - 0
    .max_flat_workgroup_size: 128
    .name:           _ZN7rocprim17ROCPRIM_304000_NS6detail45device_block_merge_mergepath_partition_kernelINS1_37wrapped_merge_sort_block_merge_configINS0_14default_configEsN2at4cuda3cub6detail10OpaqueTypeILi8EEEEEPsjNS1_19radix_merge_compareILb1ELb1EsNS0_19identity_decomposerEEEEEvT0_T1_jPSH_T2_SH_
    .private_segment_fixed_size: 0
    .sgpr_count:     14
    .sgpr_spill_count: 0
    .symbol:         _ZN7rocprim17ROCPRIM_304000_NS6detail45device_block_merge_mergepath_partition_kernelINS1_37wrapped_merge_sort_block_merge_configINS0_14default_configEsN2at4cuda3cub6detail10OpaqueTypeILi8EEEEEPsjNS1_19radix_merge_compareILb1ELb1EsNS0_19identity_decomposerEEEEEvT0_T1_jPSH_T2_SH_.kd
    .uniform_work_group_size: 1
    .uses_dynamic_stack: false
    .vgpr_count:     17
    .vgpr_spill_count: 0
    .wavefront_size: 64
  - .agpr_count:     0
    .args:
      - .address_space:  global
        .offset:         0
        .size:           8
        .value_kind:     global_buffer
      - .address_space:  global
        .offset:         8
        .size:           8
        .value_kind:     global_buffer
      - .address_space:  global
        .offset:         16
        .size:           8
        .value_kind:     global_buffer
      - .address_space:  global
        .offset:         24
        .size:           8
        .value_kind:     global_buffer
      - .offset:         32
        .size:           4
        .value_kind:     by_value
      - .offset:         36
        .size:           4
        .value_kind:     by_value
      - .offset:         40
        .size:           4
        .value_kind:     by_value
      - .offset:         44
        .size:           2
        .value_kind:     by_value
      - .address_space:  global
        .offset:         48
        .size:           8
        .value_kind:     global_buffer
      - .address_space:  global
        .offset:         56
        .size:           8
        .value_kind:     global_buffer
      - .offset:         64
        .size:           4
        .value_kind:     hidden_block_count_x
      - .offset:         68
        .size:           4
        .value_kind:     hidden_block_count_y
      - .offset:         72
        .size:           4
        .value_kind:     hidden_block_count_z
      - .offset:         76
        .size:           2
        .value_kind:     hidden_group_size_x
      - .offset:         78
        .size:           2
        .value_kind:     hidden_group_size_y
      - .offset:         80
        .size:           2
        .value_kind:     hidden_group_size_z
      - .offset:         82
        .size:           2
        .value_kind:     hidden_remainder_x
      - .offset:         84
        .size:           2
        .value_kind:     hidden_remainder_y
      - .offset:         86
        .size:           2
        .value_kind:     hidden_remainder_z
      - .offset:         104
        .size:           8
        .value_kind:     hidden_global_offset_x
      - .offset:         112
        .size:           8
        .value_kind:     hidden_global_offset_y
      - .offset:         120
        .size:           8
        .value_kind:     hidden_global_offset_z
      - .offset:         128
        .size:           2
        .value_kind:     hidden_grid_dims
    .group_segment_fixed_size: 8208
    .kernarg_segment_align: 8
    .kernarg_segment_size: 320
    .language:       OpenCL C
    .language_version:
      - 2
      - 0
    .max_flat_workgroup_size: 512
    .name:           _ZN7rocprim17ROCPRIM_304000_NS6detail35device_block_merge_mergepath_kernelINS1_37wrapped_merge_sort_block_merge_configINS0_14default_configEsN2at4cuda3cub6detail10OpaqueTypeILi8EEEEEPsSC_PSA_SD_jNS1_19radix_merge_compareILb1ELb1EsNS0_19identity_decomposerEEEEEvT0_T1_T2_T3_T4_SL_jT5_PKSL_NS1_7vsmem_tE
    .private_segment_fixed_size: 0
    .sgpr_count:     38
    .sgpr_spill_count: 0
    .symbol:         _ZN7rocprim17ROCPRIM_304000_NS6detail35device_block_merge_mergepath_kernelINS1_37wrapped_merge_sort_block_merge_configINS0_14default_configEsN2at4cuda3cub6detail10OpaqueTypeILi8EEEEEPsSC_PSA_SD_jNS1_19radix_merge_compareILb1ELb1EsNS0_19identity_decomposerEEEEEvT0_T1_T2_T3_T4_SL_jT5_PKSL_NS1_7vsmem_tE.kd
    .uniform_work_group_size: 1
    .uses_dynamic_stack: false
    .vgpr_count:     14
    .vgpr_spill_count: 0
    .wavefront_size: 64
  - .agpr_count:     0
    .args:
      - .address_space:  global
        .offset:         0
        .size:           8
        .value_kind:     global_buffer
      - .address_space:  global
        .offset:         8
        .size:           8
        .value_kind:     global_buffer
      - .address_space:  global
        .offset:         16
        .size:           8
        .value_kind:     global_buffer
      - .address_space:  global
        .offset:         24
        .size:           8
        .value_kind:     global_buffer
      - .offset:         32
        .size:           4
        .value_kind:     by_value
      - .offset:         36
        .size:           4
        .value_kind:     by_value
      - .offset:         40
        .size:           2
        .value_kind:     by_value
    .group_segment_fixed_size: 0
    .kernarg_segment_align: 8
    .kernarg_segment_size: 44
    .language:       OpenCL C
    .language_version:
      - 2
      - 0
    .max_flat_workgroup_size: 256
    .name:           _ZN7rocprim17ROCPRIM_304000_NS6detail33device_block_merge_oddeven_kernelINS1_37wrapped_merge_sort_block_merge_configINS0_14default_configEsN2at4cuda3cub6detail10OpaqueTypeILi8EEEEEPsSC_PSA_SD_jNS1_19radix_merge_compareILb1ELb1EsNS0_19identity_decomposerEEEEEvT0_T1_T2_T3_T4_SL_T5_
    .private_segment_fixed_size: 0
    .sgpr_count:     30
    .sgpr_spill_count: 0
    .symbol:         _ZN7rocprim17ROCPRIM_304000_NS6detail33device_block_merge_oddeven_kernelINS1_37wrapped_merge_sort_block_merge_configINS0_14default_configEsN2at4cuda3cub6detail10OpaqueTypeILi8EEEEEPsSC_PSA_SD_jNS1_19radix_merge_compareILb1ELb1EsNS0_19identity_decomposerEEEEEvT0_T1_T2_T3_T4_SL_T5_.kd
    .uniform_work_group_size: 1
    .uses_dynamic_stack: false
    .vgpr_count:     11
    .vgpr_spill_count: 0
    .wavefront_size: 64
  - .agpr_count:     0
    .args:
      - .address_space:  global
        .offset:         0
        .size:           8
        .value_kind:     global_buffer
      - .address_space:  global
        .offset:         8
        .size:           8
        .value_kind:     global_buffer
      - .offset:         16
        .size:           8
        .value_kind:     by_value
      - .offset:         24
        .size:           8
        .value_kind:     by_value
      - .offset:         32
        .size:           1
        .value_kind:     by_value
      - .offset:         36
        .size:           4
        .value_kind:     by_value
      - .offset:         40
        .size:           4
        .value_kind:     by_value
    .group_segment_fixed_size: 8192
    .kernarg_segment_align: 8
    .kernarg_segment_size: 44
    .language:       OpenCL C
    .language_version:
      - 2
      - 0
    .max_flat_workgroup_size: 256
    .name:           _ZN7rocprim17ROCPRIM_304000_NS6detail26onesweep_histograms_kernelINS1_34wrapped_radix_sort_onesweep_configINS0_14default_configEsN2at4cuda3cub6detail10OpaqueTypeILi8EEEEELb1EPKsmNS0_19identity_decomposerEEEvT1_PT2_SG_SG_T3_jj
    .private_segment_fixed_size: 0
    .sgpr_count:     62
    .sgpr_spill_count: 0
    .symbol:         _ZN7rocprim17ROCPRIM_304000_NS6detail26onesweep_histograms_kernelINS1_34wrapped_radix_sort_onesweep_configINS0_14default_configEsN2at4cuda3cub6detail10OpaqueTypeILi8EEEEELb1EPKsmNS0_19identity_decomposerEEEvT1_PT2_SG_SG_T3_jj.kd
    .uniform_work_group_size: 1
    .uses_dynamic_stack: false
    .vgpr_count:     30
    .vgpr_spill_count: 0
    .wavefront_size: 64
  - .agpr_count:     0
    .args:
      - .address_space:  global
        .offset:         0
        .size:           8
        .value_kind:     global_buffer
    .group_segment_fixed_size: 32
    .kernarg_segment_align: 8
    .kernarg_segment_size: 8
    .language:       OpenCL C
    .language_version:
      - 2
      - 0
    .max_flat_workgroup_size: 256
    .name:           _ZN7rocprim17ROCPRIM_304000_NS6detail31onesweep_scan_histograms_kernelINS1_34wrapped_radix_sort_onesweep_configINS0_14default_configEsN2at4cuda3cub6detail10OpaqueTypeILi8EEEEEmEEvPT0_
    .private_segment_fixed_size: 0
    .sgpr_count:     16
    .sgpr_spill_count: 0
    .symbol:         _ZN7rocprim17ROCPRIM_304000_NS6detail31onesweep_scan_histograms_kernelINS1_34wrapped_radix_sort_onesweep_configINS0_14default_configEsN2at4cuda3cub6detail10OpaqueTypeILi8EEEEEmEEvPT0_.kd
    .uniform_work_group_size: 1
    .uses_dynamic_stack: false
    .vgpr_count:     14
    .vgpr_spill_count: 0
    .wavefront_size: 64
  - .agpr_count:     0
    .args:
      - .address_space:  global
        .offset:         0
        .size:           8
        .value_kind:     global_buffer
      - .offset:         8
        .size:           8
        .value_kind:     by_value
      - .address_space:  global
        .offset:         16
        .size:           8
        .value_kind:     global_buffer
      - .offset:         24
        .size:           1
        .value_kind:     by_value
      - .offset:         32
        .size:           4
        .value_kind:     hidden_block_count_x
      - .offset:         36
        .size:           4
        .value_kind:     hidden_block_count_y
      - .offset:         40
        .size:           4
        .value_kind:     hidden_block_count_z
      - .offset:         44
        .size:           2
        .value_kind:     hidden_group_size_x
      - .offset:         46
        .size:           2
        .value_kind:     hidden_group_size_y
      - .offset:         48
        .size:           2
        .value_kind:     hidden_group_size_z
      - .offset:         50
        .size:           2
        .value_kind:     hidden_remainder_x
      - .offset:         52
        .size:           2
        .value_kind:     hidden_remainder_y
      - .offset:         54
        .size:           2
        .value_kind:     hidden_remainder_z
      - .offset:         72
        .size:           8
        .value_kind:     hidden_global_offset_x
      - .offset:         80
        .size:           8
        .value_kind:     hidden_global_offset_y
      - .offset:         88
        .size:           8
        .value_kind:     hidden_global_offset_z
      - .offset:         96
        .size:           2
        .value_kind:     hidden_grid_dims
    .group_segment_fixed_size: 0
    .kernarg_segment_align: 8
    .kernarg_segment_size: 288
    .language:       OpenCL C
    .language_version:
      - 2
      - 0
    .max_flat_workgroup_size: 128
    .name:           _ZN7rocprim17ROCPRIM_304000_NS6detail16transform_kernelINS1_24wrapped_transform_configINS0_14default_configEsEEsPKsPsNS0_8identityIsEEEEvT1_mT2_T3_
    .private_segment_fixed_size: 0
    .sgpr_count:     21
    .sgpr_spill_count: 0
    .symbol:         _ZN7rocprim17ROCPRIM_304000_NS6detail16transform_kernelINS1_24wrapped_transform_configINS0_14default_configEsEEsPKsPsNS0_8identityIsEEEEvT1_mT2_T3_.kd
    .uniform_work_group_size: 1
    .uses_dynamic_stack: false
    .vgpr_count:     10
    .vgpr_spill_count: 0
    .wavefront_size: 64
  - .agpr_count:     0
    .args:
      - .address_space:  global
        .offset:         0
        .size:           8
        .value_kind:     global_buffer
      - .address_space:  global
        .offset:         8
        .size:           8
        .value_kind:     global_buffer
      - .address_space:  global
        .offset:         16
        .size:           8
        .value_kind:     global_buffer
      - .address_space:  global
        .offset:         24
        .size:           8
        .value_kind:     global_buffer
      - .offset:         32
        .size:           4
        .value_kind:     by_value
      - .address_space:  global
        .offset:         40
        .size:           8
        .value_kind:     global_buffer
      - .address_space:  global
        .offset:         48
        .size:           8
        .value_kind:     global_buffer
      - .address_space:  global
        .offset:         56
        .size:           8
        .value_kind:     global_buffer
      - .offset:         64
        .size:           1
        .value_kind:     by_value
      - .offset:         68
        .size:           4
        .value_kind:     by_value
      - .offset:         72
        .size:           4
        .value_kind:     by_value
      - .offset:         76
        .size:           4
        .value_kind:     by_value
      - .offset:         80
        .size:           4
        .value_kind:     hidden_block_count_x
      - .offset:         84
        .size:           4
        .value_kind:     hidden_block_count_y
      - .offset:         88
        .size:           4
        .value_kind:     hidden_block_count_z
      - .offset:         92
        .size:           2
        .value_kind:     hidden_group_size_x
      - .offset:         94
        .size:           2
        .value_kind:     hidden_group_size_y
      - .offset:         96
        .size:           2
        .value_kind:     hidden_group_size_z
      - .offset:         98
        .size:           2
        .value_kind:     hidden_remainder_x
      - .offset:         100
        .size:           2
        .value_kind:     hidden_remainder_y
      - .offset:         102
        .size:           2
        .value_kind:     hidden_remainder_z
      - .offset:         120
        .size:           8
        .value_kind:     hidden_global_offset_x
      - .offset:         128
        .size:           8
        .value_kind:     hidden_global_offset_y
      - .offset:         136
        .size:           8
        .value_kind:     hidden_global_offset_z
      - .offset:         144
        .size:           2
        .value_kind:     hidden_grid_dims
    .group_segment_fixed_size: 38912
    .kernarg_segment_align: 8
    .kernarg_segment_size: 336
    .language:       OpenCL C
    .language_version:
      - 2
      - 0
    .max_flat_workgroup_size: 256
    .name:           _ZN7rocprim17ROCPRIM_304000_NS6detail25onesweep_iteration_kernelINS1_34wrapped_radix_sort_onesweep_configINS0_14default_configEsN2at4cuda3cub6detail10OpaqueTypeILi8EEEEELb1EPKsPsPKSA_PSA_mNS0_19identity_decomposerEEEvT1_T2_T3_T4_jPT5_SO_PNS1_23onesweep_lookback_stateET6_jjj
    .private_segment_fixed_size: 0
    .sgpr_count:     103
    .sgpr_spill_count: 0
    .symbol:         _ZN7rocprim17ROCPRIM_304000_NS6detail25onesweep_iteration_kernelINS1_34wrapped_radix_sort_onesweep_configINS0_14default_configEsN2at4cuda3cub6detail10OpaqueTypeILi8EEEEELb1EPKsPsPKSA_PSA_mNS0_19identity_decomposerEEEvT1_T2_T3_T4_jPT5_SO_PNS1_23onesweep_lookback_stateET6_jjj.kd
    .uniform_work_group_size: 1
    .uses_dynamic_stack: false
    .vgpr_count:     100
    .vgpr_spill_count: 0
    .wavefront_size: 64
  - .agpr_count:     0
    .args:
      - .address_space:  global
        .offset:         0
        .size:           8
        .value_kind:     global_buffer
      - .address_space:  global
        .offset:         8
        .size:           8
        .value_kind:     global_buffer
      - .address_space:  global
        .offset:         16
        .size:           8
        .value_kind:     global_buffer
      - .address_space:  global
        .offset:         24
        .size:           8
        .value_kind:     global_buffer
      - .offset:         32
        .size:           4
        .value_kind:     by_value
      - .address_space:  global
        .offset:         40
        .size:           8
        .value_kind:     global_buffer
      - .address_space:  global
        .offset:         48
        .size:           8
        .value_kind:     global_buffer
      - .address_space:  global
        .offset:         56
        .size:           8
        .value_kind:     global_buffer
      - .offset:         64
        .size:           1
        .value_kind:     by_value
      - .offset:         68
        .size:           4
        .value_kind:     by_value
      - .offset:         72
        .size:           4
        .value_kind:     by_value
      - .offset:         76
        .size:           4
        .value_kind:     by_value
      - .offset:         80
        .size:           4
        .value_kind:     hidden_block_count_x
      - .offset:         84
        .size:           4
        .value_kind:     hidden_block_count_y
      - .offset:         88
        .size:           4
        .value_kind:     hidden_block_count_z
      - .offset:         92
        .size:           2
        .value_kind:     hidden_group_size_x
      - .offset:         94
        .size:           2
        .value_kind:     hidden_group_size_y
      - .offset:         96
        .size:           2
        .value_kind:     hidden_group_size_z
      - .offset:         98
        .size:           2
        .value_kind:     hidden_remainder_x
      - .offset:         100
        .size:           2
        .value_kind:     hidden_remainder_y
      - .offset:         102
        .size:           2
        .value_kind:     hidden_remainder_z
      - .offset:         120
        .size:           8
        .value_kind:     hidden_global_offset_x
      - .offset:         128
        .size:           8
        .value_kind:     hidden_global_offset_y
      - .offset:         136
        .size:           8
        .value_kind:     hidden_global_offset_z
      - .offset:         144
        .size:           2
        .value_kind:     hidden_grid_dims
    .group_segment_fixed_size: 38912
    .kernarg_segment_align: 8
    .kernarg_segment_size: 336
    .language:       OpenCL C
    .language_version:
      - 2
      - 0
    .max_flat_workgroup_size: 256
    .name:           _ZN7rocprim17ROCPRIM_304000_NS6detail25onesweep_iteration_kernelINS1_34wrapped_radix_sort_onesweep_configINS0_14default_configEsN2at4cuda3cub6detail10OpaqueTypeILi8EEEEELb1EPsSC_PSA_SD_mNS0_19identity_decomposerEEEvT1_T2_T3_T4_jPT5_SK_PNS1_23onesweep_lookback_stateET6_jjj
    .private_segment_fixed_size: 0
    .sgpr_count:     103
    .sgpr_spill_count: 0
    .symbol:         _ZN7rocprim17ROCPRIM_304000_NS6detail25onesweep_iteration_kernelINS1_34wrapped_radix_sort_onesweep_configINS0_14default_configEsN2at4cuda3cub6detail10OpaqueTypeILi8EEEEELb1EPsSC_PSA_SD_mNS0_19identity_decomposerEEEvT1_T2_T3_T4_jPT5_SK_PNS1_23onesweep_lookback_stateET6_jjj.kd
    .uniform_work_group_size: 1
    .uses_dynamic_stack: false
    .vgpr_count:     100
    .vgpr_spill_count: 0
    .wavefront_size: 64
  - .agpr_count:     0
    .args:
      - .address_space:  global
        .offset:         0
        .size:           8
        .value_kind:     global_buffer
      - .address_space:  global
        .offset:         8
        .size:           8
        .value_kind:     global_buffer
      - .address_space:  global
        .offset:         16
        .size:           8
        .value_kind:     global_buffer
      - .address_space:  global
        .offset:         24
        .size:           8
        .value_kind:     global_buffer
      - .offset:         32
        .size:           4
        .value_kind:     by_value
      - .offset:         36
        .size:           1
        .value_kind:     by_value
      - .offset:         40
        .size:           4
        .value_kind:     by_value
      - .offset:         44
        .size:           4
        .value_kind:     by_value
      - .offset:         48
        .size:           4
        .value_kind:     hidden_block_count_x
      - .offset:         52
        .size:           4
        .value_kind:     hidden_block_count_y
      - .offset:         56
        .size:           4
        .value_kind:     hidden_block_count_z
      - .offset:         60
        .size:           2
        .value_kind:     hidden_group_size_x
      - .offset:         62
        .size:           2
        .value_kind:     hidden_group_size_y
      - .offset:         64
        .size:           2
        .value_kind:     hidden_group_size_z
      - .offset:         66
        .size:           2
        .value_kind:     hidden_remainder_x
      - .offset:         68
        .size:           2
        .value_kind:     hidden_remainder_y
      - .offset:         70
        .size:           2
        .value_kind:     hidden_remainder_z
      - .offset:         88
        .size:           8
        .value_kind:     hidden_global_offset_x
      - .offset:         96
        .size:           8
        .value_kind:     hidden_global_offset_y
      - .offset:         104
        .size:           8
        .value_kind:     hidden_global_offset_z
      - .offset:         112
        .size:           2
        .value_kind:     hidden_grid_dims
    .group_segment_fixed_size: 8192
    .kernarg_segment_align: 8
    .kernarg_segment_size: 304
    .language:       OpenCL C
    .language_version:
      - 2
      - 0
    .max_flat_workgroup_size: 256
    .name:           _ZN7rocprim17ROCPRIM_304000_NS6detail28radix_sort_block_sort_kernelINS1_36wrapped_radix_sort_block_sort_configINS0_13kernel_configILj256ELj4ELj4294967295EEEsN2at4cuda3cub6detail10OpaqueTypeILi8EEEEELb0EPKsPsPKSB_PSB_NS0_19identity_decomposerEEEvT1_T2_T3_T4_jT5_jj
    .private_segment_fixed_size: 0
    .sgpr_count:     54
    .sgpr_spill_count: 0
    .symbol:         _ZN7rocprim17ROCPRIM_304000_NS6detail28radix_sort_block_sort_kernelINS1_36wrapped_radix_sort_block_sort_configINS0_13kernel_configILj256ELj4ELj4294967295EEEsN2at4cuda3cub6detail10OpaqueTypeILi8EEEEELb0EPKsPsPKSB_PSB_NS0_19identity_decomposerEEEvT1_T2_T3_T4_jT5_jj.kd
    .uniform_work_group_size: 1
    .uses_dynamic_stack: false
    .vgpr_count:     54
    .vgpr_spill_count: 0
    .wavefront_size: 64
  - .agpr_count:     0
    .args:
      - .address_space:  global
        .offset:         0
        .size:           8
        .value_kind:     global_buffer
      - .offset:         8
        .size:           4
        .value_kind:     by_value
      - .offset:         12
        .size:           4
        .value_kind:     by_value
      - .address_space:  global
        .offset:         16
        .size:           8
        .value_kind:     global_buffer
      - .offset:         24
        .size:           1
        .value_kind:     by_value
      - .offset:         28
        .size:           4
        .value_kind:     by_value
    .group_segment_fixed_size: 0
    .kernarg_segment_align: 8
    .kernarg_segment_size: 32
    .language:       OpenCL C
    .language_version:
      - 2
      - 0
    .max_flat_workgroup_size: 128
    .name:           _ZN7rocprim17ROCPRIM_304000_NS6detail45device_block_merge_mergepath_partition_kernelINS1_37wrapped_merge_sort_block_merge_configINS0_14default_configEsN2at4cuda3cub6detail10OpaqueTypeILi8EEEEEPsjNS1_19radix_merge_compareILb0ELb0EsNS0_19identity_decomposerEEEEEvT0_T1_jPSH_T2_SH_
    .private_segment_fixed_size: 0
    .sgpr_count:     12
    .sgpr_spill_count: 0
    .symbol:         _ZN7rocprim17ROCPRIM_304000_NS6detail45device_block_merge_mergepath_partition_kernelINS1_37wrapped_merge_sort_block_merge_configINS0_14default_configEsN2at4cuda3cub6detail10OpaqueTypeILi8EEEEEPsjNS1_19radix_merge_compareILb0ELb0EsNS0_19identity_decomposerEEEEEvT0_T1_jPSH_T2_SH_.kd
    .uniform_work_group_size: 1
    .uses_dynamic_stack: false
    .vgpr_count:     17
    .vgpr_spill_count: 0
    .wavefront_size: 64
  - .agpr_count:     0
    .args:
      - .address_space:  global
        .offset:         0
        .size:           8
        .value_kind:     global_buffer
      - .address_space:  global
        .offset:         8
        .size:           8
        .value_kind:     global_buffer
      - .address_space:  global
        .offset:         16
        .size:           8
        .value_kind:     global_buffer
      - .address_space:  global
        .offset:         24
        .size:           8
        .value_kind:     global_buffer
      - .offset:         32
        .size:           4
        .value_kind:     by_value
      - .offset:         36
        .size:           4
        .value_kind:     by_value
      - .offset:         40
        .size:           4
        .value_kind:     by_value
      - .offset:         44
        .size:           1
        .value_kind:     by_value
      - .address_space:  global
        .offset:         48
        .size:           8
        .value_kind:     global_buffer
      - .address_space:  global
        .offset:         56
        .size:           8
        .value_kind:     global_buffer
      - .offset:         64
        .size:           4
        .value_kind:     hidden_block_count_x
      - .offset:         68
        .size:           4
        .value_kind:     hidden_block_count_y
      - .offset:         72
        .size:           4
        .value_kind:     hidden_block_count_z
      - .offset:         76
        .size:           2
        .value_kind:     hidden_group_size_x
      - .offset:         78
        .size:           2
        .value_kind:     hidden_group_size_y
      - .offset:         80
        .size:           2
        .value_kind:     hidden_group_size_z
      - .offset:         82
        .size:           2
        .value_kind:     hidden_remainder_x
      - .offset:         84
        .size:           2
        .value_kind:     hidden_remainder_y
      - .offset:         86
        .size:           2
        .value_kind:     hidden_remainder_z
      - .offset:         104
        .size:           8
        .value_kind:     hidden_global_offset_x
      - .offset:         112
        .size:           8
        .value_kind:     hidden_global_offset_y
      - .offset:         120
        .size:           8
        .value_kind:     hidden_global_offset_z
      - .offset:         128
        .size:           2
        .value_kind:     hidden_grid_dims
    .group_segment_fixed_size: 8208
    .kernarg_segment_align: 8
    .kernarg_segment_size: 320
    .language:       OpenCL C
    .language_version:
      - 2
      - 0
    .max_flat_workgroup_size: 512
    .name:           _ZN7rocprim17ROCPRIM_304000_NS6detail35device_block_merge_mergepath_kernelINS1_37wrapped_merge_sort_block_merge_configINS0_14default_configEsN2at4cuda3cub6detail10OpaqueTypeILi8EEEEEPsSC_PSA_SD_jNS1_19radix_merge_compareILb0ELb0EsNS0_19identity_decomposerEEEEEvT0_T1_T2_T3_T4_SL_jT5_PKSL_NS1_7vsmem_tE
    .private_segment_fixed_size: 0
    .sgpr_count:     37
    .sgpr_spill_count: 0
    .symbol:         _ZN7rocprim17ROCPRIM_304000_NS6detail35device_block_merge_mergepath_kernelINS1_37wrapped_merge_sort_block_merge_configINS0_14default_configEsN2at4cuda3cub6detail10OpaqueTypeILi8EEEEEPsSC_PSA_SD_jNS1_19radix_merge_compareILb0ELb0EsNS0_19identity_decomposerEEEEEvT0_T1_T2_T3_T4_SL_jT5_PKSL_NS1_7vsmem_tE.kd
    .uniform_work_group_size: 1
    .uses_dynamic_stack: false
    .vgpr_count:     14
    .vgpr_spill_count: 0
    .wavefront_size: 64
  - .agpr_count:     0
    .args:
      - .address_space:  global
        .offset:         0
        .size:           8
        .value_kind:     global_buffer
      - .address_space:  global
        .offset:         8
        .size:           8
        .value_kind:     global_buffer
      - .address_space:  global
        .offset:         16
        .size:           8
        .value_kind:     global_buffer
      - .address_space:  global
        .offset:         24
        .size:           8
        .value_kind:     global_buffer
      - .offset:         32
        .size:           4
        .value_kind:     by_value
      - .offset:         36
        .size:           4
        .value_kind:     by_value
      - .offset:         40
        .size:           1
        .value_kind:     by_value
    .group_segment_fixed_size: 0
    .kernarg_segment_align: 8
    .kernarg_segment_size: 44
    .language:       OpenCL C
    .language_version:
      - 2
      - 0
    .max_flat_workgroup_size: 256
    .name:           _ZN7rocprim17ROCPRIM_304000_NS6detail33device_block_merge_oddeven_kernelINS1_37wrapped_merge_sort_block_merge_configINS0_14default_configEsN2at4cuda3cub6detail10OpaqueTypeILi8EEEEEPsSC_PSA_SD_jNS1_19radix_merge_compareILb0ELb0EsNS0_19identity_decomposerEEEEEvT0_T1_T2_T3_T4_SL_T5_
    .private_segment_fixed_size: 0
    .sgpr_count:     28
    .sgpr_spill_count: 0
    .symbol:         _ZN7rocprim17ROCPRIM_304000_NS6detail33device_block_merge_oddeven_kernelINS1_37wrapped_merge_sort_block_merge_configINS0_14default_configEsN2at4cuda3cub6detail10OpaqueTypeILi8EEEEEPsSC_PSA_SD_jNS1_19radix_merge_compareILb0ELb0EsNS0_19identity_decomposerEEEEEvT0_T1_T2_T3_T4_SL_T5_.kd
    .uniform_work_group_size: 1
    .uses_dynamic_stack: false
    .vgpr_count:     10
    .vgpr_spill_count: 0
    .wavefront_size: 64
  - .agpr_count:     0
    .args:
      - .address_space:  global
        .offset:         0
        .size:           8
        .value_kind:     global_buffer
      - .offset:         8
        .size:           4
        .value_kind:     by_value
      - .offset:         12
        .size:           4
        .value_kind:     by_value
      - .address_space:  global
        .offset:         16
        .size:           8
        .value_kind:     global_buffer
      - .offset:         24
        .size:           2
        .value_kind:     by_value
      - .offset:         28
        .size:           4
        .value_kind:     by_value
    .group_segment_fixed_size: 0
    .kernarg_segment_align: 8
    .kernarg_segment_size: 32
    .language:       OpenCL C
    .language_version:
      - 2
      - 0
    .max_flat_workgroup_size: 128
    .name:           _ZN7rocprim17ROCPRIM_304000_NS6detail45device_block_merge_mergepath_partition_kernelINS1_37wrapped_merge_sort_block_merge_configINS0_14default_configEsN2at4cuda3cub6detail10OpaqueTypeILi8EEEEEPsjNS1_19radix_merge_compareILb0ELb1EsNS0_19identity_decomposerEEEEEvT0_T1_jPSH_T2_SH_
    .private_segment_fixed_size: 0
    .sgpr_count:     14
    .sgpr_spill_count: 0
    .symbol:         _ZN7rocprim17ROCPRIM_304000_NS6detail45device_block_merge_mergepath_partition_kernelINS1_37wrapped_merge_sort_block_merge_configINS0_14default_configEsN2at4cuda3cub6detail10OpaqueTypeILi8EEEEEPsjNS1_19radix_merge_compareILb0ELb1EsNS0_19identity_decomposerEEEEEvT0_T1_jPSH_T2_SH_.kd
    .uniform_work_group_size: 1
    .uses_dynamic_stack: false
    .vgpr_count:     17
    .vgpr_spill_count: 0
    .wavefront_size: 64
  - .agpr_count:     0
    .args:
      - .address_space:  global
        .offset:         0
        .size:           8
        .value_kind:     global_buffer
      - .address_space:  global
        .offset:         8
        .size:           8
        .value_kind:     global_buffer
      - .address_space:  global
        .offset:         16
        .size:           8
        .value_kind:     global_buffer
      - .address_space:  global
        .offset:         24
        .size:           8
        .value_kind:     global_buffer
      - .offset:         32
        .size:           4
        .value_kind:     by_value
      - .offset:         36
        .size:           4
        .value_kind:     by_value
      - .offset:         40
        .size:           4
        .value_kind:     by_value
      - .offset:         44
        .size:           2
        .value_kind:     by_value
      - .address_space:  global
        .offset:         48
        .size:           8
        .value_kind:     global_buffer
      - .address_space:  global
        .offset:         56
        .size:           8
        .value_kind:     global_buffer
      - .offset:         64
        .size:           4
        .value_kind:     hidden_block_count_x
      - .offset:         68
        .size:           4
        .value_kind:     hidden_block_count_y
      - .offset:         72
        .size:           4
        .value_kind:     hidden_block_count_z
      - .offset:         76
        .size:           2
        .value_kind:     hidden_group_size_x
      - .offset:         78
        .size:           2
        .value_kind:     hidden_group_size_y
      - .offset:         80
        .size:           2
        .value_kind:     hidden_group_size_z
      - .offset:         82
        .size:           2
        .value_kind:     hidden_remainder_x
      - .offset:         84
        .size:           2
        .value_kind:     hidden_remainder_y
      - .offset:         86
        .size:           2
        .value_kind:     hidden_remainder_z
      - .offset:         104
        .size:           8
        .value_kind:     hidden_global_offset_x
      - .offset:         112
        .size:           8
        .value_kind:     hidden_global_offset_y
      - .offset:         120
        .size:           8
        .value_kind:     hidden_global_offset_z
      - .offset:         128
        .size:           2
        .value_kind:     hidden_grid_dims
    .group_segment_fixed_size: 8208
    .kernarg_segment_align: 8
    .kernarg_segment_size: 320
    .language:       OpenCL C
    .language_version:
      - 2
      - 0
    .max_flat_workgroup_size: 512
    .name:           _ZN7rocprim17ROCPRIM_304000_NS6detail35device_block_merge_mergepath_kernelINS1_37wrapped_merge_sort_block_merge_configINS0_14default_configEsN2at4cuda3cub6detail10OpaqueTypeILi8EEEEEPsSC_PSA_SD_jNS1_19radix_merge_compareILb0ELb1EsNS0_19identity_decomposerEEEEEvT0_T1_T2_T3_T4_SL_jT5_PKSL_NS1_7vsmem_tE
    .private_segment_fixed_size: 0
    .sgpr_count:     38
    .sgpr_spill_count: 0
    .symbol:         _ZN7rocprim17ROCPRIM_304000_NS6detail35device_block_merge_mergepath_kernelINS1_37wrapped_merge_sort_block_merge_configINS0_14default_configEsN2at4cuda3cub6detail10OpaqueTypeILi8EEEEEPsSC_PSA_SD_jNS1_19radix_merge_compareILb0ELb1EsNS0_19identity_decomposerEEEEEvT0_T1_T2_T3_T4_SL_jT5_PKSL_NS1_7vsmem_tE.kd
    .uniform_work_group_size: 1
    .uses_dynamic_stack: false
    .vgpr_count:     14
    .vgpr_spill_count: 0
    .wavefront_size: 64
  - .agpr_count:     0
    .args:
      - .address_space:  global
        .offset:         0
        .size:           8
        .value_kind:     global_buffer
      - .address_space:  global
        .offset:         8
        .size:           8
        .value_kind:     global_buffer
      - .address_space:  global
        .offset:         16
        .size:           8
        .value_kind:     global_buffer
      - .address_space:  global
        .offset:         24
        .size:           8
        .value_kind:     global_buffer
      - .offset:         32
        .size:           4
        .value_kind:     by_value
      - .offset:         36
        .size:           4
        .value_kind:     by_value
      - .offset:         40
        .size:           2
        .value_kind:     by_value
    .group_segment_fixed_size: 0
    .kernarg_segment_align: 8
    .kernarg_segment_size: 44
    .language:       OpenCL C
    .language_version:
      - 2
      - 0
    .max_flat_workgroup_size: 256
    .name:           _ZN7rocprim17ROCPRIM_304000_NS6detail33device_block_merge_oddeven_kernelINS1_37wrapped_merge_sort_block_merge_configINS0_14default_configEsN2at4cuda3cub6detail10OpaqueTypeILi8EEEEEPsSC_PSA_SD_jNS1_19radix_merge_compareILb0ELb1EsNS0_19identity_decomposerEEEEEvT0_T1_T2_T3_T4_SL_T5_
    .private_segment_fixed_size: 0
    .sgpr_count:     30
    .sgpr_spill_count: 0
    .symbol:         _ZN7rocprim17ROCPRIM_304000_NS6detail33device_block_merge_oddeven_kernelINS1_37wrapped_merge_sort_block_merge_configINS0_14default_configEsN2at4cuda3cub6detail10OpaqueTypeILi8EEEEEPsSC_PSA_SD_jNS1_19radix_merge_compareILb0ELb1EsNS0_19identity_decomposerEEEEEvT0_T1_T2_T3_T4_SL_T5_.kd
    .uniform_work_group_size: 1
    .uses_dynamic_stack: false
    .vgpr_count:     11
    .vgpr_spill_count: 0
    .wavefront_size: 64
  - .agpr_count:     0
    .args:
      - .address_space:  global
        .offset:         0
        .size:           8
        .value_kind:     global_buffer
      - .address_space:  global
        .offset:         8
        .size:           8
        .value_kind:     global_buffer
      - .offset:         16
        .size:           8
        .value_kind:     by_value
      - .offset:         24
        .size:           8
        .value_kind:     by_value
      - .offset:         32
        .size:           1
        .value_kind:     by_value
      - .offset:         36
        .size:           4
        .value_kind:     by_value
      - .offset:         40
        .size:           4
        .value_kind:     by_value
    .group_segment_fixed_size: 8192
    .kernarg_segment_align: 8
    .kernarg_segment_size: 44
    .language:       OpenCL C
    .language_version:
      - 2
      - 0
    .max_flat_workgroup_size: 256
    .name:           _ZN7rocprim17ROCPRIM_304000_NS6detail26onesweep_histograms_kernelINS1_34wrapped_radix_sort_onesweep_configINS0_14default_configEsN2at4cuda3cub6detail10OpaqueTypeILi8EEEEELb0EPKsmNS0_19identity_decomposerEEEvT1_PT2_SG_SG_T3_jj
    .private_segment_fixed_size: 0
    .sgpr_count:     62
    .sgpr_spill_count: 0
    .symbol:         _ZN7rocprim17ROCPRIM_304000_NS6detail26onesweep_histograms_kernelINS1_34wrapped_radix_sort_onesweep_configINS0_14default_configEsN2at4cuda3cub6detail10OpaqueTypeILi8EEEEELb0EPKsmNS0_19identity_decomposerEEEvT1_PT2_SG_SG_T3_jj.kd
    .uniform_work_group_size: 1
    .uses_dynamic_stack: false
    .vgpr_count:     30
    .vgpr_spill_count: 0
    .wavefront_size: 64
  - .agpr_count:     0
    .args:
      - .address_space:  global
        .offset:         0
        .size:           8
        .value_kind:     global_buffer
      - .address_space:  global
        .offset:         8
        .size:           8
        .value_kind:     global_buffer
      - .address_space:  global
        .offset:         16
        .size:           8
        .value_kind:     global_buffer
      - .address_space:  global
        .offset:         24
        .size:           8
        .value_kind:     global_buffer
      - .offset:         32
        .size:           4
        .value_kind:     by_value
      - .address_space:  global
        .offset:         40
        .size:           8
        .value_kind:     global_buffer
      - .address_space:  global
        .offset:         48
        .size:           8
        .value_kind:     global_buffer
      - .address_space:  global
        .offset:         56
        .size:           8
        .value_kind:     global_buffer
      - .offset:         64
        .size:           1
        .value_kind:     by_value
      - .offset:         68
        .size:           4
        .value_kind:     by_value
      - .offset:         72
        .size:           4
        .value_kind:     by_value
      - .offset:         76
        .size:           4
        .value_kind:     by_value
      - .offset:         80
        .size:           4
        .value_kind:     hidden_block_count_x
      - .offset:         84
        .size:           4
        .value_kind:     hidden_block_count_y
      - .offset:         88
        .size:           4
        .value_kind:     hidden_block_count_z
      - .offset:         92
        .size:           2
        .value_kind:     hidden_group_size_x
      - .offset:         94
        .size:           2
        .value_kind:     hidden_group_size_y
      - .offset:         96
        .size:           2
        .value_kind:     hidden_group_size_z
      - .offset:         98
        .size:           2
        .value_kind:     hidden_remainder_x
      - .offset:         100
        .size:           2
        .value_kind:     hidden_remainder_y
      - .offset:         102
        .size:           2
        .value_kind:     hidden_remainder_z
      - .offset:         120
        .size:           8
        .value_kind:     hidden_global_offset_x
      - .offset:         128
        .size:           8
        .value_kind:     hidden_global_offset_y
      - .offset:         136
        .size:           8
        .value_kind:     hidden_global_offset_z
      - .offset:         144
        .size:           2
        .value_kind:     hidden_grid_dims
    .group_segment_fixed_size: 38912
    .kernarg_segment_align: 8
    .kernarg_segment_size: 336
    .language:       OpenCL C
    .language_version:
      - 2
      - 0
    .max_flat_workgroup_size: 256
    .name:           _ZN7rocprim17ROCPRIM_304000_NS6detail25onesweep_iteration_kernelINS1_34wrapped_radix_sort_onesweep_configINS0_14default_configEsN2at4cuda3cub6detail10OpaqueTypeILi8EEEEELb0EPKsPsPKSA_PSA_mNS0_19identity_decomposerEEEvT1_T2_T3_T4_jPT5_SO_PNS1_23onesweep_lookback_stateET6_jjj
    .private_segment_fixed_size: 0
    .sgpr_count:     103
    .sgpr_spill_count: 0
    .symbol:         _ZN7rocprim17ROCPRIM_304000_NS6detail25onesweep_iteration_kernelINS1_34wrapped_radix_sort_onesweep_configINS0_14default_configEsN2at4cuda3cub6detail10OpaqueTypeILi8EEEEELb0EPKsPsPKSA_PSA_mNS0_19identity_decomposerEEEvT1_T2_T3_T4_jPT5_SO_PNS1_23onesweep_lookback_stateET6_jjj.kd
    .uniform_work_group_size: 1
    .uses_dynamic_stack: false
    .vgpr_count:     100
    .vgpr_spill_count: 0
    .wavefront_size: 64
  - .agpr_count:     0
    .args:
      - .address_space:  global
        .offset:         0
        .size:           8
        .value_kind:     global_buffer
      - .address_space:  global
        .offset:         8
        .size:           8
        .value_kind:     global_buffer
      - .address_space:  global
        .offset:         16
        .size:           8
        .value_kind:     global_buffer
      - .address_space:  global
        .offset:         24
        .size:           8
        .value_kind:     global_buffer
      - .offset:         32
        .size:           4
        .value_kind:     by_value
      - .address_space:  global
        .offset:         40
        .size:           8
        .value_kind:     global_buffer
      - .address_space:  global
        .offset:         48
        .size:           8
        .value_kind:     global_buffer
      - .address_space:  global
        .offset:         56
        .size:           8
        .value_kind:     global_buffer
      - .offset:         64
        .size:           1
        .value_kind:     by_value
      - .offset:         68
        .size:           4
        .value_kind:     by_value
      - .offset:         72
        .size:           4
        .value_kind:     by_value
      - .offset:         76
        .size:           4
        .value_kind:     by_value
      - .offset:         80
        .size:           4
        .value_kind:     hidden_block_count_x
      - .offset:         84
        .size:           4
        .value_kind:     hidden_block_count_y
      - .offset:         88
        .size:           4
        .value_kind:     hidden_block_count_z
      - .offset:         92
        .size:           2
        .value_kind:     hidden_group_size_x
      - .offset:         94
        .size:           2
        .value_kind:     hidden_group_size_y
      - .offset:         96
        .size:           2
        .value_kind:     hidden_group_size_z
      - .offset:         98
        .size:           2
        .value_kind:     hidden_remainder_x
      - .offset:         100
        .size:           2
        .value_kind:     hidden_remainder_y
      - .offset:         102
        .size:           2
        .value_kind:     hidden_remainder_z
      - .offset:         120
        .size:           8
        .value_kind:     hidden_global_offset_x
      - .offset:         128
        .size:           8
        .value_kind:     hidden_global_offset_y
      - .offset:         136
        .size:           8
        .value_kind:     hidden_global_offset_z
      - .offset:         144
        .size:           2
        .value_kind:     hidden_grid_dims
    .group_segment_fixed_size: 38912
    .kernarg_segment_align: 8
    .kernarg_segment_size: 336
    .language:       OpenCL C
    .language_version:
      - 2
      - 0
    .max_flat_workgroup_size: 256
    .name:           _ZN7rocprim17ROCPRIM_304000_NS6detail25onesweep_iteration_kernelINS1_34wrapped_radix_sort_onesweep_configINS0_14default_configEsN2at4cuda3cub6detail10OpaqueTypeILi8EEEEELb0EPsSC_PSA_SD_mNS0_19identity_decomposerEEEvT1_T2_T3_T4_jPT5_SK_PNS1_23onesweep_lookback_stateET6_jjj
    .private_segment_fixed_size: 0
    .sgpr_count:     103
    .sgpr_spill_count: 0
    .symbol:         _ZN7rocprim17ROCPRIM_304000_NS6detail25onesweep_iteration_kernelINS1_34wrapped_radix_sort_onesweep_configINS0_14default_configEsN2at4cuda3cub6detail10OpaqueTypeILi8EEEEELb0EPsSC_PSA_SD_mNS0_19identity_decomposerEEEvT1_T2_T3_T4_jPT5_SK_PNS1_23onesweep_lookback_stateET6_jjj.kd
    .uniform_work_group_size: 1
    .uses_dynamic_stack: false
    .vgpr_count:     100
    .vgpr_spill_count: 0
    .wavefront_size: 64
  - .agpr_count:     0
    .args:
      - .address_space:  global
        .offset:         0
        .size:           8
        .value_kind:     global_buffer
      - .address_space:  global
        .offset:         8
        .size:           8
        .value_kind:     global_buffer
      - .address_space:  global
        .offset:         16
        .size:           8
        .value_kind:     global_buffer
      - .address_space:  global
        .offset:         24
        .size:           8
        .value_kind:     global_buffer
      - .offset:         32
        .size:           4
        .value_kind:     by_value
      - .offset:         36
        .size:           1
        .value_kind:     by_value
      - .offset:         40
        .size:           4
        .value_kind:     by_value
      - .offset:         44
        .size:           4
        .value_kind:     by_value
      - .offset:         48
        .size:           4
        .value_kind:     hidden_block_count_x
      - .offset:         52
        .size:           4
        .value_kind:     hidden_block_count_y
      - .offset:         56
        .size:           4
        .value_kind:     hidden_block_count_z
      - .offset:         60
        .size:           2
        .value_kind:     hidden_group_size_x
      - .offset:         62
        .size:           2
        .value_kind:     hidden_group_size_y
      - .offset:         64
        .size:           2
        .value_kind:     hidden_group_size_z
      - .offset:         66
        .size:           2
        .value_kind:     hidden_remainder_x
      - .offset:         68
        .size:           2
        .value_kind:     hidden_remainder_y
      - .offset:         70
        .size:           2
        .value_kind:     hidden_remainder_z
      - .offset:         88
        .size:           8
        .value_kind:     hidden_global_offset_x
      - .offset:         96
        .size:           8
        .value_kind:     hidden_global_offset_y
      - .offset:         104
        .size:           8
        .value_kind:     hidden_global_offset_z
      - .offset:         112
        .size:           2
        .value_kind:     hidden_grid_dims
    .group_segment_fixed_size: 8192
    .kernarg_segment_align: 8
    .kernarg_segment_size: 304
    .language:       OpenCL C
    .language_version:
      - 2
      - 0
    .max_flat_workgroup_size: 256
    .name:           _ZN7rocprim17ROCPRIM_304000_NS6detail28radix_sort_block_sort_kernelINS1_36wrapped_radix_sort_block_sort_configINS0_13kernel_configILj256ELj4ELj4294967295EEEiN2at4cuda3cub6detail10OpaqueTypeILi8EEEEELb1EPKiPiPKSB_PSB_NS0_19identity_decomposerEEEvT1_T2_T3_T4_jT5_jj
    .private_segment_fixed_size: 0
    .sgpr_count:     52
    .sgpr_spill_count: 0
    .symbol:         _ZN7rocprim17ROCPRIM_304000_NS6detail28radix_sort_block_sort_kernelINS1_36wrapped_radix_sort_block_sort_configINS0_13kernel_configILj256ELj4ELj4294967295EEEiN2at4cuda3cub6detail10OpaqueTypeILi8EEEEELb1EPKiPiPKSB_PSB_NS0_19identity_decomposerEEEvT1_T2_T3_T4_jT5_jj.kd
    .uniform_work_group_size: 1
    .uses_dynamic_stack: false
    .vgpr_count:     54
    .vgpr_spill_count: 0
    .wavefront_size: 64
  - .agpr_count:     0
    .args:           []
    .group_segment_fixed_size: 0
    .kernarg_segment_align: 4
    .kernarg_segment_size: 0
    .language:       OpenCL C
    .language_version:
      - 2
      - 0
    .max_flat_workgroup_size: 1024
    .name:           _ZN7rocprim17ROCPRIM_304000_NS6detail39device_merge_sort_compile_time_verifierINS1_36wrapped_merge_sort_block_sort_configINS1_28merge_sort_block_sort_configILj256ELj4ELNS0_20block_sort_algorithmE0EEEiN2at4cuda3cub6detail10OpaqueTypeILi8EEEEENS1_37wrapped_merge_sort_block_merge_configINS0_14default_configEiSC_EEEEvv
    .private_segment_fixed_size: 0
    .sgpr_count:     6
    .sgpr_spill_count: 0
    .symbol:         _ZN7rocprim17ROCPRIM_304000_NS6detail39device_merge_sort_compile_time_verifierINS1_36wrapped_merge_sort_block_sort_configINS1_28merge_sort_block_sort_configILj256ELj4ELNS0_20block_sort_algorithmE0EEEiN2at4cuda3cub6detail10OpaqueTypeILi8EEEEENS1_37wrapped_merge_sort_block_merge_configINS0_14default_configEiSC_EEEEvv.kd
    .uniform_work_group_size: 1
    .uses_dynamic_stack: false
    .vgpr_count:     0
    .vgpr_spill_count: 0
    .wavefront_size: 64
  - .agpr_count:     0
    .args:
      - .address_space:  global
        .offset:         0
        .size:           8
        .value_kind:     global_buffer
      - .offset:         8
        .size:           4
        .value_kind:     by_value
      - .offset:         12
        .size:           4
        .value_kind:     by_value
      - .address_space:  global
        .offset:         16
        .size:           8
        .value_kind:     global_buffer
      - .offset:         24
        .size:           1
        .value_kind:     by_value
      - .offset:         28
        .size:           4
        .value_kind:     by_value
    .group_segment_fixed_size: 0
    .kernarg_segment_align: 8
    .kernarg_segment_size: 32
    .language:       OpenCL C
    .language_version:
      - 2
      - 0
    .max_flat_workgroup_size: 128
    .name:           _ZN7rocprim17ROCPRIM_304000_NS6detail45device_block_merge_mergepath_partition_kernelINS1_37wrapped_merge_sort_block_merge_configINS0_14default_configEiN2at4cuda3cub6detail10OpaqueTypeILi8EEEEEPijNS1_19radix_merge_compareILb1ELb0EiNS0_19identity_decomposerEEEEEvT0_T1_jPSH_T2_SH_
    .private_segment_fixed_size: 0
    .sgpr_count:     12
    .sgpr_spill_count: 0
    .symbol:         _ZN7rocprim17ROCPRIM_304000_NS6detail45device_block_merge_mergepath_partition_kernelINS1_37wrapped_merge_sort_block_merge_configINS0_14default_configEiN2at4cuda3cub6detail10OpaqueTypeILi8EEEEEPijNS1_19radix_merge_compareILb1ELb0EiNS0_19identity_decomposerEEEEEvT0_T1_jPSH_T2_SH_.kd
    .uniform_work_group_size: 1
    .uses_dynamic_stack: false
    .vgpr_count:     17
    .vgpr_spill_count: 0
    .wavefront_size: 64
  - .agpr_count:     0
    .args:
      - .address_space:  global
        .offset:         0
        .size:           8
        .value_kind:     global_buffer
      - .address_space:  global
        .offset:         8
        .size:           8
        .value_kind:     global_buffer
      - .address_space:  global
        .offset:         16
        .size:           8
        .value_kind:     global_buffer
      - .address_space:  global
        .offset:         24
        .size:           8
        .value_kind:     global_buffer
      - .offset:         32
        .size:           4
        .value_kind:     by_value
      - .offset:         36
        .size:           4
        .value_kind:     by_value
      - .offset:         40
        .size:           4
        .value_kind:     by_value
      - .offset:         44
        .size:           1
        .value_kind:     by_value
      - .address_space:  global
        .offset:         48
        .size:           8
        .value_kind:     global_buffer
      - .address_space:  global
        .offset:         56
        .size:           8
        .value_kind:     global_buffer
      - .offset:         64
        .size:           4
        .value_kind:     hidden_block_count_x
      - .offset:         68
        .size:           4
        .value_kind:     hidden_block_count_y
      - .offset:         72
        .size:           4
        .value_kind:     hidden_block_count_z
      - .offset:         76
        .size:           2
        .value_kind:     hidden_group_size_x
      - .offset:         78
        .size:           2
        .value_kind:     hidden_group_size_y
      - .offset:         80
        .size:           2
        .value_kind:     hidden_group_size_z
      - .offset:         82
        .size:           2
        .value_kind:     hidden_remainder_x
      - .offset:         84
        .size:           2
        .value_kind:     hidden_remainder_y
      - .offset:         86
        .size:           2
        .value_kind:     hidden_remainder_z
      - .offset:         104
        .size:           8
        .value_kind:     hidden_global_offset_x
      - .offset:         112
        .size:           8
        .value_kind:     hidden_global_offset_y
      - .offset:         120
        .size:           8
        .value_kind:     hidden_global_offset_z
      - .offset:         128
        .size:           2
        .value_kind:     hidden_grid_dims
    .group_segment_fixed_size: 8208
    .kernarg_segment_align: 8
    .kernarg_segment_size: 320
    .language:       OpenCL C
    .language_version:
      - 2
      - 0
    .max_flat_workgroup_size: 512
    .name:           _ZN7rocprim17ROCPRIM_304000_NS6detail35device_block_merge_mergepath_kernelINS1_37wrapped_merge_sort_block_merge_configINS0_14default_configEiN2at4cuda3cub6detail10OpaqueTypeILi8EEEEEPiSC_PSA_SD_jNS1_19radix_merge_compareILb1ELb0EiNS0_19identity_decomposerEEEEEvT0_T1_T2_T3_T4_SL_jT5_PKSL_NS1_7vsmem_tE
    .private_segment_fixed_size: 0
    .sgpr_count:     36
    .sgpr_spill_count: 0
    .symbol:         _ZN7rocprim17ROCPRIM_304000_NS6detail35device_block_merge_mergepath_kernelINS1_37wrapped_merge_sort_block_merge_configINS0_14default_configEiN2at4cuda3cub6detail10OpaqueTypeILi8EEEEEPiSC_PSA_SD_jNS1_19radix_merge_compareILb1ELb0EiNS0_19identity_decomposerEEEEEvT0_T1_T2_T3_T4_SL_jT5_PKSL_NS1_7vsmem_tE.kd
    .uniform_work_group_size: 1
    .uses_dynamic_stack: false
    .vgpr_count:     17
    .vgpr_spill_count: 0
    .wavefront_size: 64
  - .agpr_count:     0
    .args:
      - .address_space:  global
        .offset:         0
        .size:           8
        .value_kind:     global_buffer
      - .address_space:  global
        .offset:         8
        .size:           8
        .value_kind:     global_buffer
      - .address_space:  global
        .offset:         16
        .size:           8
        .value_kind:     global_buffer
      - .address_space:  global
        .offset:         24
        .size:           8
        .value_kind:     global_buffer
      - .offset:         32
        .size:           4
        .value_kind:     by_value
      - .offset:         36
        .size:           4
        .value_kind:     by_value
      - .offset:         40
        .size:           1
        .value_kind:     by_value
    .group_segment_fixed_size: 0
    .kernarg_segment_align: 8
    .kernarg_segment_size: 44
    .language:       OpenCL C
    .language_version:
      - 2
      - 0
    .max_flat_workgroup_size: 256
    .name:           _ZN7rocprim17ROCPRIM_304000_NS6detail33device_block_merge_oddeven_kernelINS1_37wrapped_merge_sort_block_merge_configINS0_14default_configEiN2at4cuda3cub6detail10OpaqueTypeILi8EEEEEPiSC_PSA_SD_jNS1_19radix_merge_compareILb1ELb0EiNS0_19identity_decomposerEEEEEvT0_T1_T2_T3_T4_SL_T5_
    .private_segment_fixed_size: 0
    .sgpr_count:     28
    .sgpr_spill_count: 0
    .symbol:         _ZN7rocprim17ROCPRIM_304000_NS6detail33device_block_merge_oddeven_kernelINS1_37wrapped_merge_sort_block_merge_configINS0_14default_configEiN2at4cuda3cub6detail10OpaqueTypeILi8EEEEEPiSC_PSA_SD_jNS1_19radix_merge_compareILb1ELb0EiNS0_19identity_decomposerEEEEEvT0_T1_T2_T3_T4_SL_T5_.kd
    .uniform_work_group_size: 1
    .uses_dynamic_stack: false
    .vgpr_count:     11
    .vgpr_spill_count: 0
    .wavefront_size: 64
  - .agpr_count:     0
    .args:
      - .address_space:  global
        .offset:         0
        .size:           8
        .value_kind:     global_buffer
      - .offset:         8
        .size:           8
        .value_kind:     by_value
      - .address_space:  global
        .offset:         16
        .size:           8
        .value_kind:     global_buffer
      - .offset:         24
        .size:           1
        .value_kind:     by_value
      - .offset:         32
        .size:           4
        .value_kind:     hidden_block_count_x
      - .offset:         36
        .size:           4
        .value_kind:     hidden_block_count_y
      - .offset:         40
        .size:           4
        .value_kind:     hidden_block_count_z
      - .offset:         44
        .size:           2
        .value_kind:     hidden_group_size_x
      - .offset:         46
        .size:           2
        .value_kind:     hidden_group_size_y
      - .offset:         48
        .size:           2
        .value_kind:     hidden_group_size_z
      - .offset:         50
        .size:           2
        .value_kind:     hidden_remainder_x
      - .offset:         52
        .size:           2
        .value_kind:     hidden_remainder_y
      - .offset:         54
        .size:           2
        .value_kind:     hidden_remainder_z
      - .offset:         72
        .size:           8
        .value_kind:     hidden_global_offset_x
      - .offset:         80
        .size:           8
        .value_kind:     hidden_global_offset_y
      - .offset:         88
        .size:           8
        .value_kind:     hidden_global_offset_z
      - .offset:         96
        .size:           2
        .value_kind:     hidden_grid_dims
    .group_segment_fixed_size: 0
    .kernarg_segment_align: 8
    .kernarg_segment_size: 288
    .language:       OpenCL C
    .language_version:
      - 2
      - 0
    .max_flat_workgroup_size: 128
    .name:           _ZN7rocprim17ROCPRIM_304000_NS6detail16transform_kernelINS1_24wrapped_transform_configINS0_14default_configEiEEiPiS6_NS0_8identityIiEEEEvT1_mT2_T3_
    .private_segment_fixed_size: 0
    .sgpr_count:     18
    .sgpr_spill_count: 0
    .symbol:         _ZN7rocprim17ROCPRIM_304000_NS6detail16transform_kernelINS1_24wrapped_transform_configINS0_14default_configEiEEiPiS6_NS0_8identityIiEEEEvT1_mT2_T3_.kd
    .uniform_work_group_size: 1
    .uses_dynamic_stack: false
    .vgpr_count:     10
    .vgpr_spill_count: 0
    .wavefront_size: 64
  - .agpr_count:     0
    .args:
      - .address_space:  global
        .offset:         0
        .size:           8
        .value_kind:     global_buffer
      - .offset:         8
        .size:           4
        .value_kind:     by_value
      - .offset:         12
        .size:           4
        .value_kind:     by_value
      - .address_space:  global
        .offset:         16
        .size:           8
        .value_kind:     global_buffer
      - .offset:         24
        .size:           4
        .value_kind:     by_value
      - .offset:         28
        .size:           4
        .value_kind:     by_value
    .group_segment_fixed_size: 0
    .kernarg_segment_align: 8
    .kernarg_segment_size: 32
    .language:       OpenCL C
    .language_version:
      - 2
      - 0
    .max_flat_workgroup_size: 128
    .name:           _ZN7rocprim17ROCPRIM_304000_NS6detail45device_block_merge_mergepath_partition_kernelINS1_37wrapped_merge_sort_block_merge_configINS0_14default_configEiN2at4cuda3cub6detail10OpaqueTypeILi8EEEEEPijNS1_19radix_merge_compareILb1ELb1EiNS0_19identity_decomposerEEEEEvT0_T1_jPSH_T2_SH_
    .private_segment_fixed_size: 0
    .sgpr_count:     14
    .sgpr_spill_count: 0
    .symbol:         _ZN7rocprim17ROCPRIM_304000_NS6detail45device_block_merge_mergepath_partition_kernelINS1_37wrapped_merge_sort_block_merge_configINS0_14default_configEiN2at4cuda3cub6detail10OpaqueTypeILi8EEEEEPijNS1_19radix_merge_compareILb1ELb1EiNS0_19identity_decomposerEEEEEvT0_T1_jPSH_T2_SH_.kd
    .uniform_work_group_size: 1
    .uses_dynamic_stack: false
    .vgpr_count:     17
    .vgpr_spill_count: 0
    .wavefront_size: 64
  - .agpr_count:     0
    .args:
      - .address_space:  global
        .offset:         0
        .size:           8
        .value_kind:     global_buffer
      - .address_space:  global
        .offset:         8
        .size:           8
        .value_kind:     global_buffer
      - .address_space:  global
        .offset:         16
        .size:           8
        .value_kind:     global_buffer
      - .address_space:  global
        .offset:         24
        .size:           8
        .value_kind:     global_buffer
      - .offset:         32
        .size:           4
        .value_kind:     by_value
      - .offset:         36
        .size:           4
        .value_kind:     by_value
      - .offset:         40
        .size:           4
        .value_kind:     by_value
      - .offset:         44
        .size:           4
        .value_kind:     by_value
      - .address_space:  global
        .offset:         48
        .size:           8
        .value_kind:     global_buffer
      - .address_space:  global
        .offset:         56
        .size:           8
        .value_kind:     global_buffer
      - .offset:         64
        .size:           4
        .value_kind:     hidden_block_count_x
      - .offset:         68
        .size:           4
        .value_kind:     hidden_block_count_y
      - .offset:         72
        .size:           4
        .value_kind:     hidden_block_count_z
      - .offset:         76
        .size:           2
        .value_kind:     hidden_group_size_x
      - .offset:         78
        .size:           2
        .value_kind:     hidden_group_size_y
      - .offset:         80
        .size:           2
        .value_kind:     hidden_group_size_z
      - .offset:         82
        .size:           2
        .value_kind:     hidden_remainder_x
      - .offset:         84
        .size:           2
        .value_kind:     hidden_remainder_y
      - .offset:         86
        .size:           2
        .value_kind:     hidden_remainder_z
      - .offset:         104
        .size:           8
        .value_kind:     hidden_global_offset_x
      - .offset:         112
        .size:           8
        .value_kind:     hidden_global_offset_y
      - .offset:         120
        .size:           8
        .value_kind:     hidden_global_offset_z
      - .offset:         128
        .size:           2
        .value_kind:     hidden_grid_dims
    .group_segment_fixed_size: 8208
    .kernarg_segment_align: 8
    .kernarg_segment_size: 320
    .language:       OpenCL C
    .language_version:
      - 2
      - 0
    .max_flat_workgroup_size: 512
    .name:           _ZN7rocprim17ROCPRIM_304000_NS6detail35device_block_merge_mergepath_kernelINS1_37wrapped_merge_sort_block_merge_configINS0_14default_configEiN2at4cuda3cub6detail10OpaqueTypeILi8EEEEEPiSC_PSA_SD_jNS1_19radix_merge_compareILb1ELb1EiNS0_19identity_decomposerEEEEEvT0_T1_T2_T3_T4_SL_jT5_PKSL_NS1_7vsmem_tE
    .private_segment_fixed_size: 0
    .sgpr_count:     37
    .sgpr_spill_count: 0
    .symbol:         _ZN7rocprim17ROCPRIM_304000_NS6detail35device_block_merge_mergepath_kernelINS1_37wrapped_merge_sort_block_merge_configINS0_14default_configEiN2at4cuda3cub6detail10OpaqueTypeILi8EEEEEPiSC_PSA_SD_jNS1_19radix_merge_compareILb1ELb1EiNS0_19identity_decomposerEEEEEvT0_T1_T2_T3_T4_SL_jT5_PKSL_NS1_7vsmem_tE.kd
    .uniform_work_group_size: 1
    .uses_dynamic_stack: false
    .vgpr_count:     17
    .vgpr_spill_count: 0
    .wavefront_size: 64
  - .agpr_count:     0
    .args:
      - .address_space:  global
        .offset:         0
        .size:           8
        .value_kind:     global_buffer
      - .address_space:  global
        .offset:         8
        .size:           8
        .value_kind:     global_buffer
      - .address_space:  global
        .offset:         16
        .size:           8
        .value_kind:     global_buffer
      - .address_space:  global
        .offset:         24
        .size:           8
        .value_kind:     global_buffer
      - .offset:         32
        .size:           4
        .value_kind:     by_value
      - .offset:         36
        .size:           4
        .value_kind:     by_value
      - .offset:         40
        .size:           4
        .value_kind:     by_value
    .group_segment_fixed_size: 0
    .kernarg_segment_align: 8
    .kernarg_segment_size: 44
    .language:       OpenCL C
    .language_version:
      - 2
      - 0
    .max_flat_workgroup_size: 256
    .name:           _ZN7rocprim17ROCPRIM_304000_NS6detail33device_block_merge_oddeven_kernelINS1_37wrapped_merge_sort_block_merge_configINS0_14default_configEiN2at4cuda3cub6detail10OpaqueTypeILi8EEEEEPiSC_PSA_SD_jNS1_19radix_merge_compareILb1ELb1EiNS0_19identity_decomposerEEEEEvT0_T1_T2_T3_T4_SL_T5_
    .private_segment_fixed_size: 0
    .sgpr_count:     30
    .sgpr_spill_count: 0
    .symbol:         _ZN7rocprim17ROCPRIM_304000_NS6detail33device_block_merge_oddeven_kernelINS1_37wrapped_merge_sort_block_merge_configINS0_14default_configEiN2at4cuda3cub6detail10OpaqueTypeILi8EEEEEPiSC_PSA_SD_jNS1_19radix_merge_compareILb1ELb1EiNS0_19identity_decomposerEEEEEvT0_T1_T2_T3_T4_SL_T5_.kd
    .uniform_work_group_size: 1
    .uses_dynamic_stack: false
    .vgpr_count:     12
    .vgpr_spill_count: 0
    .wavefront_size: 64
  - .agpr_count:     0
    .args:
      - .address_space:  global
        .offset:         0
        .size:           8
        .value_kind:     global_buffer
      - .address_space:  global
        .offset:         8
        .size:           8
        .value_kind:     global_buffer
      - .offset:         16
        .size:           8
        .value_kind:     by_value
      - .offset:         24
        .size:           8
        .value_kind:     by_value
      - .offset:         32
        .size:           1
        .value_kind:     by_value
      - .offset:         36
        .size:           4
        .value_kind:     by_value
      - .offset:         40
        .size:           4
        .value_kind:     by_value
    .group_segment_fixed_size: 16384
    .kernarg_segment_align: 8
    .kernarg_segment_size: 44
    .language:       OpenCL C
    .language_version:
      - 2
      - 0
    .max_flat_workgroup_size: 256
    .name:           _ZN7rocprim17ROCPRIM_304000_NS6detail26onesweep_histograms_kernelINS1_34wrapped_radix_sort_onesweep_configINS0_14default_configEiN2at4cuda3cub6detail10OpaqueTypeILi8EEEEELb1EPKimNS0_19identity_decomposerEEEvT1_PT2_SG_SG_T3_jj
    .private_segment_fixed_size: 0
    .sgpr_count:     45
    .sgpr_spill_count: 0
    .symbol:         _ZN7rocprim17ROCPRIM_304000_NS6detail26onesweep_histograms_kernelINS1_34wrapped_radix_sort_onesweep_configINS0_14default_configEiN2at4cuda3cub6detail10OpaqueTypeILi8EEEEELb1EPKimNS0_19identity_decomposerEEEvT1_PT2_SG_SG_T3_jj.kd
    .uniform_work_group_size: 1
    .uses_dynamic_stack: false
    .vgpr_count:     22
    .vgpr_spill_count: 0
    .wavefront_size: 64
  - .agpr_count:     0
    .args:
      - .address_space:  global
        .offset:         0
        .size:           8
        .value_kind:     global_buffer
    .group_segment_fixed_size: 32
    .kernarg_segment_align: 8
    .kernarg_segment_size: 8
    .language:       OpenCL C
    .language_version:
      - 2
      - 0
    .max_flat_workgroup_size: 256
    .name:           _ZN7rocprim17ROCPRIM_304000_NS6detail31onesweep_scan_histograms_kernelINS1_34wrapped_radix_sort_onesweep_configINS0_14default_configEiN2at4cuda3cub6detail10OpaqueTypeILi8EEEEEmEEvPT0_
    .private_segment_fixed_size: 0
    .sgpr_count:     16
    .sgpr_spill_count: 0
    .symbol:         _ZN7rocprim17ROCPRIM_304000_NS6detail31onesweep_scan_histograms_kernelINS1_34wrapped_radix_sort_onesweep_configINS0_14default_configEiN2at4cuda3cub6detail10OpaqueTypeILi8EEEEEmEEvPT0_.kd
    .uniform_work_group_size: 1
    .uses_dynamic_stack: false
    .vgpr_count:     14
    .vgpr_spill_count: 0
    .wavefront_size: 64
  - .agpr_count:     0
    .args:
      - .address_space:  global
        .offset:         0
        .size:           8
        .value_kind:     global_buffer
      - .offset:         8
        .size:           8
        .value_kind:     by_value
      - .address_space:  global
        .offset:         16
        .size:           8
        .value_kind:     global_buffer
      - .offset:         24
        .size:           1
        .value_kind:     by_value
      - .offset:         32
        .size:           4
        .value_kind:     hidden_block_count_x
      - .offset:         36
        .size:           4
        .value_kind:     hidden_block_count_y
      - .offset:         40
        .size:           4
        .value_kind:     hidden_block_count_z
      - .offset:         44
        .size:           2
        .value_kind:     hidden_group_size_x
      - .offset:         46
        .size:           2
        .value_kind:     hidden_group_size_y
      - .offset:         48
        .size:           2
        .value_kind:     hidden_group_size_z
      - .offset:         50
        .size:           2
        .value_kind:     hidden_remainder_x
      - .offset:         52
        .size:           2
        .value_kind:     hidden_remainder_y
      - .offset:         54
        .size:           2
        .value_kind:     hidden_remainder_z
      - .offset:         72
        .size:           8
        .value_kind:     hidden_global_offset_x
      - .offset:         80
        .size:           8
        .value_kind:     hidden_global_offset_y
      - .offset:         88
        .size:           8
        .value_kind:     hidden_global_offset_z
      - .offset:         96
        .size:           2
        .value_kind:     hidden_grid_dims
    .group_segment_fixed_size: 0
    .kernarg_segment_align: 8
    .kernarg_segment_size: 288
    .language:       OpenCL C
    .language_version:
      - 2
      - 0
    .max_flat_workgroup_size: 128
    .name:           _ZN7rocprim17ROCPRIM_304000_NS6detail16transform_kernelINS1_24wrapped_transform_configINS0_14default_configEiEEiPKiPiNS0_8identityIiEEEEvT1_mT2_T3_
    .private_segment_fixed_size: 0
    .sgpr_count:     18
    .sgpr_spill_count: 0
    .symbol:         _ZN7rocprim17ROCPRIM_304000_NS6detail16transform_kernelINS1_24wrapped_transform_configINS0_14default_configEiEEiPKiPiNS0_8identityIiEEEEvT1_mT2_T3_.kd
    .uniform_work_group_size: 1
    .uses_dynamic_stack: false
    .vgpr_count:     10
    .vgpr_spill_count: 0
    .wavefront_size: 64
  - .agpr_count:     0
    .args:
      - .address_space:  global
        .offset:         0
        .size:           8
        .value_kind:     global_buffer
      - .address_space:  global
        .offset:         8
        .size:           8
        .value_kind:     global_buffer
      - .address_space:  global
        .offset:         16
        .size:           8
        .value_kind:     global_buffer
      - .address_space:  global
        .offset:         24
        .size:           8
        .value_kind:     global_buffer
      - .offset:         32
        .size:           4
        .value_kind:     by_value
      - .address_space:  global
        .offset:         40
        .size:           8
        .value_kind:     global_buffer
      - .address_space:  global
        .offset:         48
        .size:           8
        .value_kind:     global_buffer
      - .address_space:  global
        .offset:         56
        .size:           8
        .value_kind:     global_buffer
      - .offset:         64
        .size:           1
        .value_kind:     by_value
      - .offset:         68
        .size:           4
        .value_kind:     by_value
      - .offset:         72
        .size:           4
        .value_kind:     by_value
      - .offset:         76
        .size:           4
        .value_kind:     by_value
      - .offset:         80
        .size:           4
        .value_kind:     hidden_block_count_x
      - .offset:         84
        .size:           4
        .value_kind:     hidden_block_count_y
      - .offset:         88
        .size:           4
        .value_kind:     hidden_block_count_z
      - .offset:         92
        .size:           2
        .value_kind:     hidden_group_size_x
      - .offset:         94
        .size:           2
        .value_kind:     hidden_group_size_y
      - .offset:         96
        .size:           2
        .value_kind:     hidden_group_size_z
      - .offset:         98
        .size:           2
        .value_kind:     hidden_remainder_x
      - .offset:         100
        .size:           2
        .value_kind:     hidden_remainder_y
      - .offset:         102
        .size:           2
        .value_kind:     hidden_remainder_z
      - .offset:         120
        .size:           8
        .value_kind:     hidden_global_offset_x
      - .offset:         128
        .size:           8
        .value_kind:     hidden_global_offset_y
      - .offset:         136
        .size:           8
        .value_kind:     hidden_global_offset_z
      - .offset:         144
        .size:           2
        .value_kind:     hidden_grid_dims
    .group_segment_fixed_size: 26624
    .kernarg_segment_align: 8
    .kernarg_segment_size: 336
    .language:       OpenCL C
    .language_version:
      - 2
      - 0
    .max_flat_workgroup_size: 256
    .name:           _ZN7rocprim17ROCPRIM_304000_NS6detail25onesweep_iteration_kernelINS1_34wrapped_radix_sort_onesweep_configINS0_14default_configEiN2at4cuda3cub6detail10OpaqueTypeILi8EEEEELb1EPKiPiPKSA_PSA_mNS0_19identity_decomposerEEEvT1_T2_T3_T4_jPT5_SO_PNS1_23onesweep_lookback_stateET6_jjj
    .private_segment_fixed_size: 0
    .sgpr_count:     79
    .sgpr_spill_count: 0
    .symbol:         _ZN7rocprim17ROCPRIM_304000_NS6detail25onesweep_iteration_kernelINS1_34wrapped_radix_sort_onesweep_configINS0_14default_configEiN2at4cuda3cub6detail10OpaqueTypeILi8EEEEELb1EPKiPiPKSA_PSA_mNS0_19identity_decomposerEEEvT1_T2_T3_T4_jPT5_SO_PNS1_23onesweep_lookback_stateET6_jjj.kd
    .uniform_work_group_size: 1
    .uses_dynamic_stack: false
    .vgpr_count:     74
    .vgpr_spill_count: 0
    .wavefront_size: 64
  - .agpr_count:     0
    .args:
      - .address_space:  global
        .offset:         0
        .size:           8
        .value_kind:     global_buffer
      - .address_space:  global
        .offset:         8
        .size:           8
        .value_kind:     global_buffer
      - .address_space:  global
        .offset:         16
        .size:           8
        .value_kind:     global_buffer
      - .address_space:  global
        .offset:         24
        .size:           8
        .value_kind:     global_buffer
      - .offset:         32
        .size:           4
        .value_kind:     by_value
      - .address_space:  global
        .offset:         40
        .size:           8
        .value_kind:     global_buffer
      - .address_space:  global
        .offset:         48
        .size:           8
        .value_kind:     global_buffer
      - .address_space:  global
        .offset:         56
        .size:           8
        .value_kind:     global_buffer
      - .offset:         64
        .size:           1
        .value_kind:     by_value
      - .offset:         68
        .size:           4
        .value_kind:     by_value
      - .offset:         72
        .size:           4
        .value_kind:     by_value
      - .offset:         76
        .size:           4
        .value_kind:     by_value
      - .offset:         80
        .size:           4
        .value_kind:     hidden_block_count_x
      - .offset:         84
        .size:           4
        .value_kind:     hidden_block_count_y
      - .offset:         88
        .size:           4
        .value_kind:     hidden_block_count_z
      - .offset:         92
        .size:           2
        .value_kind:     hidden_group_size_x
      - .offset:         94
        .size:           2
        .value_kind:     hidden_group_size_y
      - .offset:         96
        .size:           2
        .value_kind:     hidden_group_size_z
      - .offset:         98
        .size:           2
        .value_kind:     hidden_remainder_x
      - .offset:         100
        .size:           2
        .value_kind:     hidden_remainder_y
      - .offset:         102
        .size:           2
        .value_kind:     hidden_remainder_z
      - .offset:         120
        .size:           8
        .value_kind:     hidden_global_offset_x
      - .offset:         128
        .size:           8
        .value_kind:     hidden_global_offset_y
      - .offset:         136
        .size:           8
        .value_kind:     hidden_global_offset_z
      - .offset:         144
        .size:           2
        .value_kind:     hidden_grid_dims
    .group_segment_fixed_size: 26624
    .kernarg_segment_align: 8
    .kernarg_segment_size: 336
    .language:       OpenCL C
    .language_version:
      - 2
      - 0
    .max_flat_workgroup_size: 256
    .name:           _ZN7rocprim17ROCPRIM_304000_NS6detail25onesweep_iteration_kernelINS1_34wrapped_radix_sort_onesweep_configINS0_14default_configEiN2at4cuda3cub6detail10OpaqueTypeILi8EEEEELb1EPiSC_PSA_SD_mNS0_19identity_decomposerEEEvT1_T2_T3_T4_jPT5_SK_PNS1_23onesweep_lookback_stateET6_jjj
    .private_segment_fixed_size: 0
    .sgpr_count:     79
    .sgpr_spill_count: 0
    .symbol:         _ZN7rocprim17ROCPRIM_304000_NS6detail25onesweep_iteration_kernelINS1_34wrapped_radix_sort_onesweep_configINS0_14default_configEiN2at4cuda3cub6detail10OpaqueTypeILi8EEEEELb1EPiSC_PSA_SD_mNS0_19identity_decomposerEEEvT1_T2_T3_T4_jPT5_SK_PNS1_23onesweep_lookback_stateET6_jjj.kd
    .uniform_work_group_size: 1
    .uses_dynamic_stack: false
    .vgpr_count:     74
    .vgpr_spill_count: 0
    .wavefront_size: 64
  - .agpr_count:     0
    .args:
      - .address_space:  global
        .offset:         0
        .size:           8
        .value_kind:     global_buffer
      - .address_space:  global
        .offset:         8
        .size:           8
        .value_kind:     global_buffer
      - .address_space:  global
        .offset:         16
        .size:           8
        .value_kind:     global_buffer
      - .address_space:  global
        .offset:         24
        .size:           8
        .value_kind:     global_buffer
      - .offset:         32
        .size:           4
        .value_kind:     by_value
      - .offset:         36
        .size:           1
        .value_kind:     by_value
      - .offset:         40
        .size:           4
        .value_kind:     by_value
      - .offset:         44
        .size:           4
        .value_kind:     by_value
      - .offset:         48
        .size:           4
        .value_kind:     hidden_block_count_x
      - .offset:         52
        .size:           4
        .value_kind:     hidden_block_count_y
      - .offset:         56
        .size:           4
        .value_kind:     hidden_block_count_z
      - .offset:         60
        .size:           2
        .value_kind:     hidden_group_size_x
      - .offset:         62
        .size:           2
        .value_kind:     hidden_group_size_y
      - .offset:         64
        .size:           2
        .value_kind:     hidden_group_size_z
      - .offset:         66
        .size:           2
        .value_kind:     hidden_remainder_x
      - .offset:         68
        .size:           2
        .value_kind:     hidden_remainder_y
      - .offset:         70
        .size:           2
        .value_kind:     hidden_remainder_z
      - .offset:         88
        .size:           8
        .value_kind:     hidden_global_offset_x
      - .offset:         96
        .size:           8
        .value_kind:     hidden_global_offset_y
      - .offset:         104
        .size:           8
        .value_kind:     hidden_global_offset_z
      - .offset:         112
        .size:           2
        .value_kind:     hidden_grid_dims
    .group_segment_fixed_size: 8192
    .kernarg_segment_align: 8
    .kernarg_segment_size: 304
    .language:       OpenCL C
    .language_version:
      - 2
      - 0
    .max_flat_workgroup_size: 256
    .name:           _ZN7rocprim17ROCPRIM_304000_NS6detail28radix_sort_block_sort_kernelINS1_36wrapped_radix_sort_block_sort_configINS0_13kernel_configILj256ELj4ELj4294967295EEEiN2at4cuda3cub6detail10OpaqueTypeILi8EEEEELb0EPKiPiPKSB_PSB_NS0_19identity_decomposerEEEvT1_T2_T3_T4_jT5_jj
    .private_segment_fixed_size: 0
    .sgpr_count:     52
    .sgpr_spill_count: 0
    .symbol:         _ZN7rocprim17ROCPRIM_304000_NS6detail28radix_sort_block_sort_kernelINS1_36wrapped_radix_sort_block_sort_configINS0_13kernel_configILj256ELj4ELj4294967295EEEiN2at4cuda3cub6detail10OpaqueTypeILi8EEEEELb0EPKiPiPKSB_PSB_NS0_19identity_decomposerEEEvT1_T2_T3_T4_jT5_jj.kd
    .uniform_work_group_size: 1
    .uses_dynamic_stack: false
    .vgpr_count:     54
    .vgpr_spill_count: 0
    .wavefront_size: 64
  - .agpr_count:     0
    .args:
      - .address_space:  global
        .offset:         0
        .size:           8
        .value_kind:     global_buffer
      - .offset:         8
        .size:           4
        .value_kind:     by_value
      - .offset:         12
        .size:           4
        .value_kind:     by_value
      - .address_space:  global
        .offset:         16
        .size:           8
        .value_kind:     global_buffer
      - .offset:         24
        .size:           1
        .value_kind:     by_value
      - .offset:         28
        .size:           4
        .value_kind:     by_value
    .group_segment_fixed_size: 0
    .kernarg_segment_align: 8
    .kernarg_segment_size: 32
    .language:       OpenCL C
    .language_version:
      - 2
      - 0
    .max_flat_workgroup_size: 128
    .name:           _ZN7rocprim17ROCPRIM_304000_NS6detail45device_block_merge_mergepath_partition_kernelINS1_37wrapped_merge_sort_block_merge_configINS0_14default_configEiN2at4cuda3cub6detail10OpaqueTypeILi8EEEEEPijNS1_19radix_merge_compareILb0ELb0EiNS0_19identity_decomposerEEEEEvT0_T1_jPSH_T2_SH_
    .private_segment_fixed_size: 0
    .sgpr_count:     12
    .sgpr_spill_count: 0
    .symbol:         _ZN7rocprim17ROCPRIM_304000_NS6detail45device_block_merge_mergepath_partition_kernelINS1_37wrapped_merge_sort_block_merge_configINS0_14default_configEiN2at4cuda3cub6detail10OpaqueTypeILi8EEEEEPijNS1_19radix_merge_compareILb0ELb0EiNS0_19identity_decomposerEEEEEvT0_T1_jPSH_T2_SH_.kd
    .uniform_work_group_size: 1
    .uses_dynamic_stack: false
    .vgpr_count:     17
    .vgpr_spill_count: 0
    .wavefront_size: 64
  - .agpr_count:     0
    .args:
      - .address_space:  global
        .offset:         0
        .size:           8
        .value_kind:     global_buffer
      - .address_space:  global
        .offset:         8
        .size:           8
        .value_kind:     global_buffer
      - .address_space:  global
        .offset:         16
        .size:           8
        .value_kind:     global_buffer
      - .address_space:  global
        .offset:         24
        .size:           8
        .value_kind:     global_buffer
      - .offset:         32
        .size:           4
        .value_kind:     by_value
      - .offset:         36
        .size:           4
        .value_kind:     by_value
      - .offset:         40
        .size:           4
        .value_kind:     by_value
      - .offset:         44
        .size:           1
        .value_kind:     by_value
      - .address_space:  global
        .offset:         48
        .size:           8
        .value_kind:     global_buffer
      - .address_space:  global
        .offset:         56
        .size:           8
        .value_kind:     global_buffer
      - .offset:         64
        .size:           4
        .value_kind:     hidden_block_count_x
      - .offset:         68
        .size:           4
        .value_kind:     hidden_block_count_y
      - .offset:         72
        .size:           4
        .value_kind:     hidden_block_count_z
      - .offset:         76
        .size:           2
        .value_kind:     hidden_group_size_x
      - .offset:         78
        .size:           2
        .value_kind:     hidden_group_size_y
      - .offset:         80
        .size:           2
        .value_kind:     hidden_group_size_z
      - .offset:         82
        .size:           2
        .value_kind:     hidden_remainder_x
      - .offset:         84
        .size:           2
        .value_kind:     hidden_remainder_y
      - .offset:         86
        .size:           2
        .value_kind:     hidden_remainder_z
      - .offset:         104
        .size:           8
        .value_kind:     hidden_global_offset_x
      - .offset:         112
        .size:           8
        .value_kind:     hidden_global_offset_y
      - .offset:         120
        .size:           8
        .value_kind:     hidden_global_offset_z
      - .offset:         128
        .size:           2
        .value_kind:     hidden_grid_dims
    .group_segment_fixed_size: 8208
    .kernarg_segment_align: 8
    .kernarg_segment_size: 320
    .language:       OpenCL C
    .language_version:
      - 2
      - 0
    .max_flat_workgroup_size: 512
    .name:           _ZN7rocprim17ROCPRIM_304000_NS6detail35device_block_merge_mergepath_kernelINS1_37wrapped_merge_sort_block_merge_configINS0_14default_configEiN2at4cuda3cub6detail10OpaqueTypeILi8EEEEEPiSC_PSA_SD_jNS1_19radix_merge_compareILb0ELb0EiNS0_19identity_decomposerEEEEEvT0_T1_T2_T3_T4_SL_jT5_PKSL_NS1_7vsmem_tE
    .private_segment_fixed_size: 0
    .sgpr_count:     36
    .sgpr_spill_count: 0
    .symbol:         _ZN7rocprim17ROCPRIM_304000_NS6detail35device_block_merge_mergepath_kernelINS1_37wrapped_merge_sort_block_merge_configINS0_14default_configEiN2at4cuda3cub6detail10OpaqueTypeILi8EEEEEPiSC_PSA_SD_jNS1_19radix_merge_compareILb0ELb0EiNS0_19identity_decomposerEEEEEvT0_T1_T2_T3_T4_SL_jT5_PKSL_NS1_7vsmem_tE.kd
    .uniform_work_group_size: 1
    .uses_dynamic_stack: false
    .vgpr_count:     17
    .vgpr_spill_count: 0
    .wavefront_size: 64
  - .agpr_count:     0
    .args:
      - .address_space:  global
        .offset:         0
        .size:           8
        .value_kind:     global_buffer
      - .address_space:  global
        .offset:         8
        .size:           8
        .value_kind:     global_buffer
      - .address_space:  global
        .offset:         16
        .size:           8
        .value_kind:     global_buffer
      - .address_space:  global
        .offset:         24
        .size:           8
        .value_kind:     global_buffer
      - .offset:         32
        .size:           4
        .value_kind:     by_value
      - .offset:         36
        .size:           4
        .value_kind:     by_value
      - .offset:         40
        .size:           1
        .value_kind:     by_value
    .group_segment_fixed_size: 0
    .kernarg_segment_align: 8
    .kernarg_segment_size: 44
    .language:       OpenCL C
    .language_version:
      - 2
      - 0
    .max_flat_workgroup_size: 256
    .name:           _ZN7rocprim17ROCPRIM_304000_NS6detail33device_block_merge_oddeven_kernelINS1_37wrapped_merge_sort_block_merge_configINS0_14default_configEiN2at4cuda3cub6detail10OpaqueTypeILi8EEEEEPiSC_PSA_SD_jNS1_19radix_merge_compareILb0ELb0EiNS0_19identity_decomposerEEEEEvT0_T1_T2_T3_T4_SL_T5_
    .private_segment_fixed_size: 0
    .sgpr_count:     28
    .sgpr_spill_count: 0
    .symbol:         _ZN7rocprim17ROCPRIM_304000_NS6detail33device_block_merge_oddeven_kernelINS1_37wrapped_merge_sort_block_merge_configINS0_14default_configEiN2at4cuda3cub6detail10OpaqueTypeILi8EEEEEPiSC_PSA_SD_jNS1_19radix_merge_compareILb0ELb0EiNS0_19identity_decomposerEEEEEvT0_T1_T2_T3_T4_SL_T5_.kd
    .uniform_work_group_size: 1
    .uses_dynamic_stack: false
    .vgpr_count:     11
    .vgpr_spill_count: 0
    .wavefront_size: 64
  - .agpr_count:     0
    .args:
      - .address_space:  global
        .offset:         0
        .size:           8
        .value_kind:     global_buffer
      - .offset:         8
        .size:           4
        .value_kind:     by_value
      - .offset:         12
        .size:           4
        .value_kind:     by_value
      - .address_space:  global
        .offset:         16
        .size:           8
        .value_kind:     global_buffer
      - .offset:         24
        .size:           4
        .value_kind:     by_value
      - .offset:         28
        .size:           4
        .value_kind:     by_value
    .group_segment_fixed_size: 0
    .kernarg_segment_align: 8
    .kernarg_segment_size: 32
    .language:       OpenCL C
    .language_version:
      - 2
      - 0
    .max_flat_workgroup_size: 128
    .name:           _ZN7rocprim17ROCPRIM_304000_NS6detail45device_block_merge_mergepath_partition_kernelINS1_37wrapped_merge_sort_block_merge_configINS0_14default_configEiN2at4cuda3cub6detail10OpaqueTypeILi8EEEEEPijNS1_19radix_merge_compareILb0ELb1EiNS0_19identity_decomposerEEEEEvT0_T1_jPSH_T2_SH_
    .private_segment_fixed_size: 0
    .sgpr_count:     14
    .sgpr_spill_count: 0
    .symbol:         _ZN7rocprim17ROCPRIM_304000_NS6detail45device_block_merge_mergepath_partition_kernelINS1_37wrapped_merge_sort_block_merge_configINS0_14default_configEiN2at4cuda3cub6detail10OpaqueTypeILi8EEEEEPijNS1_19radix_merge_compareILb0ELb1EiNS0_19identity_decomposerEEEEEvT0_T1_jPSH_T2_SH_.kd
    .uniform_work_group_size: 1
    .uses_dynamic_stack: false
    .vgpr_count:     17
    .vgpr_spill_count: 0
    .wavefront_size: 64
  - .agpr_count:     0
    .args:
      - .address_space:  global
        .offset:         0
        .size:           8
        .value_kind:     global_buffer
      - .address_space:  global
        .offset:         8
        .size:           8
        .value_kind:     global_buffer
      - .address_space:  global
        .offset:         16
        .size:           8
        .value_kind:     global_buffer
      - .address_space:  global
        .offset:         24
        .size:           8
        .value_kind:     global_buffer
      - .offset:         32
        .size:           4
        .value_kind:     by_value
      - .offset:         36
        .size:           4
        .value_kind:     by_value
      - .offset:         40
        .size:           4
        .value_kind:     by_value
      - .offset:         44
        .size:           4
        .value_kind:     by_value
      - .address_space:  global
        .offset:         48
        .size:           8
        .value_kind:     global_buffer
      - .address_space:  global
        .offset:         56
        .size:           8
        .value_kind:     global_buffer
      - .offset:         64
        .size:           4
        .value_kind:     hidden_block_count_x
      - .offset:         68
        .size:           4
        .value_kind:     hidden_block_count_y
      - .offset:         72
        .size:           4
        .value_kind:     hidden_block_count_z
      - .offset:         76
        .size:           2
        .value_kind:     hidden_group_size_x
      - .offset:         78
        .size:           2
        .value_kind:     hidden_group_size_y
      - .offset:         80
        .size:           2
        .value_kind:     hidden_group_size_z
      - .offset:         82
        .size:           2
        .value_kind:     hidden_remainder_x
      - .offset:         84
        .size:           2
        .value_kind:     hidden_remainder_y
      - .offset:         86
        .size:           2
        .value_kind:     hidden_remainder_z
      - .offset:         104
        .size:           8
        .value_kind:     hidden_global_offset_x
      - .offset:         112
        .size:           8
        .value_kind:     hidden_global_offset_y
      - .offset:         120
        .size:           8
        .value_kind:     hidden_global_offset_z
      - .offset:         128
        .size:           2
        .value_kind:     hidden_grid_dims
    .group_segment_fixed_size: 8208
    .kernarg_segment_align: 8
    .kernarg_segment_size: 320
    .language:       OpenCL C
    .language_version:
      - 2
      - 0
    .max_flat_workgroup_size: 512
    .name:           _ZN7rocprim17ROCPRIM_304000_NS6detail35device_block_merge_mergepath_kernelINS1_37wrapped_merge_sort_block_merge_configINS0_14default_configEiN2at4cuda3cub6detail10OpaqueTypeILi8EEEEEPiSC_PSA_SD_jNS1_19radix_merge_compareILb0ELb1EiNS0_19identity_decomposerEEEEEvT0_T1_T2_T3_T4_SL_jT5_PKSL_NS1_7vsmem_tE
    .private_segment_fixed_size: 0
    .sgpr_count:     37
    .sgpr_spill_count: 0
    .symbol:         _ZN7rocprim17ROCPRIM_304000_NS6detail35device_block_merge_mergepath_kernelINS1_37wrapped_merge_sort_block_merge_configINS0_14default_configEiN2at4cuda3cub6detail10OpaqueTypeILi8EEEEEPiSC_PSA_SD_jNS1_19radix_merge_compareILb0ELb1EiNS0_19identity_decomposerEEEEEvT0_T1_T2_T3_T4_SL_jT5_PKSL_NS1_7vsmem_tE.kd
    .uniform_work_group_size: 1
    .uses_dynamic_stack: false
    .vgpr_count:     17
    .vgpr_spill_count: 0
    .wavefront_size: 64
  - .agpr_count:     0
    .args:
      - .address_space:  global
        .offset:         0
        .size:           8
        .value_kind:     global_buffer
      - .address_space:  global
        .offset:         8
        .size:           8
        .value_kind:     global_buffer
      - .address_space:  global
        .offset:         16
        .size:           8
        .value_kind:     global_buffer
      - .address_space:  global
        .offset:         24
        .size:           8
        .value_kind:     global_buffer
      - .offset:         32
        .size:           4
        .value_kind:     by_value
      - .offset:         36
        .size:           4
        .value_kind:     by_value
      - .offset:         40
        .size:           4
        .value_kind:     by_value
    .group_segment_fixed_size: 0
    .kernarg_segment_align: 8
    .kernarg_segment_size: 44
    .language:       OpenCL C
    .language_version:
      - 2
      - 0
    .max_flat_workgroup_size: 256
    .name:           _ZN7rocprim17ROCPRIM_304000_NS6detail33device_block_merge_oddeven_kernelINS1_37wrapped_merge_sort_block_merge_configINS0_14default_configEiN2at4cuda3cub6detail10OpaqueTypeILi8EEEEEPiSC_PSA_SD_jNS1_19radix_merge_compareILb0ELb1EiNS0_19identity_decomposerEEEEEvT0_T1_T2_T3_T4_SL_T5_
    .private_segment_fixed_size: 0
    .sgpr_count:     30
    .sgpr_spill_count: 0
    .symbol:         _ZN7rocprim17ROCPRIM_304000_NS6detail33device_block_merge_oddeven_kernelINS1_37wrapped_merge_sort_block_merge_configINS0_14default_configEiN2at4cuda3cub6detail10OpaqueTypeILi8EEEEEPiSC_PSA_SD_jNS1_19radix_merge_compareILb0ELb1EiNS0_19identity_decomposerEEEEEvT0_T1_T2_T3_T4_SL_T5_.kd
    .uniform_work_group_size: 1
    .uses_dynamic_stack: false
    .vgpr_count:     12
    .vgpr_spill_count: 0
    .wavefront_size: 64
  - .agpr_count:     0
    .args:
      - .address_space:  global
        .offset:         0
        .size:           8
        .value_kind:     global_buffer
      - .address_space:  global
        .offset:         8
        .size:           8
        .value_kind:     global_buffer
      - .offset:         16
        .size:           8
        .value_kind:     by_value
      - .offset:         24
        .size:           8
        .value_kind:     by_value
      - .offset:         32
        .size:           1
        .value_kind:     by_value
      - .offset:         36
        .size:           4
        .value_kind:     by_value
      - .offset:         40
        .size:           4
        .value_kind:     by_value
    .group_segment_fixed_size: 16384
    .kernarg_segment_align: 8
    .kernarg_segment_size: 44
    .language:       OpenCL C
    .language_version:
      - 2
      - 0
    .max_flat_workgroup_size: 256
    .name:           _ZN7rocprim17ROCPRIM_304000_NS6detail26onesweep_histograms_kernelINS1_34wrapped_radix_sort_onesweep_configINS0_14default_configEiN2at4cuda3cub6detail10OpaqueTypeILi8EEEEELb0EPKimNS0_19identity_decomposerEEEvT1_PT2_SG_SG_T3_jj
    .private_segment_fixed_size: 0
    .sgpr_count:     45
    .sgpr_spill_count: 0
    .symbol:         _ZN7rocprim17ROCPRIM_304000_NS6detail26onesweep_histograms_kernelINS1_34wrapped_radix_sort_onesweep_configINS0_14default_configEiN2at4cuda3cub6detail10OpaqueTypeILi8EEEEELb0EPKimNS0_19identity_decomposerEEEvT1_PT2_SG_SG_T3_jj.kd
    .uniform_work_group_size: 1
    .uses_dynamic_stack: false
    .vgpr_count:     22
    .vgpr_spill_count: 0
    .wavefront_size: 64
  - .agpr_count:     0
    .args:
      - .address_space:  global
        .offset:         0
        .size:           8
        .value_kind:     global_buffer
      - .address_space:  global
        .offset:         8
        .size:           8
        .value_kind:     global_buffer
      - .address_space:  global
        .offset:         16
        .size:           8
        .value_kind:     global_buffer
      - .address_space:  global
        .offset:         24
        .size:           8
        .value_kind:     global_buffer
      - .offset:         32
        .size:           4
        .value_kind:     by_value
      - .address_space:  global
        .offset:         40
        .size:           8
        .value_kind:     global_buffer
      - .address_space:  global
        .offset:         48
        .size:           8
        .value_kind:     global_buffer
      - .address_space:  global
        .offset:         56
        .size:           8
        .value_kind:     global_buffer
      - .offset:         64
        .size:           1
        .value_kind:     by_value
      - .offset:         68
        .size:           4
        .value_kind:     by_value
      - .offset:         72
        .size:           4
        .value_kind:     by_value
      - .offset:         76
        .size:           4
        .value_kind:     by_value
      - .offset:         80
        .size:           4
        .value_kind:     hidden_block_count_x
      - .offset:         84
        .size:           4
        .value_kind:     hidden_block_count_y
      - .offset:         88
        .size:           4
        .value_kind:     hidden_block_count_z
      - .offset:         92
        .size:           2
        .value_kind:     hidden_group_size_x
      - .offset:         94
        .size:           2
        .value_kind:     hidden_group_size_y
      - .offset:         96
        .size:           2
        .value_kind:     hidden_group_size_z
      - .offset:         98
        .size:           2
        .value_kind:     hidden_remainder_x
      - .offset:         100
        .size:           2
        .value_kind:     hidden_remainder_y
      - .offset:         102
        .size:           2
        .value_kind:     hidden_remainder_z
      - .offset:         120
        .size:           8
        .value_kind:     hidden_global_offset_x
      - .offset:         128
        .size:           8
        .value_kind:     hidden_global_offset_y
      - .offset:         136
        .size:           8
        .value_kind:     hidden_global_offset_z
      - .offset:         144
        .size:           2
        .value_kind:     hidden_grid_dims
    .group_segment_fixed_size: 26624
    .kernarg_segment_align: 8
    .kernarg_segment_size: 336
    .language:       OpenCL C
    .language_version:
      - 2
      - 0
    .max_flat_workgroup_size: 256
    .name:           _ZN7rocprim17ROCPRIM_304000_NS6detail25onesweep_iteration_kernelINS1_34wrapped_radix_sort_onesweep_configINS0_14default_configEiN2at4cuda3cub6detail10OpaqueTypeILi8EEEEELb0EPKiPiPKSA_PSA_mNS0_19identity_decomposerEEEvT1_T2_T3_T4_jPT5_SO_PNS1_23onesweep_lookback_stateET6_jjj
    .private_segment_fixed_size: 0
    .sgpr_count:     79
    .sgpr_spill_count: 0
    .symbol:         _ZN7rocprim17ROCPRIM_304000_NS6detail25onesweep_iteration_kernelINS1_34wrapped_radix_sort_onesweep_configINS0_14default_configEiN2at4cuda3cub6detail10OpaqueTypeILi8EEEEELb0EPKiPiPKSA_PSA_mNS0_19identity_decomposerEEEvT1_T2_T3_T4_jPT5_SO_PNS1_23onesweep_lookback_stateET6_jjj.kd
    .uniform_work_group_size: 1
    .uses_dynamic_stack: false
    .vgpr_count:     74
    .vgpr_spill_count: 0
    .wavefront_size: 64
  - .agpr_count:     0
    .args:
      - .address_space:  global
        .offset:         0
        .size:           8
        .value_kind:     global_buffer
      - .address_space:  global
        .offset:         8
        .size:           8
        .value_kind:     global_buffer
      - .address_space:  global
        .offset:         16
        .size:           8
        .value_kind:     global_buffer
      - .address_space:  global
        .offset:         24
        .size:           8
        .value_kind:     global_buffer
      - .offset:         32
        .size:           4
        .value_kind:     by_value
      - .address_space:  global
        .offset:         40
        .size:           8
        .value_kind:     global_buffer
      - .address_space:  global
        .offset:         48
        .size:           8
        .value_kind:     global_buffer
      - .address_space:  global
        .offset:         56
        .size:           8
        .value_kind:     global_buffer
      - .offset:         64
        .size:           1
        .value_kind:     by_value
      - .offset:         68
        .size:           4
        .value_kind:     by_value
      - .offset:         72
        .size:           4
        .value_kind:     by_value
      - .offset:         76
        .size:           4
        .value_kind:     by_value
      - .offset:         80
        .size:           4
        .value_kind:     hidden_block_count_x
      - .offset:         84
        .size:           4
        .value_kind:     hidden_block_count_y
      - .offset:         88
        .size:           4
        .value_kind:     hidden_block_count_z
      - .offset:         92
        .size:           2
        .value_kind:     hidden_group_size_x
      - .offset:         94
        .size:           2
        .value_kind:     hidden_group_size_y
      - .offset:         96
        .size:           2
        .value_kind:     hidden_group_size_z
      - .offset:         98
        .size:           2
        .value_kind:     hidden_remainder_x
      - .offset:         100
        .size:           2
        .value_kind:     hidden_remainder_y
      - .offset:         102
        .size:           2
        .value_kind:     hidden_remainder_z
      - .offset:         120
        .size:           8
        .value_kind:     hidden_global_offset_x
      - .offset:         128
        .size:           8
        .value_kind:     hidden_global_offset_y
      - .offset:         136
        .size:           8
        .value_kind:     hidden_global_offset_z
      - .offset:         144
        .size:           2
        .value_kind:     hidden_grid_dims
    .group_segment_fixed_size: 26624
    .kernarg_segment_align: 8
    .kernarg_segment_size: 336
    .language:       OpenCL C
    .language_version:
      - 2
      - 0
    .max_flat_workgroup_size: 256
    .name:           _ZN7rocprim17ROCPRIM_304000_NS6detail25onesweep_iteration_kernelINS1_34wrapped_radix_sort_onesweep_configINS0_14default_configEiN2at4cuda3cub6detail10OpaqueTypeILi8EEEEELb0EPiSC_PSA_SD_mNS0_19identity_decomposerEEEvT1_T2_T3_T4_jPT5_SK_PNS1_23onesweep_lookback_stateET6_jjj
    .private_segment_fixed_size: 0
    .sgpr_count:     79
    .sgpr_spill_count: 0
    .symbol:         _ZN7rocprim17ROCPRIM_304000_NS6detail25onesweep_iteration_kernelINS1_34wrapped_radix_sort_onesweep_configINS0_14default_configEiN2at4cuda3cub6detail10OpaqueTypeILi8EEEEELb0EPiSC_PSA_SD_mNS0_19identity_decomposerEEEvT1_T2_T3_T4_jPT5_SK_PNS1_23onesweep_lookback_stateET6_jjj.kd
    .uniform_work_group_size: 1
    .uses_dynamic_stack: false
    .vgpr_count:     74
    .vgpr_spill_count: 0
    .wavefront_size: 64
  - .agpr_count:     0
    .args:
      - .address_space:  global
        .offset:         0
        .size:           8
        .value_kind:     global_buffer
      - .address_space:  global
        .offset:         8
        .size:           8
        .value_kind:     global_buffer
      - .address_space:  global
        .offset:         16
        .size:           8
        .value_kind:     global_buffer
      - .address_space:  global
        .offset:         24
        .size:           8
        .value_kind:     global_buffer
      - .offset:         32
        .size:           4
        .value_kind:     by_value
      - .offset:         36
        .size:           1
        .value_kind:     by_value
      - .offset:         40
        .size:           4
        .value_kind:     by_value
      - .offset:         44
        .size:           4
        .value_kind:     by_value
      - .offset:         48
        .size:           4
        .value_kind:     hidden_block_count_x
      - .offset:         52
        .size:           4
        .value_kind:     hidden_block_count_y
      - .offset:         56
        .size:           4
        .value_kind:     hidden_block_count_z
      - .offset:         60
        .size:           2
        .value_kind:     hidden_group_size_x
      - .offset:         62
        .size:           2
        .value_kind:     hidden_group_size_y
      - .offset:         64
        .size:           2
        .value_kind:     hidden_group_size_z
      - .offset:         66
        .size:           2
        .value_kind:     hidden_remainder_x
      - .offset:         68
        .size:           2
        .value_kind:     hidden_remainder_y
      - .offset:         70
        .size:           2
        .value_kind:     hidden_remainder_z
      - .offset:         88
        .size:           8
        .value_kind:     hidden_global_offset_x
      - .offset:         96
        .size:           8
        .value_kind:     hidden_global_offset_y
      - .offset:         104
        .size:           8
        .value_kind:     hidden_global_offset_z
      - .offset:         112
        .size:           2
        .value_kind:     hidden_grid_dims
    .group_segment_fixed_size: 8192
    .kernarg_segment_align: 8
    .kernarg_segment_size: 304
    .language:       OpenCL C
    .language_version:
      - 2
      - 0
    .max_flat_workgroup_size: 256
    .name:           _ZN7rocprim17ROCPRIM_304000_NS6detail28radix_sort_block_sort_kernelINS1_36wrapped_radix_sort_block_sort_configINS0_13kernel_configILj256ELj4ELj4294967295EEElN2at4cuda3cub6detail10OpaqueTypeILi8EEEEELb1EPKlPlPKSB_PSB_NS0_19identity_decomposerEEEvT1_T2_T3_T4_jT5_jj
    .private_segment_fixed_size: 0
    .sgpr_count:     50
    .sgpr_spill_count: 0
    .symbol:         _ZN7rocprim17ROCPRIM_304000_NS6detail28radix_sort_block_sort_kernelINS1_36wrapped_radix_sort_block_sort_configINS0_13kernel_configILj256ELj4ELj4294967295EEElN2at4cuda3cub6detail10OpaqueTypeILi8EEEEELb1EPKlPlPKSB_PSB_NS0_19identity_decomposerEEEvT1_T2_T3_T4_jT5_jj.kd
    .uniform_work_group_size: 1
    .uses_dynamic_stack: false
    .vgpr_count:     50
    .vgpr_spill_count: 0
    .wavefront_size: 64
  - .agpr_count:     0
    .args:           []
    .group_segment_fixed_size: 0
    .kernarg_segment_align: 4
    .kernarg_segment_size: 0
    .language:       OpenCL C
    .language_version:
      - 2
      - 0
    .max_flat_workgroup_size: 1024
    .name:           _ZN7rocprim17ROCPRIM_304000_NS6detail39device_merge_sort_compile_time_verifierINS1_36wrapped_merge_sort_block_sort_configINS1_28merge_sort_block_sort_configILj256ELj4ELNS0_20block_sort_algorithmE0EEElN2at4cuda3cub6detail10OpaqueTypeILi8EEEEENS1_37wrapped_merge_sort_block_merge_configINS0_14default_configElSC_EEEEvv
    .private_segment_fixed_size: 0
    .sgpr_count:     6
    .sgpr_spill_count: 0
    .symbol:         _ZN7rocprim17ROCPRIM_304000_NS6detail39device_merge_sort_compile_time_verifierINS1_36wrapped_merge_sort_block_sort_configINS1_28merge_sort_block_sort_configILj256ELj4ELNS0_20block_sort_algorithmE0EEElN2at4cuda3cub6detail10OpaqueTypeILi8EEEEENS1_37wrapped_merge_sort_block_merge_configINS0_14default_configElSC_EEEEvv.kd
    .uniform_work_group_size: 1
    .uses_dynamic_stack: false
    .vgpr_count:     0
    .vgpr_spill_count: 0
    .wavefront_size: 64
  - .agpr_count:     0
    .args:
      - .address_space:  global
        .offset:         0
        .size:           8
        .value_kind:     global_buffer
      - .offset:         8
        .size:           4
        .value_kind:     by_value
      - .offset:         12
        .size:           4
        .value_kind:     by_value
      - .address_space:  global
        .offset:         16
        .size:           8
        .value_kind:     global_buffer
      - .offset:         24
        .size:           1
        .value_kind:     by_value
      - .offset:         28
        .size:           4
        .value_kind:     by_value
    .group_segment_fixed_size: 0
    .kernarg_segment_align: 8
    .kernarg_segment_size: 32
    .language:       OpenCL C
    .language_version:
      - 2
      - 0
    .max_flat_workgroup_size: 128
    .name:           _ZN7rocprim17ROCPRIM_304000_NS6detail45device_block_merge_mergepath_partition_kernelINS1_37wrapped_merge_sort_block_merge_configINS0_14default_configElN2at4cuda3cub6detail10OpaqueTypeILi8EEEEEPljNS1_19radix_merge_compareILb1ELb0ElNS0_19identity_decomposerEEEEEvT0_T1_jPSH_T2_SH_
    .private_segment_fixed_size: 0
    .sgpr_count:     12
    .sgpr_spill_count: 0
    .symbol:         _ZN7rocprim17ROCPRIM_304000_NS6detail45device_block_merge_mergepath_partition_kernelINS1_37wrapped_merge_sort_block_merge_configINS0_14default_configElN2at4cuda3cub6detail10OpaqueTypeILi8EEEEEPljNS1_19radix_merge_compareILb1ELb0ElNS0_19identity_decomposerEEEEEvT0_T1_jPSH_T2_SH_.kd
    .uniform_work_group_size: 1
    .uses_dynamic_stack: false
    .vgpr_count:     20
    .vgpr_spill_count: 0
    .wavefront_size: 64
  - .agpr_count:     0
    .args:
      - .address_space:  global
        .offset:         0
        .size:           8
        .value_kind:     global_buffer
      - .address_space:  global
        .offset:         8
        .size:           8
        .value_kind:     global_buffer
      - .address_space:  global
        .offset:         16
        .size:           8
        .value_kind:     global_buffer
      - .address_space:  global
        .offset:         24
        .size:           8
        .value_kind:     global_buffer
      - .offset:         32
        .size:           4
        .value_kind:     by_value
      - .offset:         36
        .size:           4
        .value_kind:     by_value
      - .offset:         40
        .size:           4
        .value_kind:     by_value
      - .offset:         44
        .size:           1
        .value_kind:     by_value
      - .address_space:  global
        .offset:         48
        .size:           8
        .value_kind:     global_buffer
      - .address_space:  global
        .offset:         56
        .size:           8
        .value_kind:     global_buffer
      - .offset:         64
        .size:           4
        .value_kind:     hidden_block_count_x
      - .offset:         68
        .size:           4
        .value_kind:     hidden_block_count_y
      - .offset:         72
        .size:           4
        .value_kind:     hidden_block_count_z
      - .offset:         76
        .size:           2
        .value_kind:     hidden_group_size_x
      - .offset:         78
        .size:           2
        .value_kind:     hidden_group_size_y
      - .offset:         80
        .size:           2
        .value_kind:     hidden_group_size_z
      - .offset:         82
        .size:           2
        .value_kind:     hidden_remainder_x
      - .offset:         84
        .size:           2
        .value_kind:     hidden_remainder_y
      - .offset:         86
        .size:           2
        .value_kind:     hidden_remainder_z
      - .offset:         104
        .size:           8
        .value_kind:     hidden_global_offset_x
      - .offset:         112
        .size:           8
        .value_kind:     hidden_global_offset_y
      - .offset:         120
        .size:           8
        .value_kind:     hidden_global_offset_z
      - .offset:         128
        .size:           2
        .value_kind:     hidden_grid_dims
    .group_segment_fixed_size: 8448
    .kernarg_segment_align: 8
    .kernarg_segment_size: 320
    .language:       OpenCL C
    .language_version:
      - 2
      - 0
    .max_flat_workgroup_size: 128
    .name:           _ZN7rocprim17ROCPRIM_304000_NS6detail35device_block_merge_mergepath_kernelINS1_37wrapped_merge_sort_block_merge_configINS0_14default_configElN2at4cuda3cub6detail10OpaqueTypeILi8EEEEEPlSC_PSA_SD_jNS1_19radix_merge_compareILb1ELb0ElNS0_19identity_decomposerEEEEEvT0_T1_T2_T3_T4_SL_jT5_PKSL_NS1_7vsmem_tE
    .private_segment_fixed_size: 0
    .sgpr_count:     42
    .sgpr_spill_count: 0
    .symbol:         _ZN7rocprim17ROCPRIM_304000_NS6detail35device_block_merge_mergepath_kernelINS1_37wrapped_merge_sort_block_merge_configINS0_14default_configElN2at4cuda3cub6detail10OpaqueTypeILi8EEEEEPlSC_PSA_SD_jNS1_19radix_merge_compareILb1ELb0ElNS0_19identity_decomposerEEEEEvT0_T1_T2_T3_T4_SL_jT5_PKSL_NS1_7vsmem_tE.kd
    .uniform_work_group_size: 1
    .uses_dynamic_stack: false
    .vgpr_count:     49
    .vgpr_spill_count: 0
    .wavefront_size: 64
  - .agpr_count:     0
    .args:
      - .address_space:  global
        .offset:         0
        .size:           8
        .value_kind:     global_buffer
      - .address_space:  global
        .offset:         8
        .size:           8
        .value_kind:     global_buffer
      - .address_space:  global
        .offset:         16
        .size:           8
        .value_kind:     global_buffer
      - .address_space:  global
        .offset:         24
        .size:           8
        .value_kind:     global_buffer
      - .offset:         32
        .size:           4
        .value_kind:     by_value
      - .offset:         36
        .size:           4
        .value_kind:     by_value
      - .offset:         40
        .size:           1
        .value_kind:     by_value
    .group_segment_fixed_size: 0
    .kernarg_segment_align: 8
    .kernarg_segment_size: 44
    .language:       OpenCL C
    .language_version:
      - 2
      - 0
    .max_flat_workgroup_size: 256
    .name:           _ZN7rocprim17ROCPRIM_304000_NS6detail33device_block_merge_oddeven_kernelINS1_37wrapped_merge_sort_block_merge_configINS0_14default_configElN2at4cuda3cub6detail10OpaqueTypeILi8EEEEEPlSC_PSA_SD_jNS1_19radix_merge_compareILb1ELb0ElNS0_19identity_decomposerEEEEEvT0_T1_T2_T3_T4_SL_T5_
    .private_segment_fixed_size: 0
    .sgpr_count:     28
    .sgpr_spill_count: 0
    .symbol:         _ZN7rocprim17ROCPRIM_304000_NS6detail33device_block_merge_oddeven_kernelINS1_37wrapped_merge_sort_block_merge_configINS0_14default_configElN2at4cuda3cub6detail10OpaqueTypeILi8EEEEEPlSC_PSA_SD_jNS1_19radix_merge_compareILb1ELb0ElNS0_19identity_decomposerEEEEEvT0_T1_T2_T3_T4_SL_T5_.kd
    .uniform_work_group_size: 1
    .uses_dynamic_stack: false
    .vgpr_count:     13
    .vgpr_spill_count: 0
    .wavefront_size: 64
  - .agpr_count:     0
    .args:
      - .address_space:  global
        .offset:         0
        .size:           8
        .value_kind:     global_buffer
      - .offset:         8
        .size:           8
        .value_kind:     by_value
      - .address_space:  global
        .offset:         16
        .size:           8
        .value_kind:     global_buffer
      - .offset:         24
        .size:           1
        .value_kind:     by_value
      - .offset:         32
        .size:           4
        .value_kind:     hidden_block_count_x
      - .offset:         36
        .size:           4
        .value_kind:     hidden_block_count_y
      - .offset:         40
        .size:           4
        .value_kind:     hidden_block_count_z
      - .offset:         44
        .size:           2
        .value_kind:     hidden_group_size_x
      - .offset:         46
        .size:           2
        .value_kind:     hidden_group_size_y
      - .offset:         48
        .size:           2
        .value_kind:     hidden_group_size_z
      - .offset:         50
        .size:           2
        .value_kind:     hidden_remainder_x
      - .offset:         52
        .size:           2
        .value_kind:     hidden_remainder_y
      - .offset:         54
        .size:           2
        .value_kind:     hidden_remainder_z
      - .offset:         72
        .size:           8
        .value_kind:     hidden_global_offset_x
      - .offset:         80
        .size:           8
        .value_kind:     hidden_global_offset_y
      - .offset:         88
        .size:           8
        .value_kind:     hidden_global_offset_z
      - .offset:         96
        .size:           2
        .value_kind:     hidden_grid_dims
    .group_segment_fixed_size: 0
    .kernarg_segment_align: 8
    .kernarg_segment_size: 288
    .language:       OpenCL C
    .language_version:
      - 2
      - 0
    .max_flat_workgroup_size: 128
    .name:           _ZN7rocprim17ROCPRIM_304000_NS6detail16transform_kernelINS1_24wrapped_transform_configINS0_14default_configElEElPlS6_NS0_8identityIlEEEEvT1_mT2_T3_
    .private_segment_fixed_size: 0
    .sgpr_count:     16
    .sgpr_spill_count: 0
    .symbol:         _ZN7rocprim17ROCPRIM_304000_NS6detail16transform_kernelINS1_24wrapped_transform_configINS0_14default_configElEElPlS6_NS0_8identityIlEEEEvT1_mT2_T3_.kd
    .uniform_work_group_size: 1
    .uses_dynamic_stack: false
    .vgpr_count:     3
    .vgpr_spill_count: 0
    .wavefront_size: 64
  - .agpr_count:     0
    .args:
      - .address_space:  global
        .offset:         0
        .size:           8
        .value_kind:     global_buffer
      - .offset:         8
        .size:           4
        .value_kind:     by_value
      - .offset:         12
        .size:           4
        .value_kind:     by_value
      - .address_space:  global
        .offset:         16
        .size:           8
        .value_kind:     global_buffer
      - .offset:         24
        .size:           8
        .value_kind:     by_value
      - .offset:         32
        .size:           4
        .value_kind:     by_value
    .group_segment_fixed_size: 0
    .kernarg_segment_align: 8
    .kernarg_segment_size: 36
    .language:       OpenCL C
    .language_version:
      - 2
      - 0
    .max_flat_workgroup_size: 128
    .name:           _ZN7rocprim17ROCPRIM_304000_NS6detail45device_block_merge_mergepath_partition_kernelINS1_37wrapped_merge_sort_block_merge_configINS0_14default_configElN2at4cuda3cub6detail10OpaqueTypeILi8EEEEEPljNS1_19radix_merge_compareILb1ELb1ElNS0_19identity_decomposerEEEEEvT0_T1_jPSH_T2_SH_
    .private_segment_fixed_size: 0
    .sgpr_count:     16
    .sgpr_spill_count: 0
    .symbol:         _ZN7rocprim17ROCPRIM_304000_NS6detail45device_block_merge_mergepath_partition_kernelINS1_37wrapped_merge_sort_block_merge_configINS0_14default_configElN2at4cuda3cub6detail10OpaqueTypeILi8EEEEEPljNS1_19radix_merge_compareILb1ELb1ElNS0_19identity_decomposerEEEEEvT0_T1_jPSH_T2_SH_.kd
    .uniform_work_group_size: 1
    .uses_dynamic_stack: false
    .vgpr_count:     16
    .vgpr_spill_count: 0
    .wavefront_size: 64
  - .agpr_count:     0
    .args:
      - .address_space:  global
        .offset:         0
        .size:           8
        .value_kind:     global_buffer
      - .address_space:  global
        .offset:         8
        .size:           8
        .value_kind:     global_buffer
      - .address_space:  global
        .offset:         16
        .size:           8
        .value_kind:     global_buffer
      - .address_space:  global
        .offset:         24
        .size:           8
        .value_kind:     global_buffer
      - .offset:         32
        .size:           4
        .value_kind:     by_value
      - .offset:         36
        .size:           4
        .value_kind:     by_value
      - .offset:         40
        .size:           4
        .value_kind:     by_value
      - .offset:         48
        .size:           8
        .value_kind:     by_value
      - .address_space:  global
        .offset:         56
        .size:           8
        .value_kind:     global_buffer
      - .address_space:  global
        .offset:         64
        .size:           8
        .value_kind:     global_buffer
      - .offset:         72
        .size:           4
        .value_kind:     hidden_block_count_x
      - .offset:         76
        .size:           4
        .value_kind:     hidden_block_count_y
      - .offset:         80
        .size:           4
        .value_kind:     hidden_block_count_z
      - .offset:         84
        .size:           2
        .value_kind:     hidden_group_size_x
      - .offset:         86
        .size:           2
        .value_kind:     hidden_group_size_y
      - .offset:         88
        .size:           2
        .value_kind:     hidden_group_size_z
      - .offset:         90
        .size:           2
        .value_kind:     hidden_remainder_x
      - .offset:         92
        .size:           2
        .value_kind:     hidden_remainder_y
      - .offset:         94
        .size:           2
        .value_kind:     hidden_remainder_z
      - .offset:         112
        .size:           8
        .value_kind:     hidden_global_offset_x
      - .offset:         120
        .size:           8
        .value_kind:     hidden_global_offset_y
      - .offset:         128
        .size:           8
        .value_kind:     hidden_global_offset_z
      - .offset:         136
        .size:           2
        .value_kind:     hidden_grid_dims
    .group_segment_fixed_size: 8448
    .kernarg_segment_align: 8
    .kernarg_segment_size: 328
    .language:       OpenCL C
    .language_version:
      - 2
      - 0
    .max_flat_workgroup_size: 128
    .name:           _ZN7rocprim17ROCPRIM_304000_NS6detail35device_block_merge_mergepath_kernelINS1_37wrapped_merge_sort_block_merge_configINS0_14default_configElN2at4cuda3cub6detail10OpaqueTypeILi8EEEEEPlSC_PSA_SD_jNS1_19radix_merge_compareILb1ELb1ElNS0_19identity_decomposerEEEEEvT0_T1_T2_T3_T4_SL_jT5_PKSL_NS1_7vsmem_tE
    .private_segment_fixed_size: 0
    .sgpr_count:     44
    .sgpr_spill_count: 0
    .symbol:         _ZN7rocprim17ROCPRIM_304000_NS6detail35device_block_merge_mergepath_kernelINS1_37wrapped_merge_sort_block_merge_configINS0_14default_configElN2at4cuda3cub6detail10OpaqueTypeILi8EEEEEPlSC_PSA_SD_jNS1_19radix_merge_compareILb1ELb1ElNS0_19identity_decomposerEEEEEvT0_T1_T2_T3_T4_SL_jT5_PKSL_NS1_7vsmem_tE.kd
    .uniform_work_group_size: 1
    .uses_dynamic_stack: false
    .vgpr_count:     49
    .vgpr_spill_count: 0
    .wavefront_size: 64
  - .agpr_count:     0
    .args:
      - .address_space:  global
        .offset:         0
        .size:           8
        .value_kind:     global_buffer
      - .address_space:  global
        .offset:         8
        .size:           8
        .value_kind:     global_buffer
      - .address_space:  global
        .offset:         16
        .size:           8
        .value_kind:     global_buffer
      - .address_space:  global
        .offset:         24
        .size:           8
        .value_kind:     global_buffer
      - .offset:         32
        .size:           4
        .value_kind:     by_value
      - .offset:         36
        .size:           4
        .value_kind:     by_value
      - .offset:         40
        .size:           8
        .value_kind:     by_value
    .group_segment_fixed_size: 0
    .kernarg_segment_align: 8
    .kernarg_segment_size: 48
    .language:       OpenCL C
    .language_version:
      - 2
      - 0
    .max_flat_workgroup_size: 256
    .name:           _ZN7rocprim17ROCPRIM_304000_NS6detail33device_block_merge_oddeven_kernelINS1_37wrapped_merge_sort_block_merge_configINS0_14default_configElN2at4cuda3cub6detail10OpaqueTypeILi8EEEEEPlSC_PSA_SD_jNS1_19radix_merge_compareILb1ELb1ElNS0_19identity_decomposerEEEEEvT0_T1_T2_T3_T4_SL_T5_
    .private_segment_fixed_size: 0
    .sgpr_count:     30
    .sgpr_spill_count: 0
    .symbol:         _ZN7rocprim17ROCPRIM_304000_NS6detail33device_block_merge_oddeven_kernelINS1_37wrapped_merge_sort_block_merge_configINS0_14default_configElN2at4cuda3cub6detail10OpaqueTypeILi8EEEEEPlSC_PSA_SD_jNS1_19radix_merge_compareILb1ELb1ElNS0_19identity_decomposerEEEEEvT0_T1_T2_T3_T4_SL_T5_.kd
    .uniform_work_group_size: 1
    .uses_dynamic_stack: false
    .vgpr_count:     15
    .vgpr_spill_count: 0
    .wavefront_size: 64
  - .agpr_count:     0
    .args:
      - .address_space:  global
        .offset:         0
        .size:           8
        .value_kind:     global_buffer
      - .address_space:  global
        .offset:         8
        .size:           8
        .value_kind:     global_buffer
      - .offset:         16
        .size:           8
        .value_kind:     by_value
      - .offset:         24
        .size:           8
        .value_kind:     by_value
      - .offset:         32
        .size:           1
        .value_kind:     by_value
      - .offset:         36
        .size:           4
        .value_kind:     by_value
      - .offset:         40
        .size:           4
        .value_kind:     by_value
    .group_segment_fixed_size: 11264
    .kernarg_segment_align: 8
    .kernarg_segment_size: 44
    .language:       OpenCL C
    .language_version:
      - 2
      - 0
    .max_flat_workgroup_size: 1024
    .name:           _ZN7rocprim17ROCPRIM_304000_NS6detail26onesweep_histograms_kernelINS1_34wrapped_radix_sort_onesweep_configINS0_14default_configElN2at4cuda3cub6detail10OpaqueTypeILi8EEEEELb1EPKlmNS0_19identity_decomposerEEEvT1_PT2_SG_SG_T3_jj
    .private_segment_fixed_size: 0
    .sgpr_count:     34
    .sgpr_spill_count: 0
    .symbol:         _ZN7rocprim17ROCPRIM_304000_NS6detail26onesweep_histograms_kernelINS1_34wrapped_radix_sort_onesweep_configINS0_14default_configElN2at4cuda3cub6detail10OpaqueTypeILi8EEEEELb1EPKlmNS0_19identity_decomposerEEEvT1_PT2_SG_SG_T3_jj.kd
    .uniform_work_group_size: 1
    .uses_dynamic_stack: false
    .vgpr_count:     26
    .vgpr_spill_count: 0
    .wavefront_size: 64
  - .agpr_count:     0
    .args:
      - .address_space:  global
        .offset:         0
        .size:           8
        .value_kind:     global_buffer
    .group_segment_fixed_size: 128
    .kernarg_segment_align: 8
    .kernarg_segment_size: 8
    .language:       OpenCL C
    .language_version:
      - 2
      - 0
    .max_flat_workgroup_size: 1024
    .name:           _ZN7rocprim17ROCPRIM_304000_NS6detail31onesweep_scan_histograms_kernelINS1_34wrapped_radix_sort_onesweep_configINS0_14default_configElN2at4cuda3cub6detail10OpaqueTypeILi8EEEEEmEEvPT0_
    .private_segment_fixed_size: 0
    .sgpr_count:     26
    .sgpr_spill_count: 0
    .symbol:         _ZN7rocprim17ROCPRIM_304000_NS6detail31onesweep_scan_histograms_kernelINS1_34wrapped_radix_sort_onesweep_configINS0_14default_configElN2at4cuda3cub6detail10OpaqueTypeILi8EEEEEmEEvPT0_.kd
    .uniform_work_group_size: 1
    .uses_dynamic_stack: false
    .vgpr_count:     14
    .vgpr_spill_count: 0
    .wavefront_size: 64
  - .agpr_count:     0
    .args:
      - .address_space:  global
        .offset:         0
        .size:           8
        .value_kind:     global_buffer
      - .offset:         8
        .size:           8
        .value_kind:     by_value
      - .address_space:  global
        .offset:         16
        .size:           8
        .value_kind:     global_buffer
      - .offset:         24
        .size:           1
        .value_kind:     by_value
      - .offset:         32
        .size:           4
        .value_kind:     hidden_block_count_x
      - .offset:         36
        .size:           4
        .value_kind:     hidden_block_count_y
      - .offset:         40
        .size:           4
        .value_kind:     hidden_block_count_z
      - .offset:         44
        .size:           2
        .value_kind:     hidden_group_size_x
      - .offset:         46
        .size:           2
        .value_kind:     hidden_group_size_y
      - .offset:         48
        .size:           2
        .value_kind:     hidden_group_size_z
      - .offset:         50
        .size:           2
        .value_kind:     hidden_remainder_x
      - .offset:         52
        .size:           2
        .value_kind:     hidden_remainder_y
      - .offset:         54
        .size:           2
        .value_kind:     hidden_remainder_z
      - .offset:         72
        .size:           8
        .value_kind:     hidden_global_offset_x
      - .offset:         80
        .size:           8
        .value_kind:     hidden_global_offset_y
      - .offset:         88
        .size:           8
        .value_kind:     hidden_global_offset_z
      - .offset:         96
        .size:           2
        .value_kind:     hidden_grid_dims
    .group_segment_fixed_size: 0
    .kernarg_segment_align: 8
    .kernarg_segment_size: 288
    .language:       OpenCL C
    .language_version:
      - 2
      - 0
    .max_flat_workgroup_size: 128
    .name:           _ZN7rocprim17ROCPRIM_304000_NS6detail16transform_kernelINS1_24wrapped_transform_configINS0_14default_configElEElPKlPlNS0_8identityIlEEEEvT1_mT2_T3_
    .private_segment_fixed_size: 0
    .sgpr_count:     16
    .sgpr_spill_count: 0
    .symbol:         _ZN7rocprim17ROCPRIM_304000_NS6detail16transform_kernelINS1_24wrapped_transform_configINS0_14default_configElEElPKlPlNS0_8identityIlEEEEvT1_mT2_T3_.kd
    .uniform_work_group_size: 1
    .uses_dynamic_stack: false
    .vgpr_count:     3
    .vgpr_spill_count: 0
    .wavefront_size: 64
  - .agpr_count:     0
    .args:
      - .address_space:  global
        .offset:         0
        .size:           8
        .value_kind:     global_buffer
      - .address_space:  global
        .offset:         8
        .size:           8
        .value_kind:     global_buffer
      - .address_space:  global
        .offset:         16
        .size:           8
        .value_kind:     global_buffer
      - .address_space:  global
        .offset:         24
        .size:           8
        .value_kind:     global_buffer
      - .offset:         32
        .size:           4
        .value_kind:     by_value
      - .address_space:  global
        .offset:         40
        .size:           8
        .value_kind:     global_buffer
      - .address_space:  global
        .offset:         48
        .size:           8
        .value_kind:     global_buffer
      - .address_space:  global
        .offset:         56
        .size:           8
        .value_kind:     global_buffer
      - .offset:         64
        .size:           1
        .value_kind:     by_value
      - .offset:         68
        .size:           4
        .value_kind:     by_value
      - .offset:         72
        .size:           4
        .value_kind:     by_value
      - .offset:         76
        .size:           4
        .value_kind:     by_value
      - .offset:         80
        .size:           4
        .value_kind:     hidden_block_count_x
      - .offset:         84
        .size:           4
        .value_kind:     hidden_block_count_y
      - .offset:         88
        .size:           4
        .value_kind:     hidden_block_count_z
      - .offset:         92
        .size:           2
        .value_kind:     hidden_group_size_x
      - .offset:         94
        .size:           2
        .value_kind:     hidden_group_size_y
      - .offset:         96
        .size:           2
        .value_kind:     hidden_group_size_z
      - .offset:         98
        .size:           2
        .value_kind:     hidden_remainder_x
      - .offset:         100
        .size:           2
        .value_kind:     hidden_remainder_y
      - .offset:         102
        .size:           2
        .value_kind:     hidden_remainder_z
      - .offset:         120
        .size:           8
        .value_kind:     hidden_global_offset_x
      - .offset:         128
        .size:           8
        .value_kind:     hidden_global_offset_y
      - .offset:         136
        .size:           8
        .value_kind:     hidden_global_offset_z
      - .offset:         144
        .size:           2
        .value_kind:     hidden_grid_dims
    .group_segment_fixed_size: 49664
    .kernarg_segment_align: 8
    .kernarg_segment_size: 336
    .language:       OpenCL C
    .language_version:
      - 2
      - 0
    .max_flat_workgroup_size: 1024
    .name:           _ZN7rocprim17ROCPRIM_304000_NS6detail25onesweep_iteration_kernelINS1_34wrapped_radix_sort_onesweep_configINS0_14default_configElN2at4cuda3cub6detail10OpaqueTypeILi8EEEEELb1EPKlPlPKSA_PSA_mNS0_19identity_decomposerEEEvT1_T2_T3_T4_jPT5_SO_PNS1_23onesweep_lookback_stateET6_jjj
    .private_segment_fixed_size: 0
    .sgpr_count:     58
    .sgpr_spill_count: 0
    .symbol:         _ZN7rocprim17ROCPRIM_304000_NS6detail25onesweep_iteration_kernelINS1_34wrapped_radix_sort_onesweep_configINS0_14default_configElN2at4cuda3cub6detail10OpaqueTypeILi8EEEEELb1EPKlPlPKSA_PSA_mNS0_19identity_decomposerEEEvT1_T2_T3_T4_jPT5_SO_PNS1_23onesweep_lookback_stateET6_jjj.kd
    .uniform_work_group_size: 1
    .uses_dynamic_stack: false
    .vgpr_count:     42
    .vgpr_spill_count: 0
    .wavefront_size: 64
  - .agpr_count:     0
    .args:
      - .address_space:  global
        .offset:         0
        .size:           8
        .value_kind:     global_buffer
      - .address_space:  global
        .offset:         8
        .size:           8
        .value_kind:     global_buffer
      - .address_space:  global
        .offset:         16
        .size:           8
        .value_kind:     global_buffer
      - .address_space:  global
        .offset:         24
        .size:           8
        .value_kind:     global_buffer
      - .offset:         32
        .size:           4
        .value_kind:     by_value
      - .address_space:  global
        .offset:         40
        .size:           8
        .value_kind:     global_buffer
      - .address_space:  global
        .offset:         48
        .size:           8
        .value_kind:     global_buffer
      - .address_space:  global
        .offset:         56
        .size:           8
        .value_kind:     global_buffer
      - .offset:         64
        .size:           1
        .value_kind:     by_value
      - .offset:         68
        .size:           4
        .value_kind:     by_value
      - .offset:         72
        .size:           4
        .value_kind:     by_value
      - .offset:         76
        .size:           4
        .value_kind:     by_value
      - .offset:         80
        .size:           4
        .value_kind:     hidden_block_count_x
      - .offset:         84
        .size:           4
        .value_kind:     hidden_block_count_y
      - .offset:         88
        .size:           4
        .value_kind:     hidden_block_count_z
      - .offset:         92
        .size:           2
        .value_kind:     hidden_group_size_x
      - .offset:         94
        .size:           2
        .value_kind:     hidden_group_size_y
      - .offset:         96
        .size:           2
        .value_kind:     hidden_group_size_z
      - .offset:         98
        .size:           2
        .value_kind:     hidden_remainder_x
      - .offset:         100
        .size:           2
        .value_kind:     hidden_remainder_y
      - .offset:         102
        .size:           2
        .value_kind:     hidden_remainder_z
      - .offset:         120
        .size:           8
        .value_kind:     hidden_global_offset_x
      - .offset:         128
        .size:           8
        .value_kind:     hidden_global_offset_y
      - .offset:         136
        .size:           8
        .value_kind:     hidden_global_offset_z
      - .offset:         144
        .size:           2
        .value_kind:     hidden_grid_dims
    .group_segment_fixed_size: 49664
    .kernarg_segment_align: 8
    .kernarg_segment_size: 336
    .language:       OpenCL C
    .language_version:
      - 2
      - 0
    .max_flat_workgroup_size: 1024
    .name:           _ZN7rocprim17ROCPRIM_304000_NS6detail25onesweep_iteration_kernelINS1_34wrapped_radix_sort_onesweep_configINS0_14default_configElN2at4cuda3cub6detail10OpaqueTypeILi8EEEEELb1EPlSC_PSA_SD_mNS0_19identity_decomposerEEEvT1_T2_T3_T4_jPT5_SK_PNS1_23onesweep_lookback_stateET6_jjj
    .private_segment_fixed_size: 0
    .sgpr_count:     58
    .sgpr_spill_count: 0
    .symbol:         _ZN7rocprim17ROCPRIM_304000_NS6detail25onesweep_iteration_kernelINS1_34wrapped_radix_sort_onesweep_configINS0_14default_configElN2at4cuda3cub6detail10OpaqueTypeILi8EEEEELb1EPlSC_PSA_SD_mNS0_19identity_decomposerEEEvT1_T2_T3_T4_jPT5_SK_PNS1_23onesweep_lookback_stateET6_jjj.kd
    .uniform_work_group_size: 1
    .uses_dynamic_stack: false
    .vgpr_count:     42
    .vgpr_spill_count: 0
    .wavefront_size: 64
  - .agpr_count:     0
    .args:
      - .address_space:  global
        .offset:         0
        .size:           8
        .value_kind:     global_buffer
      - .address_space:  global
        .offset:         8
        .size:           8
        .value_kind:     global_buffer
      - .address_space:  global
        .offset:         16
        .size:           8
        .value_kind:     global_buffer
      - .address_space:  global
        .offset:         24
        .size:           8
        .value_kind:     global_buffer
      - .offset:         32
        .size:           4
        .value_kind:     by_value
      - .offset:         36
        .size:           1
        .value_kind:     by_value
      - .offset:         40
        .size:           4
        .value_kind:     by_value
      - .offset:         44
        .size:           4
        .value_kind:     by_value
      - .offset:         48
        .size:           4
        .value_kind:     hidden_block_count_x
      - .offset:         52
        .size:           4
        .value_kind:     hidden_block_count_y
      - .offset:         56
        .size:           4
        .value_kind:     hidden_block_count_z
      - .offset:         60
        .size:           2
        .value_kind:     hidden_group_size_x
      - .offset:         62
        .size:           2
        .value_kind:     hidden_group_size_y
      - .offset:         64
        .size:           2
        .value_kind:     hidden_group_size_z
      - .offset:         66
        .size:           2
        .value_kind:     hidden_remainder_x
      - .offset:         68
        .size:           2
        .value_kind:     hidden_remainder_y
      - .offset:         70
        .size:           2
        .value_kind:     hidden_remainder_z
      - .offset:         88
        .size:           8
        .value_kind:     hidden_global_offset_x
      - .offset:         96
        .size:           8
        .value_kind:     hidden_global_offset_y
      - .offset:         104
        .size:           8
        .value_kind:     hidden_global_offset_z
      - .offset:         112
        .size:           2
        .value_kind:     hidden_grid_dims
    .group_segment_fixed_size: 8192
    .kernarg_segment_align: 8
    .kernarg_segment_size: 304
    .language:       OpenCL C
    .language_version:
      - 2
      - 0
    .max_flat_workgroup_size: 256
    .name:           _ZN7rocprim17ROCPRIM_304000_NS6detail28radix_sort_block_sort_kernelINS1_36wrapped_radix_sort_block_sort_configINS0_13kernel_configILj256ELj4ELj4294967295EEElN2at4cuda3cub6detail10OpaqueTypeILi8EEEEELb0EPKlPlPKSB_PSB_NS0_19identity_decomposerEEEvT1_T2_T3_T4_jT5_jj
    .private_segment_fixed_size: 0
    .sgpr_count:     50
    .sgpr_spill_count: 0
    .symbol:         _ZN7rocprim17ROCPRIM_304000_NS6detail28radix_sort_block_sort_kernelINS1_36wrapped_radix_sort_block_sort_configINS0_13kernel_configILj256ELj4ELj4294967295EEElN2at4cuda3cub6detail10OpaqueTypeILi8EEEEELb0EPKlPlPKSB_PSB_NS0_19identity_decomposerEEEvT1_T2_T3_T4_jT5_jj.kd
    .uniform_work_group_size: 1
    .uses_dynamic_stack: false
    .vgpr_count:     50
    .vgpr_spill_count: 0
    .wavefront_size: 64
  - .agpr_count:     0
    .args:
      - .address_space:  global
        .offset:         0
        .size:           8
        .value_kind:     global_buffer
      - .offset:         8
        .size:           4
        .value_kind:     by_value
      - .offset:         12
        .size:           4
        .value_kind:     by_value
      - .address_space:  global
        .offset:         16
        .size:           8
        .value_kind:     global_buffer
      - .offset:         24
        .size:           1
        .value_kind:     by_value
      - .offset:         28
        .size:           4
        .value_kind:     by_value
    .group_segment_fixed_size: 0
    .kernarg_segment_align: 8
    .kernarg_segment_size: 32
    .language:       OpenCL C
    .language_version:
      - 2
      - 0
    .max_flat_workgroup_size: 128
    .name:           _ZN7rocprim17ROCPRIM_304000_NS6detail45device_block_merge_mergepath_partition_kernelINS1_37wrapped_merge_sort_block_merge_configINS0_14default_configElN2at4cuda3cub6detail10OpaqueTypeILi8EEEEEPljNS1_19radix_merge_compareILb0ELb0ElNS0_19identity_decomposerEEEEEvT0_T1_jPSH_T2_SH_
    .private_segment_fixed_size: 0
    .sgpr_count:     12
    .sgpr_spill_count: 0
    .symbol:         _ZN7rocprim17ROCPRIM_304000_NS6detail45device_block_merge_mergepath_partition_kernelINS1_37wrapped_merge_sort_block_merge_configINS0_14default_configElN2at4cuda3cub6detail10OpaqueTypeILi8EEEEEPljNS1_19radix_merge_compareILb0ELb0ElNS0_19identity_decomposerEEEEEvT0_T1_jPSH_T2_SH_.kd
    .uniform_work_group_size: 1
    .uses_dynamic_stack: false
    .vgpr_count:     20
    .vgpr_spill_count: 0
    .wavefront_size: 64
  - .agpr_count:     0
    .args:
      - .address_space:  global
        .offset:         0
        .size:           8
        .value_kind:     global_buffer
      - .address_space:  global
        .offset:         8
        .size:           8
        .value_kind:     global_buffer
      - .address_space:  global
        .offset:         16
        .size:           8
        .value_kind:     global_buffer
      - .address_space:  global
        .offset:         24
        .size:           8
        .value_kind:     global_buffer
      - .offset:         32
        .size:           4
        .value_kind:     by_value
      - .offset:         36
        .size:           4
        .value_kind:     by_value
      - .offset:         40
        .size:           4
        .value_kind:     by_value
      - .offset:         44
        .size:           1
        .value_kind:     by_value
      - .address_space:  global
        .offset:         48
        .size:           8
        .value_kind:     global_buffer
      - .address_space:  global
        .offset:         56
        .size:           8
        .value_kind:     global_buffer
      - .offset:         64
        .size:           4
        .value_kind:     hidden_block_count_x
      - .offset:         68
        .size:           4
        .value_kind:     hidden_block_count_y
      - .offset:         72
        .size:           4
        .value_kind:     hidden_block_count_z
      - .offset:         76
        .size:           2
        .value_kind:     hidden_group_size_x
      - .offset:         78
        .size:           2
        .value_kind:     hidden_group_size_y
      - .offset:         80
        .size:           2
        .value_kind:     hidden_group_size_z
      - .offset:         82
        .size:           2
        .value_kind:     hidden_remainder_x
      - .offset:         84
        .size:           2
        .value_kind:     hidden_remainder_y
      - .offset:         86
        .size:           2
        .value_kind:     hidden_remainder_z
      - .offset:         104
        .size:           8
        .value_kind:     hidden_global_offset_x
      - .offset:         112
        .size:           8
        .value_kind:     hidden_global_offset_y
      - .offset:         120
        .size:           8
        .value_kind:     hidden_global_offset_z
      - .offset:         128
        .size:           2
        .value_kind:     hidden_grid_dims
    .group_segment_fixed_size: 8448
    .kernarg_segment_align: 8
    .kernarg_segment_size: 320
    .language:       OpenCL C
    .language_version:
      - 2
      - 0
    .max_flat_workgroup_size: 128
    .name:           _ZN7rocprim17ROCPRIM_304000_NS6detail35device_block_merge_mergepath_kernelINS1_37wrapped_merge_sort_block_merge_configINS0_14default_configElN2at4cuda3cub6detail10OpaqueTypeILi8EEEEEPlSC_PSA_SD_jNS1_19radix_merge_compareILb0ELb0ElNS0_19identity_decomposerEEEEEvT0_T1_T2_T3_T4_SL_jT5_PKSL_NS1_7vsmem_tE
    .private_segment_fixed_size: 0
    .sgpr_count:     42
    .sgpr_spill_count: 0
    .symbol:         _ZN7rocprim17ROCPRIM_304000_NS6detail35device_block_merge_mergepath_kernelINS1_37wrapped_merge_sort_block_merge_configINS0_14default_configElN2at4cuda3cub6detail10OpaqueTypeILi8EEEEEPlSC_PSA_SD_jNS1_19radix_merge_compareILb0ELb0ElNS0_19identity_decomposerEEEEEvT0_T1_T2_T3_T4_SL_jT5_PKSL_NS1_7vsmem_tE.kd
    .uniform_work_group_size: 1
    .uses_dynamic_stack: false
    .vgpr_count:     49
    .vgpr_spill_count: 0
    .wavefront_size: 64
  - .agpr_count:     0
    .args:
      - .address_space:  global
        .offset:         0
        .size:           8
        .value_kind:     global_buffer
      - .address_space:  global
        .offset:         8
        .size:           8
        .value_kind:     global_buffer
      - .address_space:  global
        .offset:         16
        .size:           8
        .value_kind:     global_buffer
      - .address_space:  global
        .offset:         24
        .size:           8
        .value_kind:     global_buffer
      - .offset:         32
        .size:           4
        .value_kind:     by_value
      - .offset:         36
        .size:           4
        .value_kind:     by_value
      - .offset:         40
        .size:           1
        .value_kind:     by_value
    .group_segment_fixed_size: 0
    .kernarg_segment_align: 8
    .kernarg_segment_size: 44
    .language:       OpenCL C
    .language_version:
      - 2
      - 0
    .max_flat_workgroup_size: 256
    .name:           _ZN7rocprim17ROCPRIM_304000_NS6detail33device_block_merge_oddeven_kernelINS1_37wrapped_merge_sort_block_merge_configINS0_14default_configElN2at4cuda3cub6detail10OpaqueTypeILi8EEEEEPlSC_PSA_SD_jNS1_19radix_merge_compareILb0ELb0ElNS0_19identity_decomposerEEEEEvT0_T1_T2_T3_T4_SL_T5_
    .private_segment_fixed_size: 0
    .sgpr_count:     28
    .sgpr_spill_count: 0
    .symbol:         _ZN7rocprim17ROCPRIM_304000_NS6detail33device_block_merge_oddeven_kernelINS1_37wrapped_merge_sort_block_merge_configINS0_14default_configElN2at4cuda3cub6detail10OpaqueTypeILi8EEEEEPlSC_PSA_SD_jNS1_19radix_merge_compareILb0ELb0ElNS0_19identity_decomposerEEEEEvT0_T1_T2_T3_T4_SL_T5_.kd
    .uniform_work_group_size: 1
    .uses_dynamic_stack: false
    .vgpr_count:     13
    .vgpr_spill_count: 0
    .wavefront_size: 64
  - .agpr_count:     0
    .args:
      - .address_space:  global
        .offset:         0
        .size:           8
        .value_kind:     global_buffer
      - .offset:         8
        .size:           4
        .value_kind:     by_value
      - .offset:         12
        .size:           4
        .value_kind:     by_value
      - .address_space:  global
        .offset:         16
        .size:           8
        .value_kind:     global_buffer
      - .offset:         24
        .size:           8
        .value_kind:     by_value
      - .offset:         32
        .size:           4
        .value_kind:     by_value
    .group_segment_fixed_size: 0
    .kernarg_segment_align: 8
    .kernarg_segment_size: 36
    .language:       OpenCL C
    .language_version:
      - 2
      - 0
    .max_flat_workgroup_size: 128
    .name:           _ZN7rocprim17ROCPRIM_304000_NS6detail45device_block_merge_mergepath_partition_kernelINS1_37wrapped_merge_sort_block_merge_configINS0_14default_configElN2at4cuda3cub6detail10OpaqueTypeILi8EEEEEPljNS1_19radix_merge_compareILb0ELb1ElNS0_19identity_decomposerEEEEEvT0_T1_jPSH_T2_SH_
    .private_segment_fixed_size: 0
    .sgpr_count:     16
    .sgpr_spill_count: 0
    .symbol:         _ZN7rocprim17ROCPRIM_304000_NS6detail45device_block_merge_mergepath_partition_kernelINS1_37wrapped_merge_sort_block_merge_configINS0_14default_configElN2at4cuda3cub6detail10OpaqueTypeILi8EEEEEPljNS1_19radix_merge_compareILb0ELb1ElNS0_19identity_decomposerEEEEEvT0_T1_jPSH_T2_SH_.kd
    .uniform_work_group_size: 1
    .uses_dynamic_stack: false
    .vgpr_count:     16
    .vgpr_spill_count: 0
    .wavefront_size: 64
  - .agpr_count:     0
    .args:
      - .address_space:  global
        .offset:         0
        .size:           8
        .value_kind:     global_buffer
      - .address_space:  global
        .offset:         8
        .size:           8
        .value_kind:     global_buffer
      - .address_space:  global
        .offset:         16
        .size:           8
        .value_kind:     global_buffer
      - .address_space:  global
        .offset:         24
        .size:           8
        .value_kind:     global_buffer
      - .offset:         32
        .size:           4
        .value_kind:     by_value
      - .offset:         36
        .size:           4
        .value_kind:     by_value
      - .offset:         40
        .size:           4
        .value_kind:     by_value
      - .offset:         48
        .size:           8
        .value_kind:     by_value
      - .address_space:  global
        .offset:         56
        .size:           8
        .value_kind:     global_buffer
      - .address_space:  global
        .offset:         64
        .size:           8
        .value_kind:     global_buffer
      - .offset:         72
        .size:           4
        .value_kind:     hidden_block_count_x
      - .offset:         76
        .size:           4
        .value_kind:     hidden_block_count_y
      - .offset:         80
        .size:           4
        .value_kind:     hidden_block_count_z
      - .offset:         84
        .size:           2
        .value_kind:     hidden_group_size_x
      - .offset:         86
        .size:           2
        .value_kind:     hidden_group_size_y
      - .offset:         88
        .size:           2
        .value_kind:     hidden_group_size_z
      - .offset:         90
        .size:           2
        .value_kind:     hidden_remainder_x
      - .offset:         92
        .size:           2
        .value_kind:     hidden_remainder_y
      - .offset:         94
        .size:           2
        .value_kind:     hidden_remainder_z
      - .offset:         112
        .size:           8
        .value_kind:     hidden_global_offset_x
      - .offset:         120
        .size:           8
        .value_kind:     hidden_global_offset_y
      - .offset:         128
        .size:           8
        .value_kind:     hidden_global_offset_z
      - .offset:         136
        .size:           2
        .value_kind:     hidden_grid_dims
    .group_segment_fixed_size: 8448
    .kernarg_segment_align: 8
    .kernarg_segment_size: 328
    .language:       OpenCL C
    .language_version:
      - 2
      - 0
    .max_flat_workgroup_size: 128
    .name:           _ZN7rocprim17ROCPRIM_304000_NS6detail35device_block_merge_mergepath_kernelINS1_37wrapped_merge_sort_block_merge_configINS0_14default_configElN2at4cuda3cub6detail10OpaqueTypeILi8EEEEEPlSC_PSA_SD_jNS1_19radix_merge_compareILb0ELb1ElNS0_19identity_decomposerEEEEEvT0_T1_T2_T3_T4_SL_jT5_PKSL_NS1_7vsmem_tE
    .private_segment_fixed_size: 0
    .sgpr_count:     44
    .sgpr_spill_count: 0
    .symbol:         _ZN7rocprim17ROCPRIM_304000_NS6detail35device_block_merge_mergepath_kernelINS1_37wrapped_merge_sort_block_merge_configINS0_14default_configElN2at4cuda3cub6detail10OpaqueTypeILi8EEEEEPlSC_PSA_SD_jNS1_19radix_merge_compareILb0ELb1ElNS0_19identity_decomposerEEEEEvT0_T1_T2_T3_T4_SL_jT5_PKSL_NS1_7vsmem_tE.kd
    .uniform_work_group_size: 1
    .uses_dynamic_stack: false
    .vgpr_count:     49
    .vgpr_spill_count: 0
    .wavefront_size: 64
  - .agpr_count:     0
    .args:
      - .address_space:  global
        .offset:         0
        .size:           8
        .value_kind:     global_buffer
      - .address_space:  global
        .offset:         8
        .size:           8
        .value_kind:     global_buffer
      - .address_space:  global
        .offset:         16
        .size:           8
        .value_kind:     global_buffer
      - .address_space:  global
        .offset:         24
        .size:           8
        .value_kind:     global_buffer
      - .offset:         32
        .size:           4
        .value_kind:     by_value
      - .offset:         36
        .size:           4
        .value_kind:     by_value
      - .offset:         40
        .size:           8
        .value_kind:     by_value
    .group_segment_fixed_size: 0
    .kernarg_segment_align: 8
    .kernarg_segment_size: 48
    .language:       OpenCL C
    .language_version:
      - 2
      - 0
    .max_flat_workgroup_size: 256
    .name:           _ZN7rocprim17ROCPRIM_304000_NS6detail33device_block_merge_oddeven_kernelINS1_37wrapped_merge_sort_block_merge_configINS0_14default_configElN2at4cuda3cub6detail10OpaqueTypeILi8EEEEEPlSC_PSA_SD_jNS1_19radix_merge_compareILb0ELb1ElNS0_19identity_decomposerEEEEEvT0_T1_T2_T3_T4_SL_T5_
    .private_segment_fixed_size: 0
    .sgpr_count:     30
    .sgpr_spill_count: 0
    .symbol:         _ZN7rocprim17ROCPRIM_304000_NS6detail33device_block_merge_oddeven_kernelINS1_37wrapped_merge_sort_block_merge_configINS0_14default_configElN2at4cuda3cub6detail10OpaqueTypeILi8EEEEEPlSC_PSA_SD_jNS1_19radix_merge_compareILb0ELb1ElNS0_19identity_decomposerEEEEEvT0_T1_T2_T3_T4_SL_T5_.kd
    .uniform_work_group_size: 1
    .uses_dynamic_stack: false
    .vgpr_count:     15
    .vgpr_spill_count: 0
    .wavefront_size: 64
  - .agpr_count:     0
    .args:
      - .address_space:  global
        .offset:         0
        .size:           8
        .value_kind:     global_buffer
      - .address_space:  global
        .offset:         8
        .size:           8
        .value_kind:     global_buffer
      - .offset:         16
        .size:           8
        .value_kind:     by_value
      - .offset:         24
        .size:           8
        .value_kind:     by_value
      - .offset:         32
        .size:           1
        .value_kind:     by_value
      - .offset:         36
        .size:           4
        .value_kind:     by_value
      - .offset:         40
        .size:           4
        .value_kind:     by_value
    .group_segment_fixed_size: 11264
    .kernarg_segment_align: 8
    .kernarg_segment_size: 44
    .language:       OpenCL C
    .language_version:
      - 2
      - 0
    .max_flat_workgroup_size: 1024
    .name:           _ZN7rocprim17ROCPRIM_304000_NS6detail26onesweep_histograms_kernelINS1_34wrapped_radix_sort_onesweep_configINS0_14default_configElN2at4cuda3cub6detail10OpaqueTypeILi8EEEEELb0EPKlmNS0_19identity_decomposerEEEvT1_PT2_SG_SG_T3_jj
    .private_segment_fixed_size: 0
    .sgpr_count:     34
    .sgpr_spill_count: 0
    .symbol:         _ZN7rocprim17ROCPRIM_304000_NS6detail26onesweep_histograms_kernelINS1_34wrapped_radix_sort_onesweep_configINS0_14default_configElN2at4cuda3cub6detail10OpaqueTypeILi8EEEEELb0EPKlmNS0_19identity_decomposerEEEvT1_PT2_SG_SG_T3_jj.kd
    .uniform_work_group_size: 1
    .uses_dynamic_stack: false
    .vgpr_count:     26
    .vgpr_spill_count: 0
    .wavefront_size: 64
  - .agpr_count:     0
    .args:
      - .address_space:  global
        .offset:         0
        .size:           8
        .value_kind:     global_buffer
      - .address_space:  global
        .offset:         8
        .size:           8
        .value_kind:     global_buffer
      - .address_space:  global
        .offset:         16
        .size:           8
        .value_kind:     global_buffer
      - .address_space:  global
        .offset:         24
        .size:           8
        .value_kind:     global_buffer
      - .offset:         32
        .size:           4
        .value_kind:     by_value
      - .address_space:  global
        .offset:         40
        .size:           8
        .value_kind:     global_buffer
      - .address_space:  global
        .offset:         48
        .size:           8
        .value_kind:     global_buffer
      - .address_space:  global
        .offset:         56
        .size:           8
        .value_kind:     global_buffer
      - .offset:         64
        .size:           1
        .value_kind:     by_value
      - .offset:         68
        .size:           4
        .value_kind:     by_value
      - .offset:         72
        .size:           4
        .value_kind:     by_value
      - .offset:         76
        .size:           4
        .value_kind:     by_value
      - .offset:         80
        .size:           4
        .value_kind:     hidden_block_count_x
      - .offset:         84
        .size:           4
        .value_kind:     hidden_block_count_y
      - .offset:         88
        .size:           4
        .value_kind:     hidden_block_count_z
      - .offset:         92
        .size:           2
        .value_kind:     hidden_group_size_x
      - .offset:         94
        .size:           2
        .value_kind:     hidden_group_size_y
      - .offset:         96
        .size:           2
        .value_kind:     hidden_group_size_z
      - .offset:         98
        .size:           2
        .value_kind:     hidden_remainder_x
      - .offset:         100
        .size:           2
        .value_kind:     hidden_remainder_y
      - .offset:         102
        .size:           2
        .value_kind:     hidden_remainder_z
      - .offset:         120
        .size:           8
        .value_kind:     hidden_global_offset_x
      - .offset:         128
        .size:           8
        .value_kind:     hidden_global_offset_y
      - .offset:         136
        .size:           8
        .value_kind:     hidden_global_offset_z
      - .offset:         144
        .size:           2
        .value_kind:     hidden_grid_dims
    .group_segment_fixed_size: 49664
    .kernarg_segment_align: 8
    .kernarg_segment_size: 336
    .language:       OpenCL C
    .language_version:
      - 2
      - 0
    .max_flat_workgroup_size: 1024
    .name:           _ZN7rocprim17ROCPRIM_304000_NS6detail25onesweep_iteration_kernelINS1_34wrapped_radix_sort_onesweep_configINS0_14default_configElN2at4cuda3cub6detail10OpaqueTypeILi8EEEEELb0EPKlPlPKSA_PSA_mNS0_19identity_decomposerEEEvT1_T2_T3_T4_jPT5_SO_PNS1_23onesweep_lookback_stateET6_jjj
    .private_segment_fixed_size: 0
    .sgpr_count:     58
    .sgpr_spill_count: 0
    .symbol:         _ZN7rocprim17ROCPRIM_304000_NS6detail25onesweep_iteration_kernelINS1_34wrapped_radix_sort_onesweep_configINS0_14default_configElN2at4cuda3cub6detail10OpaqueTypeILi8EEEEELb0EPKlPlPKSA_PSA_mNS0_19identity_decomposerEEEvT1_T2_T3_T4_jPT5_SO_PNS1_23onesweep_lookback_stateET6_jjj.kd
    .uniform_work_group_size: 1
    .uses_dynamic_stack: false
    .vgpr_count:     42
    .vgpr_spill_count: 0
    .wavefront_size: 64
  - .agpr_count:     0
    .args:
      - .address_space:  global
        .offset:         0
        .size:           8
        .value_kind:     global_buffer
      - .address_space:  global
        .offset:         8
        .size:           8
        .value_kind:     global_buffer
      - .address_space:  global
        .offset:         16
        .size:           8
        .value_kind:     global_buffer
      - .address_space:  global
        .offset:         24
        .size:           8
        .value_kind:     global_buffer
      - .offset:         32
        .size:           4
        .value_kind:     by_value
      - .address_space:  global
        .offset:         40
        .size:           8
        .value_kind:     global_buffer
      - .address_space:  global
        .offset:         48
        .size:           8
        .value_kind:     global_buffer
      - .address_space:  global
        .offset:         56
        .size:           8
        .value_kind:     global_buffer
      - .offset:         64
        .size:           1
        .value_kind:     by_value
      - .offset:         68
        .size:           4
        .value_kind:     by_value
      - .offset:         72
        .size:           4
        .value_kind:     by_value
      - .offset:         76
        .size:           4
        .value_kind:     by_value
      - .offset:         80
        .size:           4
        .value_kind:     hidden_block_count_x
      - .offset:         84
        .size:           4
        .value_kind:     hidden_block_count_y
      - .offset:         88
        .size:           4
        .value_kind:     hidden_block_count_z
      - .offset:         92
        .size:           2
        .value_kind:     hidden_group_size_x
      - .offset:         94
        .size:           2
        .value_kind:     hidden_group_size_y
      - .offset:         96
        .size:           2
        .value_kind:     hidden_group_size_z
      - .offset:         98
        .size:           2
        .value_kind:     hidden_remainder_x
      - .offset:         100
        .size:           2
        .value_kind:     hidden_remainder_y
      - .offset:         102
        .size:           2
        .value_kind:     hidden_remainder_z
      - .offset:         120
        .size:           8
        .value_kind:     hidden_global_offset_x
      - .offset:         128
        .size:           8
        .value_kind:     hidden_global_offset_y
      - .offset:         136
        .size:           8
        .value_kind:     hidden_global_offset_z
      - .offset:         144
        .size:           2
        .value_kind:     hidden_grid_dims
    .group_segment_fixed_size: 49664
    .kernarg_segment_align: 8
    .kernarg_segment_size: 336
    .language:       OpenCL C
    .language_version:
      - 2
      - 0
    .max_flat_workgroup_size: 1024
    .name:           _ZN7rocprim17ROCPRIM_304000_NS6detail25onesweep_iteration_kernelINS1_34wrapped_radix_sort_onesweep_configINS0_14default_configElN2at4cuda3cub6detail10OpaqueTypeILi8EEEEELb0EPlSC_PSA_SD_mNS0_19identity_decomposerEEEvT1_T2_T3_T4_jPT5_SK_PNS1_23onesweep_lookback_stateET6_jjj
    .private_segment_fixed_size: 0
    .sgpr_count:     58
    .sgpr_spill_count: 0
    .symbol:         _ZN7rocprim17ROCPRIM_304000_NS6detail25onesweep_iteration_kernelINS1_34wrapped_radix_sort_onesweep_configINS0_14default_configElN2at4cuda3cub6detail10OpaqueTypeILi8EEEEELb0EPlSC_PSA_SD_mNS0_19identity_decomposerEEEvT1_T2_T3_T4_jPT5_SK_PNS1_23onesweep_lookback_stateET6_jjj.kd
    .uniform_work_group_size: 1
    .uses_dynamic_stack: false
    .vgpr_count:     42
    .vgpr_spill_count: 0
    .wavefront_size: 64
  - .agpr_count:     0
    .args:
      - .address_space:  global
        .offset:         0
        .size:           8
        .value_kind:     global_buffer
      - .address_space:  global
        .offset:         8
        .size:           8
        .value_kind:     global_buffer
      - .address_space:  global
        .offset:         16
        .size:           8
        .value_kind:     global_buffer
      - .address_space:  global
        .offset:         24
        .size:           8
        .value_kind:     global_buffer
      - .offset:         32
        .size:           4
        .value_kind:     by_value
      - .offset:         36
        .size:           1
        .value_kind:     by_value
      - .offset:         40
        .size:           4
        .value_kind:     by_value
      - .offset:         44
        .size:           4
        .value_kind:     by_value
      - .offset:         48
        .size:           4
        .value_kind:     hidden_block_count_x
      - .offset:         52
        .size:           4
        .value_kind:     hidden_block_count_y
      - .offset:         56
        .size:           4
        .value_kind:     hidden_block_count_z
      - .offset:         60
        .size:           2
        .value_kind:     hidden_group_size_x
      - .offset:         62
        .size:           2
        .value_kind:     hidden_group_size_y
      - .offset:         64
        .size:           2
        .value_kind:     hidden_group_size_z
      - .offset:         66
        .size:           2
        .value_kind:     hidden_remainder_x
      - .offset:         68
        .size:           2
        .value_kind:     hidden_remainder_y
      - .offset:         70
        .size:           2
        .value_kind:     hidden_remainder_z
      - .offset:         88
        .size:           8
        .value_kind:     hidden_global_offset_x
      - .offset:         96
        .size:           8
        .value_kind:     hidden_global_offset_y
      - .offset:         104
        .size:           8
        .value_kind:     hidden_global_offset_z
      - .offset:         112
        .size:           2
        .value_kind:     hidden_grid_dims
    .group_segment_fixed_size: 8192
    .kernarg_segment_align: 8
    .kernarg_segment_size: 304
    .language:       OpenCL C
    .language_version:
      - 2
      - 0
    .max_flat_workgroup_size: 256
    .name:           _ZN7rocprim17ROCPRIM_304000_NS6detail28radix_sort_block_sort_kernelINS1_36wrapped_radix_sort_block_sort_configINS0_13kernel_configILj256ELj4ELj4294967295EEEfN2at4cuda3cub6detail10OpaqueTypeILi8EEEEELb1EPKfPfPKSB_PSB_NS0_19identity_decomposerEEEvT1_T2_T3_T4_jT5_jj
    .private_segment_fixed_size: 0
    .sgpr_count:     54
    .sgpr_spill_count: 0
    .symbol:         _ZN7rocprim17ROCPRIM_304000_NS6detail28radix_sort_block_sort_kernelINS1_36wrapped_radix_sort_block_sort_configINS0_13kernel_configILj256ELj4ELj4294967295EEEfN2at4cuda3cub6detail10OpaqueTypeILi8EEEEELb1EPKfPfPKSB_PSB_NS0_19identity_decomposerEEEvT1_T2_T3_T4_jT5_jj.kd
    .uniform_work_group_size: 1
    .uses_dynamic_stack: false
    .vgpr_count:     54
    .vgpr_spill_count: 0
    .wavefront_size: 64
  - .agpr_count:     0
    .args:           []
    .group_segment_fixed_size: 0
    .kernarg_segment_align: 4
    .kernarg_segment_size: 0
    .language:       OpenCL C
    .language_version:
      - 2
      - 0
    .max_flat_workgroup_size: 1024
    .name:           _ZN7rocprim17ROCPRIM_304000_NS6detail39device_merge_sort_compile_time_verifierINS1_36wrapped_merge_sort_block_sort_configINS1_28merge_sort_block_sort_configILj256ELj4ELNS0_20block_sort_algorithmE0EEEfN2at4cuda3cub6detail10OpaqueTypeILi8EEEEENS1_37wrapped_merge_sort_block_merge_configINS0_14default_configEfSC_EEEEvv
    .private_segment_fixed_size: 0
    .sgpr_count:     6
    .sgpr_spill_count: 0
    .symbol:         _ZN7rocprim17ROCPRIM_304000_NS6detail39device_merge_sort_compile_time_verifierINS1_36wrapped_merge_sort_block_sort_configINS1_28merge_sort_block_sort_configILj256ELj4ELNS0_20block_sort_algorithmE0EEEfN2at4cuda3cub6detail10OpaqueTypeILi8EEEEENS1_37wrapped_merge_sort_block_merge_configINS0_14default_configEfSC_EEEEvv.kd
    .uniform_work_group_size: 1
    .uses_dynamic_stack: false
    .vgpr_count:     0
    .vgpr_spill_count: 0
    .wavefront_size: 64
  - .agpr_count:     0
    .args:
      - .address_space:  global
        .offset:         0
        .size:           8
        .value_kind:     global_buffer
      - .offset:         8
        .size:           4
        .value_kind:     by_value
      - .offset:         12
        .size:           4
        .value_kind:     by_value
      - .address_space:  global
        .offset:         16
        .size:           8
        .value_kind:     global_buffer
      - .offset:         24
        .size:           1
        .value_kind:     by_value
      - .offset:         28
        .size:           4
        .value_kind:     by_value
    .group_segment_fixed_size: 0
    .kernarg_segment_align: 8
    .kernarg_segment_size: 32
    .language:       OpenCL C
    .language_version:
      - 2
      - 0
    .max_flat_workgroup_size: 128
    .name:           _ZN7rocprim17ROCPRIM_304000_NS6detail45device_block_merge_mergepath_partition_kernelINS1_37wrapped_merge_sort_block_merge_configINS0_14default_configEfN2at4cuda3cub6detail10OpaqueTypeILi8EEEEEPfjNS1_19radix_merge_compareILb1ELb0EfNS0_19identity_decomposerEEEEEvT0_T1_jPSH_T2_SH_
    .private_segment_fixed_size: 0
    .sgpr_count:     14
    .sgpr_spill_count: 0
    .symbol:         _ZN7rocprim17ROCPRIM_304000_NS6detail45device_block_merge_mergepath_partition_kernelINS1_37wrapped_merge_sort_block_merge_configINS0_14default_configEfN2at4cuda3cub6detail10OpaqueTypeILi8EEEEEPfjNS1_19radix_merge_compareILb1ELb0EfNS0_19identity_decomposerEEEEEvT0_T1_jPSH_T2_SH_.kd
    .uniform_work_group_size: 1
    .uses_dynamic_stack: false
    .vgpr_count:     17
    .vgpr_spill_count: 0
    .wavefront_size: 64
  - .agpr_count:     0
    .args:
      - .address_space:  global
        .offset:         0
        .size:           8
        .value_kind:     global_buffer
      - .address_space:  global
        .offset:         8
        .size:           8
        .value_kind:     global_buffer
      - .address_space:  global
        .offset:         16
        .size:           8
        .value_kind:     global_buffer
      - .address_space:  global
        .offset:         24
        .size:           8
        .value_kind:     global_buffer
      - .offset:         32
        .size:           4
        .value_kind:     by_value
      - .offset:         36
        .size:           4
        .value_kind:     by_value
      - .offset:         40
        .size:           4
        .value_kind:     by_value
      - .offset:         44
        .size:           1
        .value_kind:     by_value
      - .address_space:  global
        .offset:         48
        .size:           8
        .value_kind:     global_buffer
      - .address_space:  global
        .offset:         56
        .size:           8
        .value_kind:     global_buffer
      - .offset:         64
        .size:           4
        .value_kind:     hidden_block_count_x
      - .offset:         68
        .size:           4
        .value_kind:     hidden_block_count_y
      - .offset:         72
        .size:           4
        .value_kind:     hidden_block_count_z
      - .offset:         76
        .size:           2
        .value_kind:     hidden_group_size_x
      - .offset:         78
        .size:           2
        .value_kind:     hidden_group_size_y
      - .offset:         80
        .size:           2
        .value_kind:     hidden_group_size_z
      - .offset:         82
        .size:           2
        .value_kind:     hidden_remainder_x
      - .offset:         84
        .size:           2
        .value_kind:     hidden_remainder_y
      - .offset:         86
        .size:           2
        .value_kind:     hidden_remainder_z
      - .offset:         104
        .size:           8
        .value_kind:     hidden_global_offset_x
      - .offset:         112
        .size:           8
        .value_kind:     hidden_global_offset_y
      - .offset:         120
        .size:           8
        .value_kind:     hidden_global_offset_z
      - .offset:         128
        .size:           2
        .value_kind:     hidden_grid_dims
    .group_segment_fixed_size: 8208
    .kernarg_segment_align: 8
    .kernarg_segment_size: 320
    .language:       OpenCL C
    .language_version:
      - 2
      - 0
    .max_flat_workgroup_size: 128
    .name:           _ZN7rocprim17ROCPRIM_304000_NS6detail35device_block_merge_mergepath_kernelINS1_37wrapped_merge_sort_block_merge_configINS0_14default_configEfN2at4cuda3cub6detail10OpaqueTypeILi8EEEEEPfSC_PSA_SD_jNS1_19radix_merge_compareILb1ELb0EfNS0_19identity_decomposerEEEEEvT0_T1_T2_T3_T4_SL_jT5_PKSL_NS1_7vsmem_tE
    .private_segment_fixed_size: 0
    .sgpr_count:     46
    .sgpr_spill_count: 0
    .symbol:         _ZN7rocprim17ROCPRIM_304000_NS6detail35device_block_merge_mergepath_kernelINS1_37wrapped_merge_sort_block_merge_configINS0_14default_configEfN2at4cuda3cub6detail10OpaqueTypeILi8EEEEEPfSC_PSA_SD_jNS1_19radix_merge_compareILb1ELb0EfNS0_19identity_decomposerEEEEEvT0_T1_T2_T3_T4_SL_jT5_PKSL_NS1_7vsmem_tE.kd
    .uniform_work_group_size: 1
    .uses_dynamic_stack: false
    .vgpr_count:     42
    .vgpr_spill_count: 0
    .wavefront_size: 64
  - .agpr_count:     0
    .args:
      - .address_space:  global
        .offset:         0
        .size:           8
        .value_kind:     global_buffer
      - .address_space:  global
        .offset:         8
        .size:           8
        .value_kind:     global_buffer
      - .address_space:  global
        .offset:         16
        .size:           8
        .value_kind:     global_buffer
      - .address_space:  global
        .offset:         24
        .size:           8
        .value_kind:     global_buffer
      - .offset:         32
        .size:           4
        .value_kind:     by_value
      - .offset:         36
        .size:           4
        .value_kind:     by_value
      - .offset:         40
        .size:           1
        .value_kind:     by_value
    .group_segment_fixed_size: 0
    .kernarg_segment_align: 8
    .kernarg_segment_size: 44
    .language:       OpenCL C
    .language_version:
      - 2
      - 0
    .max_flat_workgroup_size: 256
    .name:           _ZN7rocprim17ROCPRIM_304000_NS6detail33device_block_merge_oddeven_kernelINS1_37wrapped_merge_sort_block_merge_configINS0_14default_configEfN2at4cuda3cub6detail10OpaqueTypeILi8EEEEEPfSC_PSA_SD_jNS1_19radix_merge_compareILb1ELb0EfNS0_19identity_decomposerEEEEEvT0_T1_T2_T3_T4_SL_T5_
    .private_segment_fixed_size: 0
    .sgpr_count:     28
    .sgpr_spill_count: 0
    .symbol:         _ZN7rocprim17ROCPRIM_304000_NS6detail33device_block_merge_oddeven_kernelINS1_37wrapped_merge_sort_block_merge_configINS0_14default_configEfN2at4cuda3cub6detail10OpaqueTypeILi8EEEEEPfSC_PSA_SD_jNS1_19radix_merge_compareILb1ELb0EfNS0_19identity_decomposerEEEEEvT0_T1_T2_T3_T4_SL_T5_.kd
    .uniform_work_group_size: 1
    .uses_dynamic_stack: false
    .vgpr_count:     13
    .vgpr_spill_count: 0
    .wavefront_size: 64
  - .agpr_count:     0
    .args:
      - .address_space:  global
        .offset:         0
        .size:           8
        .value_kind:     global_buffer
      - .offset:         8
        .size:           8
        .value_kind:     by_value
      - .address_space:  global
        .offset:         16
        .size:           8
        .value_kind:     global_buffer
      - .offset:         24
        .size:           1
        .value_kind:     by_value
      - .offset:         32
        .size:           4
        .value_kind:     hidden_block_count_x
      - .offset:         36
        .size:           4
        .value_kind:     hidden_block_count_y
      - .offset:         40
        .size:           4
        .value_kind:     hidden_block_count_z
      - .offset:         44
        .size:           2
        .value_kind:     hidden_group_size_x
      - .offset:         46
        .size:           2
        .value_kind:     hidden_group_size_y
      - .offset:         48
        .size:           2
        .value_kind:     hidden_group_size_z
      - .offset:         50
        .size:           2
        .value_kind:     hidden_remainder_x
      - .offset:         52
        .size:           2
        .value_kind:     hidden_remainder_y
      - .offset:         54
        .size:           2
        .value_kind:     hidden_remainder_z
      - .offset:         72
        .size:           8
        .value_kind:     hidden_global_offset_x
      - .offset:         80
        .size:           8
        .value_kind:     hidden_global_offset_y
      - .offset:         88
        .size:           8
        .value_kind:     hidden_global_offset_z
      - .offset:         96
        .size:           2
        .value_kind:     hidden_grid_dims
    .group_segment_fixed_size: 0
    .kernarg_segment_align: 8
    .kernarg_segment_size: 288
    .language:       OpenCL C
    .language_version:
      - 2
      - 0
    .max_flat_workgroup_size: 128
    .name:           _ZN7rocprim17ROCPRIM_304000_NS6detail16transform_kernelINS1_24wrapped_transform_configINS0_14default_configEfEEfPfS6_NS0_8identityIfEEEEvT1_mT2_T3_
    .private_segment_fixed_size: 0
    .sgpr_count:     18
    .sgpr_spill_count: 0
    .symbol:         _ZN7rocprim17ROCPRIM_304000_NS6detail16transform_kernelINS1_24wrapped_transform_configINS0_14default_configEfEEfPfS6_NS0_8identityIfEEEEvT1_mT2_T3_.kd
    .uniform_work_group_size: 1
    .uses_dynamic_stack: false
    .vgpr_count:     10
    .vgpr_spill_count: 0
    .wavefront_size: 64
  - .agpr_count:     0
    .args:
      - .address_space:  global
        .offset:         0
        .size:           8
        .value_kind:     global_buffer
      - .address_space:  global
        .offset:         8
        .size:           8
        .value_kind:     global_buffer
      - .offset:         16
        .size:           8
        .value_kind:     by_value
      - .offset:         24
        .size:           8
        .value_kind:     by_value
      - .offset:         32
        .size:           1
        .value_kind:     by_value
      - .offset:         36
        .size:           4
        .value_kind:     by_value
      - .offset:         40
        .size:           4
        .value_kind:     by_value
    .group_segment_fixed_size: 16384
    .kernarg_segment_align: 8
    .kernarg_segment_size: 44
    .language:       OpenCL C
    .language_version:
      - 2
      - 0
    .max_flat_workgroup_size: 1024
    .name:           _ZN7rocprim17ROCPRIM_304000_NS6detail26onesweep_histograms_kernelINS1_34wrapped_radix_sort_onesweep_configINS0_14default_configEfN2at4cuda3cub6detail10OpaqueTypeILi8EEEEELb1EPKfmNS0_19identity_decomposerEEEvT1_PT2_SG_SG_T3_jj
    .private_segment_fixed_size: 0
    .sgpr_count:     32
    .sgpr_spill_count: 0
    .symbol:         _ZN7rocprim17ROCPRIM_304000_NS6detail26onesweep_histograms_kernelINS1_34wrapped_radix_sort_onesweep_configINS0_14default_configEfN2at4cuda3cub6detail10OpaqueTypeILi8EEEEELb1EPKfmNS0_19identity_decomposerEEEvT1_PT2_SG_SG_T3_jj.kd
    .uniform_work_group_size: 1
    .uses_dynamic_stack: false
    .vgpr_count:     20
    .vgpr_spill_count: 0
    .wavefront_size: 64
  - .agpr_count:     0
    .args:
      - .address_space:  global
        .offset:         0
        .size:           8
        .value_kind:     global_buffer
    .group_segment_fixed_size: 128
    .kernarg_segment_align: 8
    .kernarg_segment_size: 8
    .language:       OpenCL C
    .language_version:
      - 2
      - 0
    .max_flat_workgroup_size: 1024
    .name:           _ZN7rocprim17ROCPRIM_304000_NS6detail31onesweep_scan_histograms_kernelINS1_34wrapped_radix_sort_onesweep_configINS0_14default_configEfN2at4cuda3cub6detail10OpaqueTypeILi8EEEEEmEEvPT0_
    .private_segment_fixed_size: 0
    .sgpr_count:     24
    .sgpr_spill_count: 0
    .symbol:         _ZN7rocprim17ROCPRIM_304000_NS6detail31onesweep_scan_histograms_kernelINS1_34wrapped_radix_sort_onesweep_configINS0_14default_configEfN2at4cuda3cub6detail10OpaqueTypeILi8EEEEEmEEvPT0_.kd
    .uniform_work_group_size: 1
    .uses_dynamic_stack: false
    .vgpr_count:     16
    .vgpr_spill_count: 0
    .wavefront_size: 64
  - .agpr_count:     0
    .args:
      - .address_space:  global
        .offset:         0
        .size:           8
        .value_kind:     global_buffer
      - .offset:         8
        .size:           8
        .value_kind:     by_value
      - .address_space:  global
        .offset:         16
        .size:           8
        .value_kind:     global_buffer
      - .offset:         24
        .size:           1
        .value_kind:     by_value
      - .offset:         32
        .size:           4
        .value_kind:     hidden_block_count_x
      - .offset:         36
        .size:           4
        .value_kind:     hidden_block_count_y
      - .offset:         40
        .size:           4
        .value_kind:     hidden_block_count_z
      - .offset:         44
        .size:           2
        .value_kind:     hidden_group_size_x
      - .offset:         46
        .size:           2
        .value_kind:     hidden_group_size_y
      - .offset:         48
        .size:           2
        .value_kind:     hidden_group_size_z
      - .offset:         50
        .size:           2
        .value_kind:     hidden_remainder_x
      - .offset:         52
        .size:           2
        .value_kind:     hidden_remainder_y
      - .offset:         54
        .size:           2
        .value_kind:     hidden_remainder_z
      - .offset:         72
        .size:           8
        .value_kind:     hidden_global_offset_x
      - .offset:         80
        .size:           8
        .value_kind:     hidden_global_offset_y
      - .offset:         88
        .size:           8
        .value_kind:     hidden_global_offset_z
      - .offset:         96
        .size:           2
        .value_kind:     hidden_grid_dims
    .group_segment_fixed_size: 0
    .kernarg_segment_align: 8
    .kernarg_segment_size: 288
    .language:       OpenCL C
    .language_version:
      - 2
      - 0
    .max_flat_workgroup_size: 128
    .name:           _ZN7rocprim17ROCPRIM_304000_NS6detail16transform_kernelINS1_24wrapped_transform_configINS0_14default_configEfEEfPKfPfNS0_8identityIfEEEEvT1_mT2_T3_
    .private_segment_fixed_size: 0
    .sgpr_count:     18
    .sgpr_spill_count: 0
    .symbol:         _ZN7rocprim17ROCPRIM_304000_NS6detail16transform_kernelINS1_24wrapped_transform_configINS0_14default_configEfEEfPKfPfNS0_8identityIfEEEEvT1_mT2_T3_.kd
    .uniform_work_group_size: 1
    .uses_dynamic_stack: false
    .vgpr_count:     10
    .vgpr_spill_count: 0
    .wavefront_size: 64
  - .agpr_count:     0
    .args:
      - .address_space:  global
        .offset:         0
        .size:           8
        .value_kind:     global_buffer
      - .address_space:  global
        .offset:         8
        .size:           8
        .value_kind:     global_buffer
      - .address_space:  global
        .offset:         16
        .size:           8
        .value_kind:     global_buffer
      - .address_space:  global
        .offset:         24
        .size:           8
        .value_kind:     global_buffer
      - .offset:         32
        .size:           4
        .value_kind:     by_value
      - .address_space:  global
        .offset:         40
        .size:           8
        .value_kind:     global_buffer
      - .address_space:  global
        .offset:         48
        .size:           8
        .value_kind:     global_buffer
      - .address_space:  global
        .offset:         56
        .size:           8
        .value_kind:     global_buffer
      - .offset:         64
        .size:           1
        .value_kind:     by_value
      - .offset:         68
        .size:           4
        .value_kind:     by_value
      - .offset:         72
        .size:           4
        .value_kind:     by_value
      - .offset:         76
        .size:           4
        .value_kind:     by_value
      - .offset:         80
        .size:           4
        .value_kind:     hidden_block_count_x
      - .offset:         84
        .size:           4
        .value_kind:     hidden_block_count_y
      - .offset:         88
        .size:           4
        .value_kind:     hidden_block_count_z
      - .offset:         92
        .size:           2
        .value_kind:     hidden_group_size_x
      - .offset:         94
        .size:           2
        .value_kind:     hidden_group_size_y
      - .offset:         96
        .size:           2
        .value_kind:     hidden_group_size_z
      - .offset:         98
        .size:           2
        .value_kind:     hidden_remainder_x
      - .offset:         100
        .size:           2
        .value_kind:     hidden_remainder_y
      - .offset:         102
        .size:           2
        .value_kind:     hidden_remainder_z
      - .offset:         120
        .size:           8
        .value_kind:     hidden_global_offset_x
      - .offset:         128
        .size:           8
        .value_kind:     hidden_global_offset_y
      - .offset:         136
        .size:           8
        .value_kind:     hidden_global_offset_z
      - .offset:         144
        .size:           2
        .value_kind:     hidden_grid_dims
    .group_segment_fixed_size: 51200
    .kernarg_segment_align: 8
    .kernarg_segment_size: 336
    .language:       OpenCL C
    .language_version:
      - 2
      - 0
    .max_flat_workgroup_size: 1024
    .name:           _ZN7rocprim17ROCPRIM_304000_NS6detail25onesweep_iteration_kernelINS1_34wrapped_radix_sort_onesweep_configINS0_14default_configEfN2at4cuda3cub6detail10OpaqueTypeILi8EEEEELb1EPKfPfPKSA_PSA_mNS0_19identity_decomposerEEEvT1_T2_T3_T4_jPT5_SO_PNS1_23onesweep_lookback_stateET6_jjj
    .private_segment_fixed_size: 0
    .sgpr_count:     59
    .sgpr_spill_count: 0
    .symbol:         _ZN7rocprim17ROCPRIM_304000_NS6detail25onesweep_iteration_kernelINS1_34wrapped_radix_sort_onesweep_configINS0_14default_configEfN2at4cuda3cub6detail10OpaqueTypeILi8EEEEELb1EPKfPfPKSA_PSA_mNS0_19identity_decomposerEEEvT1_T2_T3_T4_jPT5_SO_PNS1_23onesweep_lookback_stateET6_jjj.kd
    .uniform_work_group_size: 1
    .uses_dynamic_stack: false
    .vgpr_count:     58
    .vgpr_spill_count: 0
    .wavefront_size: 64
  - .agpr_count:     0
    .args:
      - .address_space:  global
        .offset:         0
        .size:           8
        .value_kind:     global_buffer
      - .address_space:  global
        .offset:         8
        .size:           8
        .value_kind:     global_buffer
      - .address_space:  global
        .offset:         16
        .size:           8
        .value_kind:     global_buffer
      - .address_space:  global
        .offset:         24
        .size:           8
        .value_kind:     global_buffer
      - .offset:         32
        .size:           4
        .value_kind:     by_value
      - .address_space:  global
        .offset:         40
        .size:           8
        .value_kind:     global_buffer
      - .address_space:  global
        .offset:         48
        .size:           8
        .value_kind:     global_buffer
      - .address_space:  global
        .offset:         56
        .size:           8
        .value_kind:     global_buffer
      - .offset:         64
        .size:           1
        .value_kind:     by_value
      - .offset:         68
        .size:           4
        .value_kind:     by_value
      - .offset:         72
        .size:           4
        .value_kind:     by_value
      - .offset:         76
        .size:           4
        .value_kind:     by_value
      - .offset:         80
        .size:           4
        .value_kind:     hidden_block_count_x
      - .offset:         84
        .size:           4
        .value_kind:     hidden_block_count_y
      - .offset:         88
        .size:           4
        .value_kind:     hidden_block_count_z
      - .offset:         92
        .size:           2
        .value_kind:     hidden_group_size_x
      - .offset:         94
        .size:           2
        .value_kind:     hidden_group_size_y
      - .offset:         96
        .size:           2
        .value_kind:     hidden_group_size_z
      - .offset:         98
        .size:           2
        .value_kind:     hidden_remainder_x
      - .offset:         100
        .size:           2
        .value_kind:     hidden_remainder_y
      - .offset:         102
        .size:           2
        .value_kind:     hidden_remainder_z
      - .offset:         120
        .size:           8
        .value_kind:     hidden_global_offset_x
      - .offset:         128
        .size:           8
        .value_kind:     hidden_global_offset_y
      - .offset:         136
        .size:           8
        .value_kind:     hidden_global_offset_z
      - .offset:         144
        .size:           2
        .value_kind:     hidden_grid_dims
    .group_segment_fixed_size: 51200
    .kernarg_segment_align: 8
    .kernarg_segment_size: 336
    .language:       OpenCL C
    .language_version:
      - 2
      - 0
    .max_flat_workgroup_size: 1024
    .name:           _ZN7rocprim17ROCPRIM_304000_NS6detail25onesweep_iteration_kernelINS1_34wrapped_radix_sort_onesweep_configINS0_14default_configEfN2at4cuda3cub6detail10OpaqueTypeILi8EEEEELb1EPfSC_PSA_SD_mNS0_19identity_decomposerEEEvT1_T2_T3_T4_jPT5_SK_PNS1_23onesweep_lookback_stateET6_jjj
    .private_segment_fixed_size: 0
    .sgpr_count:     59
    .sgpr_spill_count: 0
    .symbol:         _ZN7rocprim17ROCPRIM_304000_NS6detail25onesweep_iteration_kernelINS1_34wrapped_radix_sort_onesweep_configINS0_14default_configEfN2at4cuda3cub6detail10OpaqueTypeILi8EEEEELb1EPfSC_PSA_SD_mNS0_19identity_decomposerEEEvT1_T2_T3_T4_jPT5_SK_PNS1_23onesweep_lookback_stateET6_jjj.kd
    .uniform_work_group_size: 1
    .uses_dynamic_stack: false
    .vgpr_count:     58
    .vgpr_spill_count: 0
    .wavefront_size: 64
  - .agpr_count:     0
    .args:
      - .address_space:  global
        .offset:         0
        .size:           8
        .value_kind:     global_buffer
      - .address_space:  global
        .offset:         8
        .size:           8
        .value_kind:     global_buffer
      - .address_space:  global
        .offset:         16
        .size:           8
        .value_kind:     global_buffer
      - .address_space:  global
        .offset:         24
        .size:           8
        .value_kind:     global_buffer
      - .offset:         32
        .size:           4
        .value_kind:     by_value
      - .offset:         36
        .size:           1
        .value_kind:     by_value
      - .offset:         40
        .size:           4
        .value_kind:     by_value
      - .offset:         44
        .size:           4
        .value_kind:     by_value
      - .offset:         48
        .size:           4
        .value_kind:     hidden_block_count_x
      - .offset:         52
        .size:           4
        .value_kind:     hidden_block_count_y
      - .offset:         56
        .size:           4
        .value_kind:     hidden_block_count_z
      - .offset:         60
        .size:           2
        .value_kind:     hidden_group_size_x
      - .offset:         62
        .size:           2
        .value_kind:     hidden_group_size_y
      - .offset:         64
        .size:           2
        .value_kind:     hidden_group_size_z
      - .offset:         66
        .size:           2
        .value_kind:     hidden_remainder_x
      - .offset:         68
        .size:           2
        .value_kind:     hidden_remainder_y
      - .offset:         70
        .size:           2
        .value_kind:     hidden_remainder_z
      - .offset:         88
        .size:           8
        .value_kind:     hidden_global_offset_x
      - .offset:         96
        .size:           8
        .value_kind:     hidden_global_offset_y
      - .offset:         104
        .size:           8
        .value_kind:     hidden_global_offset_z
      - .offset:         112
        .size:           2
        .value_kind:     hidden_grid_dims
    .group_segment_fixed_size: 8192
    .kernarg_segment_align: 8
    .kernarg_segment_size: 304
    .language:       OpenCL C
    .language_version:
      - 2
      - 0
    .max_flat_workgroup_size: 256
    .name:           _ZN7rocprim17ROCPRIM_304000_NS6detail28radix_sort_block_sort_kernelINS1_36wrapped_radix_sort_block_sort_configINS0_13kernel_configILj256ELj4ELj4294967295EEEfN2at4cuda3cub6detail10OpaqueTypeILi8EEEEELb0EPKfPfPKSB_PSB_NS0_19identity_decomposerEEEvT1_T2_T3_T4_jT5_jj
    .private_segment_fixed_size: 0
    .sgpr_count:     54
    .sgpr_spill_count: 0
    .symbol:         _ZN7rocprim17ROCPRIM_304000_NS6detail28radix_sort_block_sort_kernelINS1_36wrapped_radix_sort_block_sort_configINS0_13kernel_configILj256ELj4ELj4294967295EEEfN2at4cuda3cub6detail10OpaqueTypeILi8EEEEELb0EPKfPfPKSB_PSB_NS0_19identity_decomposerEEEvT1_T2_T3_T4_jT5_jj.kd
    .uniform_work_group_size: 1
    .uses_dynamic_stack: false
    .vgpr_count:     54
    .vgpr_spill_count: 0
    .wavefront_size: 64
  - .agpr_count:     0
    .args:
      - .address_space:  global
        .offset:         0
        .size:           8
        .value_kind:     global_buffer
      - .offset:         8
        .size:           4
        .value_kind:     by_value
      - .offset:         12
        .size:           4
        .value_kind:     by_value
      - .address_space:  global
        .offset:         16
        .size:           8
        .value_kind:     global_buffer
      - .offset:         24
        .size:           1
        .value_kind:     by_value
      - .offset:         28
        .size:           4
        .value_kind:     by_value
    .group_segment_fixed_size: 0
    .kernarg_segment_align: 8
    .kernarg_segment_size: 32
    .language:       OpenCL C
    .language_version:
      - 2
      - 0
    .max_flat_workgroup_size: 128
    .name:           _ZN7rocprim17ROCPRIM_304000_NS6detail45device_block_merge_mergepath_partition_kernelINS1_37wrapped_merge_sort_block_merge_configINS0_14default_configEfN2at4cuda3cub6detail10OpaqueTypeILi8EEEEEPfjNS1_19radix_merge_compareILb0ELb0EfNS0_19identity_decomposerEEEEEvT0_T1_jPSH_T2_SH_
    .private_segment_fixed_size: 0
    .sgpr_count:     14
    .sgpr_spill_count: 0
    .symbol:         _ZN7rocprim17ROCPRIM_304000_NS6detail45device_block_merge_mergepath_partition_kernelINS1_37wrapped_merge_sort_block_merge_configINS0_14default_configEfN2at4cuda3cub6detail10OpaqueTypeILi8EEEEEPfjNS1_19radix_merge_compareILb0ELb0EfNS0_19identity_decomposerEEEEEvT0_T1_jPSH_T2_SH_.kd
    .uniform_work_group_size: 1
    .uses_dynamic_stack: false
    .vgpr_count:     16
    .vgpr_spill_count: 0
    .wavefront_size: 64
  - .agpr_count:     0
    .args:
      - .address_space:  global
        .offset:         0
        .size:           8
        .value_kind:     global_buffer
      - .address_space:  global
        .offset:         8
        .size:           8
        .value_kind:     global_buffer
      - .address_space:  global
        .offset:         16
        .size:           8
        .value_kind:     global_buffer
      - .address_space:  global
        .offset:         24
        .size:           8
        .value_kind:     global_buffer
      - .offset:         32
        .size:           4
        .value_kind:     by_value
      - .offset:         36
        .size:           4
        .value_kind:     by_value
      - .offset:         40
        .size:           4
        .value_kind:     by_value
      - .offset:         44
        .size:           1
        .value_kind:     by_value
      - .address_space:  global
        .offset:         48
        .size:           8
        .value_kind:     global_buffer
      - .address_space:  global
        .offset:         56
        .size:           8
        .value_kind:     global_buffer
      - .offset:         64
        .size:           4
        .value_kind:     hidden_block_count_x
      - .offset:         68
        .size:           4
        .value_kind:     hidden_block_count_y
      - .offset:         72
        .size:           4
        .value_kind:     hidden_block_count_z
      - .offset:         76
        .size:           2
        .value_kind:     hidden_group_size_x
      - .offset:         78
        .size:           2
        .value_kind:     hidden_group_size_y
      - .offset:         80
        .size:           2
        .value_kind:     hidden_group_size_z
      - .offset:         82
        .size:           2
        .value_kind:     hidden_remainder_x
      - .offset:         84
        .size:           2
        .value_kind:     hidden_remainder_y
      - .offset:         86
        .size:           2
        .value_kind:     hidden_remainder_z
      - .offset:         104
        .size:           8
        .value_kind:     hidden_global_offset_x
      - .offset:         112
        .size:           8
        .value_kind:     hidden_global_offset_y
      - .offset:         120
        .size:           8
        .value_kind:     hidden_global_offset_z
      - .offset:         128
        .size:           2
        .value_kind:     hidden_grid_dims
    .group_segment_fixed_size: 8208
    .kernarg_segment_align: 8
    .kernarg_segment_size: 320
    .language:       OpenCL C
    .language_version:
      - 2
      - 0
    .max_flat_workgroup_size: 128
    .name:           _ZN7rocprim17ROCPRIM_304000_NS6detail35device_block_merge_mergepath_kernelINS1_37wrapped_merge_sort_block_merge_configINS0_14default_configEfN2at4cuda3cub6detail10OpaqueTypeILi8EEEEEPfSC_PSA_SD_jNS1_19radix_merge_compareILb0ELb0EfNS0_19identity_decomposerEEEEEvT0_T1_T2_T3_T4_SL_jT5_PKSL_NS1_7vsmem_tE
    .private_segment_fixed_size: 0
    .sgpr_count:     46
    .sgpr_spill_count: 0
    .symbol:         _ZN7rocprim17ROCPRIM_304000_NS6detail35device_block_merge_mergepath_kernelINS1_37wrapped_merge_sort_block_merge_configINS0_14default_configEfN2at4cuda3cub6detail10OpaqueTypeILi8EEEEEPfSC_PSA_SD_jNS1_19radix_merge_compareILb0ELb0EfNS0_19identity_decomposerEEEEEvT0_T1_T2_T3_T4_SL_jT5_PKSL_NS1_7vsmem_tE.kd
    .uniform_work_group_size: 1
    .uses_dynamic_stack: false
    .vgpr_count:     42
    .vgpr_spill_count: 0
    .wavefront_size: 64
  - .agpr_count:     0
    .args:
      - .address_space:  global
        .offset:         0
        .size:           8
        .value_kind:     global_buffer
      - .address_space:  global
        .offset:         8
        .size:           8
        .value_kind:     global_buffer
      - .address_space:  global
        .offset:         16
        .size:           8
        .value_kind:     global_buffer
      - .address_space:  global
        .offset:         24
        .size:           8
        .value_kind:     global_buffer
      - .offset:         32
        .size:           4
        .value_kind:     by_value
      - .offset:         36
        .size:           4
        .value_kind:     by_value
      - .offset:         40
        .size:           1
        .value_kind:     by_value
    .group_segment_fixed_size: 0
    .kernarg_segment_align: 8
    .kernarg_segment_size: 44
    .language:       OpenCL C
    .language_version:
      - 2
      - 0
    .max_flat_workgroup_size: 256
    .name:           _ZN7rocprim17ROCPRIM_304000_NS6detail33device_block_merge_oddeven_kernelINS1_37wrapped_merge_sort_block_merge_configINS0_14default_configEfN2at4cuda3cub6detail10OpaqueTypeILi8EEEEEPfSC_PSA_SD_jNS1_19radix_merge_compareILb0ELb0EfNS0_19identity_decomposerEEEEEvT0_T1_T2_T3_T4_SL_T5_
    .private_segment_fixed_size: 0
    .sgpr_count:     28
    .sgpr_spill_count: 0
    .symbol:         _ZN7rocprim17ROCPRIM_304000_NS6detail33device_block_merge_oddeven_kernelINS1_37wrapped_merge_sort_block_merge_configINS0_14default_configEfN2at4cuda3cub6detail10OpaqueTypeILi8EEEEEPfSC_PSA_SD_jNS1_19radix_merge_compareILb0ELb0EfNS0_19identity_decomposerEEEEEvT0_T1_T2_T3_T4_SL_T5_.kd
    .uniform_work_group_size: 1
    .uses_dynamic_stack: false
    .vgpr_count:     13
    .vgpr_spill_count: 0
    .wavefront_size: 64
  - .agpr_count:     0
    .args:
      - .address_space:  global
        .offset:         0
        .size:           8
        .value_kind:     global_buffer
      - .address_space:  global
        .offset:         8
        .size:           8
        .value_kind:     global_buffer
      - .offset:         16
        .size:           8
        .value_kind:     by_value
      - .offset:         24
        .size:           8
        .value_kind:     by_value
      - .offset:         32
        .size:           1
        .value_kind:     by_value
      - .offset:         36
        .size:           4
        .value_kind:     by_value
      - .offset:         40
        .size:           4
        .value_kind:     by_value
    .group_segment_fixed_size: 16384
    .kernarg_segment_align: 8
    .kernarg_segment_size: 44
    .language:       OpenCL C
    .language_version:
      - 2
      - 0
    .max_flat_workgroup_size: 1024
    .name:           _ZN7rocprim17ROCPRIM_304000_NS6detail26onesweep_histograms_kernelINS1_34wrapped_radix_sort_onesweep_configINS0_14default_configEfN2at4cuda3cub6detail10OpaqueTypeILi8EEEEELb0EPKfmNS0_19identity_decomposerEEEvT1_PT2_SG_SG_T3_jj
    .private_segment_fixed_size: 0
    .sgpr_count:     32
    .sgpr_spill_count: 0
    .symbol:         _ZN7rocprim17ROCPRIM_304000_NS6detail26onesweep_histograms_kernelINS1_34wrapped_radix_sort_onesweep_configINS0_14default_configEfN2at4cuda3cub6detail10OpaqueTypeILi8EEEEELb0EPKfmNS0_19identity_decomposerEEEvT1_PT2_SG_SG_T3_jj.kd
    .uniform_work_group_size: 1
    .uses_dynamic_stack: false
    .vgpr_count:     20
    .vgpr_spill_count: 0
    .wavefront_size: 64
  - .agpr_count:     0
    .args:
      - .address_space:  global
        .offset:         0
        .size:           8
        .value_kind:     global_buffer
      - .address_space:  global
        .offset:         8
        .size:           8
        .value_kind:     global_buffer
      - .address_space:  global
        .offset:         16
        .size:           8
        .value_kind:     global_buffer
      - .address_space:  global
        .offset:         24
        .size:           8
        .value_kind:     global_buffer
      - .offset:         32
        .size:           4
        .value_kind:     by_value
      - .address_space:  global
        .offset:         40
        .size:           8
        .value_kind:     global_buffer
      - .address_space:  global
        .offset:         48
        .size:           8
        .value_kind:     global_buffer
      - .address_space:  global
        .offset:         56
        .size:           8
        .value_kind:     global_buffer
      - .offset:         64
        .size:           1
        .value_kind:     by_value
      - .offset:         68
        .size:           4
        .value_kind:     by_value
      - .offset:         72
        .size:           4
        .value_kind:     by_value
      - .offset:         76
        .size:           4
        .value_kind:     by_value
      - .offset:         80
        .size:           4
        .value_kind:     hidden_block_count_x
      - .offset:         84
        .size:           4
        .value_kind:     hidden_block_count_y
      - .offset:         88
        .size:           4
        .value_kind:     hidden_block_count_z
      - .offset:         92
        .size:           2
        .value_kind:     hidden_group_size_x
      - .offset:         94
        .size:           2
        .value_kind:     hidden_group_size_y
      - .offset:         96
        .size:           2
        .value_kind:     hidden_group_size_z
      - .offset:         98
        .size:           2
        .value_kind:     hidden_remainder_x
      - .offset:         100
        .size:           2
        .value_kind:     hidden_remainder_y
      - .offset:         102
        .size:           2
        .value_kind:     hidden_remainder_z
      - .offset:         120
        .size:           8
        .value_kind:     hidden_global_offset_x
      - .offset:         128
        .size:           8
        .value_kind:     hidden_global_offset_y
      - .offset:         136
        .size:           8
        .value_kind:     hidden_global_offset_z
      - .offset:         144
        .size:           2
        .value_kind:     hidden_grid_dims
    .group_segment_fixed_size: 51200
    .kernarg_segment_align: 8
    .kernarg_segment_size: 336
    .language:       OpenCL C
    .language_version:
      - 2
      - 0
    .max_flat_workgroup_size: 1024
    .name:           _ZN7rocprim17ROCPRIM_304000_NS6detail25onesweep_iteration_kernelINS1_34wrapped_radix_sort_onesweep_configINS0_14default_configEfN2at4cuda3cub6detail10OpaqueTypeILi8EEEEELb0EPKfPfPKSA_PSA_mNS0_19identity_decomposerEEEvT1_T2_T3_T4_jPT5_SO_PNS1_23onesweep_lookback_stateET6_jjj
    .private_segment_fixed_size: 0
    .sgpr_count:     59
    .sgpr_spill_count: 0
    .symbol:         _ZN7rocprim17ROCPRIM_304000_NS6detail25onesweep_iteration_kernelINS1_34wrapped_radix_sort_onesweep_configINS0_14default_configEfN2at4cuda3cub6detail10OpaqueTypeILi8EEEEELb0EPKfPfPKSA_PSA_mNS0_19identity_decomposerEEEvT1_T2_T3_T4_jPT5_SO_PNS1_23onesweep_lookback_stateET6_jjj.kd
    .uniform_work_group_size: 1
    .uses_dynamic_stack: false
    .vgpr_count:     58
    .vgpr_spill_count: 0
    .wavefront_size: 64
  - .agpr_count:     0
    .args:
      - .address_space:  global
        .offset:         0
        .size:           8
        .value_kind:     global_buffer
      - .address_space:  global
        .offset:         8
        .size:           8
        .value_kind:     global_buffer
      - .address_space:  global
        .offset:         16
        .size:           8
        .value_kind:     global_buffer
      - .address_space:  global
        .offset:         24
        .size:           8
        .value_kind:     global_buffer
      - .offset:         32
        .size:           4
        .value_kind:     by_value
      - .address_space:  global
        .offset:         40
        .size:           8
        .value_kind:     global_buffer
      - .address_space:  global
        .offset:         48
        .size:           8
        .value_kind:     global_buffer
      - .address_space:  global
        .offset:         56
        .size:           8
        .value_kind:     global_buffer
      - .offset:         64
        .size:           1
        .value_kind:     by_value
      - .offset:         68
        .size:           4
        .value_kind:     by_value
      - .offset:         72
        .size:           4
        .value_kind:     by_value
      - .offset:         76
        .size:           4
        .value_kind:     by_value
      - .offset:         80
        .size:           4
        .value_kind:     hidden_block_count_x
      - .offset:         84
        .size:           4
        .value_kind:     hidden_block_count_y
      - .offset:         88
        .size:           4
        .value_kind:     hidden_block_count_z
      - .offset:         92
        .size:           2
        .value_kind:     hidden_group_size_x
      - .offset:         94
        .size:           2
        .value_kind:     hidden_group_size_y
      - .offset:         96
        .size:           2
        .value_kind:     hidden_group_size_z
      - .offset:         98
        .size:           2
        .value_kind:     hidden_remainder_x
      - .offset:         100
        .size:           2
        .value_kind:     hidden_remainder_y
      - .offset:         102
        .size:           2
        .value_kind:     hidden_remainder_z
      - .offset:         120
        .size:           8
        .value_kind:     hidden_global_offset_x
      - .offset:         128
        .size:           8
        .value_kind:     hidden_global_offset_y
      - .offset:         136
        .size:           8
        .value_kind:     hidden_global_offset_z
      - .offset:         144
        .size:           2
        .value_kind:     hidden_grid_dims
    .group_segment_fixed_size: 51200
    .kernarg_segment_align: 8
    .kernarg_segment_size: 336
    .language:       OpenCL C
    .language_version:
      - 2
      - 0
    .max_flat_workgroup_size: 1024
    .name:           _ZN7rocprim17ROCPRIM_304000_NS6detail25onesweep_iteration_kernelINS1_34wrapped_radix_sort_onesweep_configINS0_14default_configEfN2at4cuda3cub6detail10OpaqueTypeILi8EEEEELb0EPfSC_PSA_SD_mNS0_19identity_decomposerEEEvT1_T2_T3_T4_jPT5_SK_PNS1_23onesweep_lookback_stateET6_jjj
    .private_segment_fixed_size: 0
    .sgpr_count:     59
    .sgpr_spill_count: 0
    .symbol:         _ZN7rocprim17ROCPRIM_304000_NS6detail25onesweep_iteration_kernelINS1_34wrapped_radix_sort_onesweep_configINS0_14default_configEfN2at4cuda3cub6detail10OpaqueTypeILi8EEEEELb0EPfSC_PSA_SD_mNS0_19identity_decomposerEEEvT1_T2_T3_T4_jPT5_SK_PNS1_23onesweep_lookback_stateET6_jjj.kd
    .uniform_work_group_size: 1
    .uses_dynamic_stack: false
    .vgpr_count:     58
    .vgpr_spill_count: 0
    .wavefront_size: 64
  - .agpr_count:     0
    .args:
      - .address_space:  global
        .offset:         0
        .size:           8
        .value_kind:     global_buffer
      - .address_space:  global
        .offset:         8
        .size:           8
        .value_kind:     global_buffer
      - .address_space:  global
        .offset:         16
        .size:           8
        .value_kind:     global_buffer
      - .address_space:  global
        .offset:         24
        .size:           8
        .value_kind:     global_buffer
      - .offset:         32
        .size:           4
        .value_kind:     by_value
      - .offset:         36
        .size:           1
        .value_kind:     by_value
      - .offset:         40
        .size:           4
        .value_kind:     by_value
      - .offset:         44
        .size:           4
        .value_kind:     by_value
      - .offset:         48
        .size:           4
        .value_kind:     hidden_block_count_x
      - .offset:         52
        .size:           4
        .value_kind:     hidden_block_count_y
      - .offset:         56
        .size:           4
        .value_kind:     hidden_block_count_z
      - .offset:         60
        .size:           2
        .value_kind:     hidden_group_size_x
      - .offset:         62
        .size:           2
        .value_kind:     hidden_group_size_y
      - .offset:         64
        .size:           2
        .value_kind:     hidden_group_size_z
      - .offset:         66
        .size:           2
        .value_kind:     hidden_remainder_x
      - .offset:         68
        .size:           2
        .value_kind:     hidden_remainder_y
      - .offset:         70
        .size:           2
        .value_kind:     hidden_remainder_z
      - .offset:         88
        .size:           8
        .value_kind:     hidden_global_offset_x
      - .offset:         96
        .size:           8
        .value_kind:     hidden_global_offset_y
      - .offset:         104
        .size:           8
        .value_kind:     hidden_global_offset_z
      - .offset:         112
        .size:           2
        .value_kind:     hidden_grid_dims
    .group_segment_fixed_size: 8192
    .kernarg_segment_align: 8
    .kernarg_segment_size: 304
    .language:       OpenCL C
    .language_version:
      - 2
      - 0
    .max_flat_workgroup_size: 256
    .name:           _ZN7rocprim17ROCPRIM_304000_NS6detail28radix_sort_block_sort_kernelINS1_36wrapped_radix_sort_block_sort_configINS0_13kernel_configILj256ELj4ELj4294967295EEEdN2at4cuda3cub6detail10OpaqueTypeILi8EEEEELb1EPKdPdPKSB_PSB_NS0_19identity_decomposerEEEvT1_T2_T3_T4_jT5_jj
    .private_segment_fixed_size: 0
    .sgpr_count:     52
    .sgpr_spill_count: 0
    .symbol:         _ZN7rocprim17ROCPRIM_304000_NS6detail28radix_sort_block_sort_kernelINS1_36wrapped_radix_sort_block_sort_configINS0_13kernel_configILj256ELj4ELj4294967295EEEdN2at4cuda3cub6detail10OpaqueTypeILi8EEEEELb1EPKdPdPKSB_PSB_NS0_19identity_decomposerEEEvT1_T2_T3_T4_jT5_jj.kd
    .uniform_work_group_size: 1
    .uses_dynamic_stack: false
    .vgpr_count:     50
    .vgpr_spill_count: 0
    .wavefront_size: 64
  - .agpr_count:     0
    .args:           []
    .group_segment_fixed_size: 0
    .kernarg_segment_align: 4
    .kernarg_segment_size: 0
    .language:       OpenCL C
    .language_version:
      - 2
      - 0
    .max_flat_workgroup_size: 1024
    .name:           _ZN7rocprim17ROCPRIM_304000_NS6detail39device_merge_sort_compile_time_verifierINS1_36wrapped_merge_sort_block_sort_configINS1_28merge_sort_block_sort_configILj256ELj4ELNS0_20block_sort_algorithmE0EEEdN2at4cuda3cub6detail10OpaqueTypeILi8EEEEENS1_37wrapped_merge_sort_block_merge_configINS0_14default_configEdSC_EEEEvv
    .private_segment_fixed_size: 0
    .sgpr_count:     6
    .sgpr_spill_count: 0
    .symbol:         _ZN7rocprim17ROCPRIM_304000_NS6detail39device_merge_sort_compile_time_verifierINS1_36wrapped_merge_sort_block_sort_configINS1_28merge_sort_block_sort_configILj256ELj4ELNS0_20block_sort_algorithmE0EEEdN2at4cuda3cub6detail10OpaqueTypeILi8EEEEENS1_37wrapped_merge_sort_block_merge_configINS0_14default_configEdSC_EEEEvv.kd
    .uniform_work_group_size: 1
    .uses_dynamic_stack: false
    .vgpr_count:     0
    .vgpr_spill_count: 0
    .wavefront_size: 64
  - .agpr_count:     0
    .args:
      - .address_space:  global
        .offset:         0
        .size:           8
        .value_kind:     global_buffer
      - .offset:         8
        .size:           4
        .value_kind:     by_value
      - .offset:         12
        .size:           4
        .value_kind:     by_value
      - .address_space:  global
        .offset:         16
        .size:           8
        .value_kind:     global_buffer
      - .offset:         24
        .size:           1
        .value_kind:     by_value
      - .offset:         28
        .size:           4
        .value_kind:     by_value
    .group_segment_fixed_size: 0
    .kernarg_segment_align: 8
    .kernarg_segment_size: 32
    .language:       OpenCL C
    .language_version:
      - 2
      - 0
    .max_flat_workgroup_size: 128
    .name:           _ZN7rocprim17ROCPRIM_304000_NS6detail45device_block_merge_mergepath_partition_kernelINS1_37wrapped_merge_sort_block_merge_configINS0_14default_configEdN2at4cuda3cub6detail10OpaqueTypeILi8EEEEEPdjNS1_19radix_merge_compareILb1ELb0EdNS0_19identity_decomposerEEEEEvT0_T1_jPSH_T2_SH_
    .private_segment_fixed_size: 0
    .sgpr_count:     16
    .sgpr_spill_count: 0
    .symbol:         _ZN7rocprim17ROCPRIM_304000_NS6detail45device_block_merge_mergepath_partition_kernelINS1_37wrapped_merge_sort_block_merge_configINS0_14default_configEdN2at4cuda3cub6detail10OpaqueTypeILi8EEEEEPdjNS1_19radix_merge_compareILb1ELb0EdNS0_19identity_decomposerEEEEEvT0_T1_jPSH_T2_SH_.kd
    .uniform_work_group_size: 1
    .uses_dynamic_stack: false
    .vgpr_count:     20
    .vgpr_spill_count: 0
    .wavefront_size: 64
  - .agpr_count:     0
    .args:
      - .address_space:  global
        .offset:         0
        .size:           8
        .value_kind:     global_buffer
      - .address_space:  global
        .offset:         8
        .size:           8
        .value_kind:     global_buffer
      - .address_space:  global
        .offset:         16
        .size:           8
        .value_kind:     global_buffer
      - .address_space:  global
        .offset:         24
        .size:           8
        .value_kind:     global_buffer
      - .offset:         32
        .size:           4
        .value_kind:     by_value
      - .offset:         36
        .size:           4
        .value_kind:     by_value
      - .offset:         40
        .size:           4
        .value_kind:     by_value
      - .offset:         44
        .size:           1
        .value_kind:     by_value
      - .address_space:  global
        .offset:         48
        .size:           8
        .value_kind:     global_buffer
      - .address_space:  global
        .offset:         56
        .size:           8
        .value_kind:     global_buffer
      - .offset:         64
        .size:           4
        .value_kind:     hidden_block_count_x
      - .offset:         68
        .size:           4
        .value_kind:     hidden_block_count_y
      - .offset:         72
        .size:           4
        .value_kind:     hidden_block_count_z
      - .offset:         76
        .size:           2
        .value_kind:     hidden_group_size_x
      - .offset:         78
        .size:           2
        .value_kind:     hidden_group_size_y
      - .offset:         80
        .size:           2
        .value_kind:     hidden_group_size_z
      - .offset:         82
        .size:           2
        .value_kind:     hidden_remainder_x
      - .offset:         84
        .size:           2
        .value_kind:     hidden_remainder_y
      - .offset:         86
        .size:           2
        .value_kind:     hidden_remainder_z
      - .offset:         104
        .size:           8
        .value_kind:     hidden_global_offset_x
      - .offset:         112
        .size:           8
        .value_kind:     hidden_global_offset_y
      - .offset:         120
        .size:           8
        .value_kind:     hidden_global_offset_z
      - .offset:         128
        .size:           2
        .value_kind:     hidden_grid_dims
    .group_segment_fixed_size: 8448
    .kernarg_segment_align: 8
    .kernarg_segment_size: 320
    .language:       OpenCL C
    .language_version:
      - 2
      - 0
    .max_flat_workgroup_size: 128
    .name:           _ZN7rocprim17ROCPRIM_304000_NS6detail35device_block_merge_mergepath_kernelINS1_37wrapped_merge_sort_block_merge_configINS0_14default_configEdN2at4cuda3cub6detail10OpaqueTypeILi8EEEEEPdSC_PSA_SD_jNS1_19radix_merge_compareILb1ELb0EdNS0_19identity_decomposerEEEEEvT0_T1_T2_T3_T4_SL_jT5_PKSL_NS1_7vsmem_tE
    .private_segment_fixed_size: 0
    .sgpr_count:     50
    .sgpr_spill_count: 0
    .symbol:         _ZN7rocprim17ROCPRIM_304000_NS6detail35device_block_merge_mergepath_kernelINS1_37wrapped_merge_sort_block_merge_configINS0_14default_configEdN2at4cuda3cub6detail10OpaqueTypeILi8EEEEEPdSC_PSA_SD_jNS1_19radix_merge_compareILb1ELb0EdNS0_19identity_decomposerEEEEEvT0_T1_T2_T3_T4_SL_jT5_PKSL_NS1_7vsmem_tE.kd
    .uniform_work_group_size: 1
    .uses_dynamic_stack: false
    .vgpr_count:     50
    .vgpr_spill_count: 0
    .wavefront_size: 64
  - .agpr_count:     0
    .args:
      - .address_space:  global
        .offset:         0
        .size:           8
        .value_kind:     global_buffer
      - .address_space:  global
        .offset:         8
        .size:           8
        .value_kind:     global_buffer
      - .address_space:  global
        .offset:         16
        .size:           8
        .value_kind:     global_buffer
      - .address_space:  global
        .offset:         24
        .size:           8
        .value_kind:     global_buffer
      - .offset:         32
        .size:           4
        .value_kind:     by_value
      - .offset:         36
        .size:           4
        .value_kind:     by_value
      - .offset:         40
        .size:           1
        .value_kind:     by_value
    .group_segment_fixed_size: 0
    .kernarg_segment_align: 8
    .kernarg_segment_size: 44
    .language:       OpenCL C
    .language_version:
      - 2
      - 0
    .max_flat_workgroup_size: 256
    .name:           _ZN7rocprim17ROCPRIM_304000_NS6detail33device_block_merge_oddeven_kernelINS1_37wrapped_merge_sort_block_merge_configINS0_14default_configEdN2at4cuda3cub6detail10OpaqueTypeILi8EEEEEPdSC_PSA_SD_jNS1_19radix_merge_compareILb1ELb0EdNS0_19identity_decomposerEEEEEvT0_T1_T2_T3_T4_SL_T5_
    .private_segment_fixed_size: 0
    .sgpr_count:     28
    .sgpr_spill_count: 0
    .symbol:         _ZN7rocprim17ROCPRIM_304000_NS6detail33device_block_merge_oddeven_kernelINS1_37wrapped_merge_sort_block_merge_configINS0_14default_configEdN2at4cuda3cub6detail10OpaqueTypeILi8EEEEEPdSC_PSA_SD_jNS1_19radix_merge_compareILb1ELb0EdNS0_19identity_decomposerEEEEEvT0_T1_T2_T3_T4_SL_T5_.kd
    .uniform_work_group_size: 1
    .uses_dynamic_stack: false
    .vgpr_count:     17
    .vgpr_spill_count: 0
    .wavefront_size: 64
  - .agpr_count:     0
    .args:
      - .address_space:  global
        .offset:         0
        .size:           8
        .value_kind:     global_buffer
      - .offset:         8
        .size:           8
        .value_kind:     by_value
      - .address_space:  global
        .offset:         16
        .size:           8
        .value_kind:     global_buffer
      - .offset:         24
        .size:           1
        .value_kind:     by_value
      - .offset:         32
        .size:           4
        .value_kind:     hidden_block_count_x
      - .offset:         36
        .size:           4
        .value_kind:     hidden_block_count_y
      - .offset:         40
        .size:           4
        .value_kind:     hidden_block_count_z
      - .offset:         44
        .size:           2
        .value_kind:     hidden_group_size_x
      - .offset:         46
        .size:           2
        .value_kind:     hidden_group_size_y
      - .offset:         48
        .size:           2
        .value_kind:     hidden_group_size_z
      - .offset:         50
        .size:           2
        .value_kind:     hidden_remainder_x
      - .offset:         52
        .size:           2
        .value_kind:     hidden_remainder_y
      - .offset:         54
        .size:           2
        .value_kind:     hidden_remainder_z
      - .offset:         72
        .size:           8
        .value_kind:     hidden_global_offset_x
      - .offset:         80
        .size:           8
        .value_kind:     hidden_global_offset_y
      - .offset:         88
        .size:           8
        .value_kind:     hidden_global_offset_z
      - .offset:         96
        .size:           2
        .value_kind:     hidden_grid_dims
    .group_segment_fixed_size: 0
    .kernarg_segment_align: 8
    .kernarg_segment_size: 288
    .language:       OpenCL C
    .language_version:
      - 2
      - 0
    .max_flat_workgroup_size: 128
    .name:           _ZN7rocprim17ROCPRIM_304000_NS6detail16transform_kernelINS1_24wrapped_transform_configINS0_14default_configEdEEdPdS6_NS0_8identityIdEEEEvT1_mT2_T3_
    .private_segment_fixed_size: 0
    .sgpr_count:     16
    .sgpr_spill_count: 0
    .symbol:         _ZN7rocprim17ROCPRIM_304000_NS6detail16transform_kernelINS1_24wrapped_transform_configINS0_14default_configEdEEdPdS6_NS0_8identityIdEEEEvT1_mT2_T3_.kd
    .uniform_work_group_size: 1
    .uses_dynamic_stack: false
    .vgpr_count:     3
    .vgpr_spill_count: 0
    .wavefront_size: 64
  - .agpr_count:     0
    .args:
      - .address_space:  global
        .offset:         0
        .size:           8
        .value_kind:     global_buffer
      - .address_space:  global
        .offset:         8
        .size:           8
        .value_kind:     global_buffer
      - .offset:         16
        .size:           8
        .value_kind:     by_value
      - .offset:         24
        .size:           8
        .value_kind:     by_value
      - .offset:         32
        .size:           1
        .value_kind:     by_value
      - .offset:         36
        .size:           4
        .value_kind:     by_value
      - .offset:         40
        .size:           4
        .value_kind:     by_value
    .group_segment_fixed_size: 32768
    .kernarg_segment_align: 8
    .kernarg_segment_size: 44
    .language:       OpenCL C
    .language_version:
      - 2
      - 0
    .max_flat_workgroup_size: 1024
    .name:           _ZN7rocprim17ROCPRIM_304000_NS6detail26onesweep_histograms_kernelINS1_34wrapped_radix_sort_onesweep_configINS0_14default_configEdN2at4cuda3cub6detail10OpaqueTypeILi8EEEEELb1EPKdmNS0_19identity_decomposerEEEvT1_PT2_SG_SG_T3_jj
    .private_segment_fixed_size: 0
    .sgpr_count:     32
    .sgpr_spill_count: 0
    .symbol:         _ZN7rocprim17ROCPRIM_304000_NS6detail26onesweep_histograms_kernelINS1_34wrapped_radix_sort_onesweep_configINS0_14default_configEdN2at4cuda3cub6detail10OpaqueTypeILi8EEEEELb1EPKdmNS0_19identity_decomposerEEEvT1_PT2_SG_SG_T3_jj.kd
    .uniform_work_group_size: 1
    .uses_dynamic_stack: false
    .vgpr_count:     24
    .vgpr_spill_count: 0
    .wavefront_size: 64
  - .agpr_count:     0
    .args:
      - .address_space:  global
        .offset:         0
        .size:           8
        .value_kind:     global_buffer
    .group_segment_fixed_size: 128
    .kernarg_segment_align: 8
    .kernarg_segment_size: 8
    .language:       OpenCL C
    .language_version:
      - 2
      - 0
    .max_flat_workgroup_size: 1024
    .name:           _ZN7rocprim17ROCPRIM_304000_NS6detail31onesweep_scan_histograms_kernelINS1_34wrapped_radix_sort_onesweep_configINS0_14default_configEdN2at4cuda3cub6detail10OpaqueTypeILi8EEEEEmEEvPT0_
    .private_segment_fixed_size: 0
    .sgpr_count:     24
    .sgpr_spill_count: 0
    .symbol:         _ZN7rocprim17ROCPRIM_304000_NS6detail31onesweep_scan_histograms_kernelINS1_34wrapped_radix_sort_onesweep_configINS0_14default_configEdN2at4cuda3cub6detail10OpaqueTypeILi8EEEEEmEEvPT0_.kd
    .uniform_work_group_size: 1
    .uses_dynamic_stack: false
    .vgpr_count:     16
    .vgpr_spill_count: 0
    .wavefront_size: 64
  - .agpr_count:     0
    .args:
      - .address_space:  global
        .offset:         0
        .size:           8
        .value_kind:     global_buffer
      - .offset:         8
        .size:           8
        .value_kind:     by_value
      - .address_space:  global
        .offset:         16
        .size:           8
        .value_kind:     global_buffer
      - .offset:         24
        .size:           1
        .value_kind:     by_value
      - .offset:         32
        .size:           4
        .value_kind:     hidden_block_count_x
      - .offset:         36
        .size:           4
        .value_kind:     hidden_block_count_y
      - .offset:         40
        .size:           4
        .value_kind:     hidden_block_count_z
      - .offset:         44
        .size:           2
        .value_kind:     hidden_group_size_x
      - .offset:         46
        .size:           2
        .value_kind:     hidden_group_size_y
      - .offset:         48
        .size:           2
        .value_kind:     hidden_group_size_z
      - .offset:         50
        .size:           2
        .value_kind:     hidden_remainder_x
      - .offset:         52
        .size:           2
        .value_kind:     hidden_remainder_y
      - .offset:         54
        .size:           2
        .value_kind:     hidden_remainder_z
      - .offset:         72
        .size:           8
        .value_kind:     hidden_global_offset_x
      - .offset:         80
        .size:           8
        .value_kind:     hidden_global_offset_y
      - .offset:         88
        .size:           8
        .value_kind:     hidden_global_offset_z
      - .offset:         96
        .size:           2
        .value_kind:     hidden_grid_dims
    .group_segment_fixed_size: 0
    .kernarg_segment_align: 8
    .kernarg_segment_size: 288
    .language:       OpenCL C
    .language_version:
      - 2
      - 0
    .max_flat_workgroup_size: 128
    .name:           _ZN7rocprim17ROCPRIM_304000_NS6detail16transform_kernelINS1_24wrapped_transform_configINS0_14default_configEdEEdPKdPdNS0_8identityIdEEEEvT1_mT2_T3_
    .private_segment_fixed_size: 0
    .sgpr_count:     16
    .sgpr_spill_count: 0
    .symbol:         _ZN7rocprim17ROCPRIM_304000_NS6detail16transform_kernelINS1_24wrapped_transform_configINS0_14default_configEdEEdPKdPdNS0_8identityIdEEEEvT1_mT2_T3_.kd
    .uniform_work_group_size: 1
    .uses_dynamic_stack: false
    .vgpr_count:     3
    .vgpr_spill_count: 0
    .wavefront_size: 64
  - .agpr_count:     0
    .args:
      - .address_space:  global
        .offset:         0
        .size:           8
        .value_kind:     global_buffer
      - .address_space:  global
        .offset:         8
        .size:           8
        .value_kind:     global_buffer
      - .address_space:  global
        .offset:         16
        .size:           8
        .value_kind:     global_buffer
      - .address_space:  global
        .offset:         24
        .size:           8
        .value_kind:     global_buffer
      - .offset:         32
        .size:           4
        .value_kind:     by_value
      - .address_space:  global
        .offset:         40
        .size:           8
        .value_kind:     global_buffer
      - .address_space:  global
        .offset:         48
        .size:           8
        .value_kind:     global_buffer
      - .address_space:  global
        .offset:         56
        .size:           8
        .value_kind:     global_buffer
      - .offset:         64
        .size:           1
        .value_kind:     by_value
      - .offset:         68
        .size:           4
        .value_kind:     by_value
      - .offset:         72
        .size:           4
        .value_kind:     by_value
      - .offset:         76
        .size:           4
        .value_kind:     by_value
      - .offset:         80
        .size:           4
        .value_kind:     hidden_block_count_x
      - .offset:         84
        .size:           4
        .value_kind:     hidden_block_count_y
      - .offset:         88
        .size:           4
        .value_kind:     hidden_block_count_z
      - .offset:         92
        .size:           2
        .value_kind:     hidden_group_size_x
      - .offset:         94
        .size:           2
        .value_kind:     hidden_group_size_y
      - .offset:         96
        .size:           2
        .value_kind:     hidden_group_size_z
      - .offset:         98
        .size:           2
        .value_kind:     hidden_remainder_x
      - .offset:         100
        .size:           2
        .value_kind:     hidden_remainder_y
      - .offset:         102
        .size:           2
        .value_kind:     hidden_remainder_z
      - .offset:         120
        .size:           8
        .value_kind:     hidden_global_offset_x
      - .offset:         128
        .size:           8
        .value_kind:     hidden_global_offset_y
      - .offset:         136
        .size:           8
        .value_kind:     hidden_global_offset_z
      - .offset:         144
        .size:           2
        .value_kind:     hidden_grid_dims
    .group_segment_fixed_size: 51200
    .kernarg_segment_align: 8
    .kernarg_segment_size: 336
    .language:       OpenCL C
    .language_version:
      - 2
      - 0
    .max_flat_workgroup_size: 1024
    .name:           _ZN7rocprim17ROCPRIM_304000_NS6detail25onesweep_iteration_kernelINS1_34wrapped_radix_sort_onesweep_configINS0_14default_configEdN2at4cuda3cub6detail10OpaqueTypeILi8EEEEELb1EPKdPdPKSA_PSA_mNS0_19identity_decomposerEEEvT1_T2_T3_T4_jPT5_SO_PNS1_23onesweep_lookback_stateET6_jjj
    .private_segment_fixed_size: 0
    .sgpr_count:     60
    .sgpr_spill_count: 0
    .symbol:         _ZN7rocprim17ROCPRIM_304000_NS6detail25onesweep_iteration_kernelINS1_34wrapped_radix_sort_onesweep_configINS0_14default_configEdN2at4cuda3cub6detail10OpaqueTypeILi8EEEEELb1EPKdPdPKSA_PSA_mNS0_19identity_decomposerEEEvT1_T2_T3_T4_jPT5_SO_PNS1_23onesweep_lookback_stateET6_jjj.kd
    .uniform_work_group_size: 1
    .uses_dynamic_stack: false
    .vgpr_count:     48
    .vgpr_spill_count: 0
    .wavefront_size: 64
  - .agpr_count:     0
    .args:
      - .address_space:  global
        .offset:         0
        .size:           8
        .value_kind:     global_buffer
      - .address_space:  global
        .offset:         8
        .size:           8
        .value_kind:     global_buffer
      - .address_space:  global
        .offset:         16
        .size:           8
        .value_kind:     global_buffer
      - .address_space:  global
        .offset:         24
        .size:           8
        .value_kind:     global_buffer
      - .offset:         32
        .size:           4
        .value_kind:     by_value
      - .address_space:  global
        .offset:         40
        .size:           8
        .value_kind:     global_buffer
      - .address_space:  global
        .offset:         48
        .size:           8
        .value_kind:     global_buffer
      - .address_space:  global
        .offset:         56
        .size:           8
        .value_kind:     global_buffer
      - .offset:         64
        .size:           1
        .value_kind:     by_value
      - .offset:         68
        .size:           4
        .value_kind:     by_value
      - .offset:         72
        .size:           4
        .value_kind:     by_value
      - .offset:         76
        .size:           4
        .value_kind:     by_value
      - .offset:         80
        .size:           4
        .value_kind:     hidden_block_count_x
      - .offset:         84
        .size:           4
        .value_kind:     hidden_block_count_y
      - .offset:         88
        .size:           4
        .value_kind:     hidden_block_count_z
      - .offset:         92
        .size:           2
        .value_kind:     hidden_group_size_x
      - .offset:         94
        .size:           2
        .value_kind:     hidden_group_size_y
      - .offset:         96
        .size:           2
        .value_kind:     hidden_group_size_z
      - .offset:         98
        .size:           2
        .value_kind:     hidden_remainder_x
      - .offset:         100
        .size:           2
        .value_kind:     hidden_remainder_y
      - .offset:         102
        .size:           2
        .value_kind:     hidden_remainder_z
      - .offset:         120
        .size:           8
        .value_kind:     hidden_global_offset_x
      - .offset:         128
        .size:           8
        .value_kind:     hidden_global_offset_y
      - .offset:         136
        .size:           8
        .value_kind:     hidden_global_offset_z
      - .offset:         144
        .size:           2
        .value_kind:     hidden_grid_dims
    .group_segment_fixed_size: 51200
    .kernarg_segment_align: 8
    .kernarg_segment_size: 336
    .language:       OpenCL C
    .language_version:
      - 2
      - 0
    .max_flat_workgroup_size: 1024
    .name:           _ZN7rocprim17ROCPRIM_304000_NS6detail25onesweep_iteration_kernelINS1_34wrapped_radix_sort_onesweep_configINS0_14default_configEdN2at4cuda3cub6detail10OpaqueTypeILi8EEEEELb1EPdSC_PSA_SD_mNS0_19identity_decomposerEEEvT1_T2_T3_T4_jPT5_SK_PNS1_23onesweep_lookback_stateET6_jjj
    .private_segment_fixed_size: 0
    .sgpr_count:     60
    .sgpr_spill_count: 0
    .symbol:         _ZN7rocprim17ROCPRIM_304000_NS6detail25onesweep_iteration_kernelINS1_34wrapped_radix_sort_onesweep_configINS0_14default_configEdN2at4cuda3cub6detail10OpaqueTypeILi8EEEEELb1EPdSC_PSA_SD_mNS0_19identity_decomposerEEEvT1_T2_T3_T4_jPT5_SK_PNS1_23onesweep_lookback_stateET6_jjj.kd
    .uniform_work_group_size: 1
    .uses_dynamic_stack: false
    .vgpr_count:     48
    .vgpr_spill_count: 0
    .wavefront_size: 64
  - .agpr_count:     0
    .args:
      - .address_space:  global
        .offset:         0
        .size:           8
        .value_kind:     global_buffer
      - .address_space:  global
        .offset:         8
        .size:           8
        .value_kind:     global_buffer
      - .address_space:  global
        .offset:         16
        .size:           8
        .value_kind:     global_buffer
      - .address_space:  global
        .offset:         24
        .size:           8
        .value_kind:     global_buffer
      - .offset:         32
        .size:           4
        .value_kind:     by_value
      - .offset:         36
        .size:           1
        .value_kind:     by_value
      - .offset:         40
        .size:           4
        .value_kind:     by_value
      - .offset:         44
        .size:           4
        .value_kind:     by_value
      - .offset:         48
        .size:           4
        .value_kind:     hidden_block_count_x
      - .offset:         52
        .size:           4
        .value_kind:     hidden_block_count_y
      - .offset:         56
        .size:           4
        .value_kind:     hidden_block_count_z
      - .offset:         60
        .size:           2
        .value_kind:     hidden_group_size_x
      - .offset:         62
        .size:           2
        .value_kind:     hidden_group_size_y
      - .offset:         64
        .size:           2
        .value_kind:     hidden_group_size_z
      - .offset:         66
        .size:           2
        .value_kind:     hidden_remainder_x
      - .offset:         68
        .size:           2
        .value_kind:     hidden_remainder_y
      - .offset:         70
        .size:           2
        .value_kind:     hidden_remainder_z
      - .offset:         88
        .size:           8
        .value_kind:     hidden_global_offset_x
      - .offset:         96
        .size:           8
        .value_kind:     hidden_global_offset_y
      - .offset:         104
        .size:           8
        .value_kind:     hidden_global_offset_z
      - .offset:         112
        .size:           2
        .value_kind:     hidden_grid_dims
    .group_segment_fixed_size: 8192
    .kernarg_segment_align: 8
    .kernarg_segment_size: 304
    .language:       OpenCL C
    .language_version:
      - 2
      - 0
    .max_flat_workgroup_size: 256
    .name:           _ZN7rocprim17ROCPRIM_304000_NS6detail28radix_sort_block_sort_kernelINS1_36wrapped_radix_sort_block_sort_configINS0_13kernel_configILj256ELj4ELj4294967295EEEdN2at4cuda3cub6detail10OpaqueTypeILi8EEEEELb0EPKdPdPKSB_PSB_NS0_19identity_decomposerEEEvT1_T2_T3_T4_jT5_jj
    .private_segment_fixed_size: 0
    .sgpr_count:     52
    .sgpr_spill_count: 0
    .symbol:         _ZN7rocprim17ROCPRIM_304000_NS6detail28radix_sort_block_sort_kernelINS1_36wrapped_radix_sort_block_sort_configINS0_13kernel_configILj256ELj4ELj4294967295EEEdN2at4cuda3cub6detail10OpaqueTypeILi8EEEEELb0EPKdPdPKSB_PSB_NS0_19identity_decomposerEEEvT1_T2_T3_T4_jT5_jj.kd
    .uniform_work_group_size: 1
    .uses_dynamic_stack: false
    .vgpr_count:     50
    .vgpr_spill_count: 0
    .wavefront_size: 64
  - .agpr_count:     0
    .args:
      - .address_space:  global
        .offset:         0
        .size:           8
        .value_kind:     global_buffer
      - .offset:         8
        .size:           4
        .value_kind:     by_value
      - .offset:         12
        .size:           4
        .value_kind:     by_value
      - .address_space:  global
        .offset:         16
        .size:           8
        .value_kind:     global_buffer
      - .offset:         24
        .size:           1
        .value_kind:     by_value
      - .offset:         28
        .size:           4
        .value_kind:     by_value
    .group_segment_fixed_size: 0
    .kernarg_segment_align: 8
    .kernarg_segment_size: 32
    .language:       OpenCL C
    .language_version:
      - 2
      - 0
    .max_flat_workgroup_size: 128
    .name:           _ZN7rocprim17ROCPRIM_304000_NS6detail45device_block_merge_mergepath_partition_kernelINS1_37wrapped_merge_sort_block_merge_configINS0_14default_configEdN2at4cuda3cub6detail10OpaqueTypeILi8EEEEEPdjNS1_19radix_merge_compareILb0ELb0EdNS0_19identity_decomposerEEEEEvT0_T1_jPSH_T2_SH_
    .private_segment_fixed_size: 0
    .sgpr_count:     16
    .sgpr_spill_count: 0
    .symbol:         _ZN7rocprim17ROCPRIM_304000_NS6detail45device_block_merge_mergepath_partition_kernelINS1_37wrapped_merge_sort_block_merge_configINS0_14default_configEdN2at4cuda3cub6detail10OpaqueTypeILi8EEEEEPdjNS1_19radix_merge_compareILb0ELb0EdNS0_19identity_decomposerEEEEEvT0_T1_jPSH_T2_SH_.kd
    .uniform_work_group_size: 1
    .uses_dynamic_stack: false
    .vgpr_count:     19
    .vgpr_spill_count: 0
    .wavefront_size: 64
  - .agpr_count:     0
    .args:
      - .address_space:  global
        .offset:         0
        .size:           8
        .value_kind:     global_buffer
      - .address_space:  global
        .offset:         8
        .size:           8
        .value_kind:     global_buffer
      - .address_space:  global
        .offset:         16
        .size:           8
        .value_kind:     global_buffer
      - .address_space:  global
        .offset:         24
        .size:           8
        .value_kind:     global_buffer
      - .offset:         32
        .size:           4
        .value_kind:     by_value
      - .offset:         36
        .size:           4
        .value_kind:     by_value
      - .offset:         40
        .size:           4
        .value_kind:     by_value
      - .offset:         44
        .size:           1
        .value_kind:     by_value
      - .address_space:  global
        .offset:         48
        .size:           8
        .value_kind:     global_buffer
      - .address_space:  global
        .offset:         56
        .size:           8
        .value_kind:     global_buffer
      - .offset:         64
        .size:           4
        .value_kind:     hidden_block_count_x
      - .offset:         68
        .size:           4
        .value_kind:     hidden_block_count_y
      - .offset:         72
        .size:           4
        .value_kind:     hidden_block_count_z
      - .offset:         76
        .size:           2
        .value_kind:     hidden_group_size_x
      - .offset:         78
        .size:           2
        .value_kind:     hidden_group_size_y
      - .offset:         80
        .size:           2
        .value_kind:     hidden_group_size_z
      - .offset:         82
        .size:           2
        .value_kind:     hidden_remainder_x
      - .offset:         84
        .size:           2
        .value_kind:     hidden_remainder_y
      - .offset:         86
        .size:           2
        .value_kind:     hidden_remainder_z
      - .offset:         104
        .size:           8
        .value_kind:     hidden_global_offset_x
      - .offset:         112
        .size:           8
        .value_kind:     hidden_global_offset_y
      - .offset:         120
        .size:           8
        .value_kind:     hidden_global_offset_z
      - .offset:         128
        .size:           2
        .value_kind:     hidden_grid_dims
    .group_segment_fixed_size: 8448
    .kernarg_segment_align: 8
    .kernarg_segment_size: 320
    .language:       OpenCL C
    .language_version:
      - 2
      - 0
    .max_flat_workgroup_size: 128
    .name:           _ZN7rocprim17ROCPRIM_304000_NS6detail35device_block_merge_mergepath_kernelINS1_37wrapped_merge_sort_block_merge_configINS0_14default_configEdN2at4cuda3cub6detail10OpaqueTypeILi8EEEEEPdSC_PSA_SD_jNS1_19radix_merge_compareILb0ELb0EdNS0_19identity_decomposerEEEEEvT0_T1_T2_T3_T4_SL_jT5_PKSL_NS1_7vsmem_tE
    .private_segment_fixed_size: 0
    .sgpr_count:     50
    .sgpr_spill_count: 0
    .symbol:         _ZN7rocprim17ROCPRIM_304000_NS6detail35device_block_merge_mergepath_kernelINS1_37wrapped_merge_sort_block_merge_configINS0_14default_configEdN2at4cuda3cub6detail10OpaqueTypeILi8EEEEEPdSC_PSA_SD_jNS1_19radix_merge_compareILb0ELb0EdNS0_19identity_decomposerEEEEEvT0_T1_T2_T3_T4_SL_jT5_PKSL_NS1_7vsmem_tE.kd
    .uniform_work_group_size: 1
    .uses_dynamic_stack: false
    .vgpr_count:     50
    .vgpr_spill_count: 0
    .wavefront_size: 64
  - .agpr_count:     0
    .args:
      - .address_space:  global
        .offset:         0
        .size:           8
        .value_kind:     global_buffer
      - .address_space:  global
        .offset:         8
        .size:           8
        .value_kind:     global_buffer
      - .address_space:  global
        .offset:         16
        .size:           8
        .value_kind:     global_buffer
      - .address_space:  global
        .offset:         24
        .size:           8
        .value_kind:     global_buffer
      - .offset:         32
        .size:           4
        .value_kind:     by_value
      - .offset:         36
        .size:           4
        .value_kind:     by_value
      - .offset:         40
        .size:           1
        .value_kind:     by_value
    .group_segment_fixed_size: 0
    .kernarg_segment_align: 8
    .kernarg_segment_size: 44
    .language:       OpenCL C
    .language_version:
      - 2
      - 0
    .max_flat_workgroup_size: 256
    .name:           _ZN7rocprim17ROCPRIM_304000_NS6detail33device_block_merge_oddeven_kernelINS1_37wrapped_merge_sort_block_merge_configINS0_14default_configEdN2at4cuda3cub6detail10OpaqueTypeILi8EEEEEPdSC_PSA_SD_jNS1_19radix_merge_compareILb0ELb0EdNS0_19identity_decomposerEEEEEvT0_T1_T2_T3_T4_SL_T5_
    .private_segment_fixed_size: 0
    .sgpr_count:     28
    .sgpr_spill_count: 0
    .symbol:         _ZN7rocprim17ROCPRIM_304000_NS6detail33device_block_merge_oddeven_kernelINS1_37wrapped_merge_sort_block_merge_configINS0_14default_configEdN2at4cuda3cub6detail10OpaqueTypeILi8EEEEEPdSC_PSA_SD_jNS1_19radix_merge_compareILb0ELb0EdNS0_19identity_decomposerEEEEEvT0_T1_T2_T3_T4_SL_T5_.kd
    .uniform_work_group_size: 1
    .uses_dynamic_stack: false
    .vgpr_count:     17
    .vgpr_spill_count: 0
    .wavefront_size: 64
  - .agpr_count:     0
    .args:
      - .address_space:  global
        .offset:         0
        .size:           8
        .value_kind:     global_buffer
      - .address_space:  global
        .offset:         8
        .size:           8
        .value_kind:     global_buffer
      - .offset:         16
        .size:           8
        .value_kind:     by_value
      - .offset:         24
        .size:           8
        .value_kind:     by_value
      - .offset:         32
        .size:           1
        .value_kind:     by_value
      - .offset:         36
        .size:           4
        .value_kind:     by_value
      - .offset:         40
        .size:           4
        .value_kind:     by_value
    .group_segment_fixed_size: 32768
    .kernarg_segment_align: 8
    .kernarg_segment_size: 44
    .language:       OpenCL C
    .language_version:
      - 2
      - 0
    .max_flat_workgroup_size: 1024
    .name:           _ZN7rocprim17ROCPRIM_304000_NS6detail26onesweep_histograms_kernelINS1_34wrapped_radix_sort_onesweep_configINS0_14default_configEdN2at4cuda3cub6detail10OpaqueTypeILi8EEEEELb0EPKdmNS0_19identity_decomposerEEEvT1_PT2_SG_SG_T3_jj
    .private_segment_fixed_size: 0
    .sgpr_count:     32
    .sgpr_spill_count: 0
    .symbol:         _ZN7rocprim17ROCPRIM_304000_NS6detail26onesweep_histograms_kernelINS1_34wrapped_radix_sort_onesweep_configINS0_14default_configEdN2at4cuda3cub6detail10OpaqueTypeILi8EEEEELb0EPKdmNS0_19identity_decomposerEEEvT1_PT2_SG_SG_T3_jj.kd
    .uniform_work_group_size: 1
    .uses_dynamic_stack: false
    .vgpr_count:     24
    .vgpr_spill_count: 0
    .wavefront_size: 64
  - .agpr_count:     0
    .args:
      - .address_space:  global
        .offset:         0
        .size:           8
        .value_kind:     global_buffer
      - .address_space:  global
        .offset:         8
        .size:           8
        .value_kind:     global_buffer
      - .address_space:  global
        .offset:         16
        .size:           8
        .value_kind:     global_buffer
      - .address_space:  global
        .offset:         24
        .size:           8
        .value_kind:     global_buffer
      - .offset:         32
        .size:           4
        .value_kind:     by_value
      - .address_space:  global
        .offset:         40
        .size:           8
        .value_kind:     global_buffer
      - .address_space:  global
        .offset:         48
        .size:           8
        .value_kind:     global_buffer
      - .address_space:  global
        .offset:         56
        .size:           8
        .value_kind:     global_buffer
      - .offset:         64
        .size:           1
        .value_kind:     by_value
      - .offset:         68
        .size:           4
        .value_kind:     by_value
      - .offset:         72
        .size:           4
        .value_kind:     by_value
      - .offset:         76
        .size:           4
        .value_kind:     by_value
      - .offset:         80
        .size:           4
        .value_kind:     hidden_block_count_x
      - .offset:         84
        .size:           4
        .value_kind:     hidden_block_count_y
      - .offset:         88
        .size:           4
        .value_kind:     hidden_block_count_z
      - .offset:         92
        .size:           2
        .value_kind:     hidden_group_size_x
      - .offset:         94
        .size:           2
        .value_kind:     hidden_group_size_y
      - .offset:         96
        .size:           2
        .value_kind:     hidden_group_size_z
      - .offset:         98
        .size:           2
        .value_kind:     hidden_remainder_x
      - .offset:         100
        .size:           2
        .value_kind:     hidden_remainder_y
      - .offset:         102
        .size:           2
        .value_kind:     hidden_remainder_z
      - .offset:         120
        .size:           8
        .value_kind:     hidden_global_offset_x
      - .offset:         128
        .size:           8
        .value_kind:     hidden_global_offset_y
      - .offset:         136
        .size:           8
        .value_kind:     hidden_global_offset_z
      - .offset:         144
        .size:           2
        .value_kind:     hidden_grid_dims
    .group_segment_fixed_size: 51200
    .kernarg_segment_align: 8
    .kernarg_segment_size: 336
    .language:       OpenCL C
    .language_version:
      - 2
      - 0
    .max_flat_workgroup_size: 1024
    .name:           _ZN7rocprim17ROCPRIM_304000_NS6detail25onesweep_iteration_kernelINS1_34wrapped_radix_sort_onesweep_configINS0_14default_configEdN2at4cuda3cub6detail10OpaqueTypeILi8EEEEELb0EPKdPdPKSA_PSA_mNS0_19identity_decomposerEEEvT1_T2_T3_T4_jPT5_SO_PNS1_23onesweep_lookback_stateET6_jjj
    .private_segment_fixed_size: 0
    .sgpr_count:     60
    .sgpr_spill_count: 0
    .symbol:         _ZN7rocprim17ROCPRIM_304000_NS6detail25onesweep_iteration_kernelINS1_34wrapped_radix_sort_onesweep_configINS0_14default_configEdN2at4cuda3cub6detail10OpaqueTypeILi8EEEEELb0EPKdPdPKSA_PSA_mNS0_19identity_decomposerEEEvT1_T2_T3_T4_jPT5_SO_PNS1_23onesweep_lookback_stateET6_jjj.kd
    .uniform_work_group_size: 1
    .uses_dynamic_stack: false
    .vgpr_count:     48
    .vgpr_spill_count: 0
    .wavefront_size: 64
  - .agpr_count:     0
    .args:
      - .address_space:  global
        .offset:         0
        .size:           8
        .value_kind:     global_buffer
      - .address_space:  global
        .offset:         8
        .size:           8
        .value_kind:     global_buffer
      - .address_space:  global
        .offset:         16
        .size:           8
        .value_kind:     global_buffer
      - .address_space:  global
        .offset:         24
        .size:           8
        .value_kind:     global_buffer
      - .offset:         32
        .size:           4
        .value_kind:     by_value
      - .address_space:  global
        .offset:         40
        .size:           8
        .value_kind:     global_buffer
      - .address_space:  global
        .offset:         48
        .size:           8
        .value_kind:     global_buffer
      - .address_space:  global
        .offset:         56
        .size:           8
        .value_kind:     global_buffer
      - .offset:         64
        .size:           1
        .value_kind:     by_value
      - .offset:         68
        .size:           4
        .value_kind:     by_value
      - .offset:         72
        .size:           4
        .value_kind:     by_value
      - .offset:         76
        .size:           4
        .value_kind:     by_value
      - .offset:         80
        .size:           4
        .value_kind:     hidden_block_count_x
      - .offset:         84
        .size:           4
        .value_kind:     hidden_block_count_y
      - .offset:         88
        .size:           4
        .value_kind:     hidden_block_count_z
      - .offset:         92
        .size:           2
        .value_kind:     hidden_group_size_x
      - .offset:         94
        .size:           2
        .value_kind:     hidden_group_size_y
      - .offset:         96
        .size:           2
        .value_kind:     hidden_group_size_z
      - .offset:         98
        .size:           2
        .value_kind:     hidden_remainder_x
      - .offset:         100
        .size:           2
        .value_kind:     hidden_remainder_y
      - .offset:         102
        .size:           2
        .value_kind:     hidden_remainder_z
      - .offset:         120
        .size:           8
        .value_kind:     hidden_global_offset_x
      - .offset:         128
        .size:           8
        .value_kind:     hidden_global_offset_y
      - .offset:         136
        .size:           8
        .value_kind:     hidden_global_offset_z
      - .offset:         144
        .size:           2
        .value_kind:     hidden_grid_dims
    .group_segment_fixed_size: 51200
    .kernarg_segment_align: 8
    .kernarg_segment_size: 336
    .language:       OpenCL C
    .language_version:
      - 2
      - 0
    .max_flat_workgroup_size: 1024
    .name:           _ZN7rocprim17ROCPRIM_304000_NS6detail25onesweep_iteration_kernelINS1_34wrapped_radix_sort_onesweep_configINS0_14default_configEdN2at4cuda3cub6detail10OpaqueTypeILi8EEEEELb0EPdSC_PSA_SD_mNS0_19identity_decomposerEEEvT1_T2_T3_T4_jPT5_SK_PNS1_23onesweep_lookback_stateET6_jjj
    .private_segment_fixed_size: 0
    .sgpr_count:     60
    .sgpr_spill_count: 0
    .symbol:         _ZN7rocprim17ROCPRIM_304000_NS6detail25onesweep_iteration_kernelINS1_34wrapped_radix_sort_onesweep_configINS0_14default_configEdN2at4cuda3cub6detail10OpaqueTypeILi8EEEEELb0EPdSC_PSA_SD_mNS0_19identity_decomposerEEEvT1_T2_T3_T4_jPT5_SK_PNS1_23onesweep_lookback_stateET6_jjj.kd
    .uniform_work_group_size: 1
    .uses_dynamic_stack: false
    .vgpr_count:     48
    .vgpr_spill_count: 0
    .wavefront_size: 64
  - .agpr_count:     0
    .args:
      - .address_space:  global
        .offset:         0
        .size:           8
        .value_kind:     global_buffer
      - .address_space:  global
        .offset:         8
        .size:           8
        .value_kind:     global_buffer
      - .address_space:  global
        .offset:         16
        .size:           8
        .value_kind:     global_buffer
      - .address_space:  global
        .offset:         24
        .size:           8
        .value_kind:     global_buffer
      - .offset:         32
        .size:           4
        .value_kind:     by_value
      - .offset:         36
        .size:           1
        .value_kind:     by_value
      - .offset:         40
        .size:           4
        .value_kind:     by_value
      - .offset:         44
        .size:           4
        .value_kind:     by_value
      - .offset:         48
        .size:           4
        .value_kind:     hidden_block_count_x
      - .offset:         52
        .size:           4
        .value_kind:     hidden_block_count_y
      - .offset:         56
        .size:           4
        .value_kind:     hidden_block_count_z
      - .offset:         60
        .size:           2
        .value_kind:     hidden_group_size_x
      - .offset:         62
        .size:           2
        .value_kind:     hidden_group_size_y
      - .offset:         64
        .size:           2
        .value_kind:     hidden_group_size_z
      - .offset:         66
        .size:           2
        .value_kind:     hidden_remainder_x
      - .offset:         68
        .size:           2
        .value_kind:     hidden_remainder_y
      - .offset:         70
        .size:           2
        .value_kind:     hidden_remainder_z
      - .offset:         88
        .size:           8
        .value_kind:     hidden_global_offset_x
      - .offset:         96
        .size:           8
        .value_kind:     hidden_global_offset_y
      - .offset:         104
        .size:           8
        .value_kind:     hidden_global_offset_z
      - .offset:         112
        .size:           2
        .value_kind:     hidden_grid_dims
    .group_segment_fixed_size: 8192
    .kernarg_segment_align: 8
    .kernarg_segment_size: 304
    .language:       OpenCL C
    .language_version:
      - 2
      - 0
    .max_flat_workgroup_size: 256
    .name:           _ZN7rocprim17ROCPRIM_304000_NS6detail28radix_sort_block_sort_kernelINS1_36wrapped_radix_sort_block_sort_configINS0_13kernel_configILj256ELj4ELj4294967295EEEbN2at4cuda3cub6detail10OpaqueTypeILi8EEEEELb1EPKbPbPKSB_PSB_NS0_19identity_decomposerEEEvT1_T2_T3_T4_jT5_jj
    .private_segment_fixed_size: 0
    .sgpr_count:     52
    .sgpr_spill_count: 0
    .symbol:         _ZN7rocprim17ROCPRIM_304000_NS6detail28radix_sort_block_sort_kernelINS1_36wrapped_radix_sort_block_sort_configINS0_13kernel_configILj256ELj4ELj4294967295EEEbN2at4cuda3cub6detail10OpaqueTypeILi8EEEEELb1EPKbPbPKSB_PSB_NS0_19identity_decomposerEEEvT1_T2_T3_T4_jT5_jj.kd
    .uniform_work_group_size: 1
    .uses_dynamic_stack: false
    .vgpr_count:     50
    .vgpr_spill_count: 0
    .wavefront_size: 64
  - .agpr_count:     0
    .args:           []
    .group_segment_fixed_size: 0
    .kernarg_segment_align: 4
    .kernarg_segment_size: 0
    .language:       OpenCL C
    .language_version:
      - 2
      - 0
    .max_flat_workgroup_size: 1024
    .name:           _ZN7rocprim17ROCPRIM_304000_NS6detail39device_merge_sort_compile_time_verifierINS1_36wrapped_merge_sort_block_sort_configINS1_28merge_sort_block_sort_configILj256ELj4ELNS0_20block_sort_algorithmE0EEEbN2at4cuda3cub6detail10OpaqueTypeILi8EEEEENS1_37wrapped_merge_sort_block_merge_configINS0_14default_configEbSC_EEEEvv
    .private_segment_fixed_size: 0
    .sgpr_count:     6
    .sgpr_spill_count: 0
    .symbol:         _ZN7rocprim17ROCPRIM_304000_NS6detail39device_merge_sort_compile_time_verifierINS1_36wrapped_merge_sort_block_sort_configINS1_28merge_sort_block_sort_configILj256ELj4ELNS0_20block_sort_algorithmE0EEEbN2at4cuda3cub6detail10OpaqueTypeILi8EEEEENS1_37wrapped_merge_sort_block_merge_configINS0_14default_configEbSC_EEEEvv.kd
    .uniform_work_group_size: 1
    .uses_dynamic_stack: false
    .vgpr_count:     0
    .vgpr_spill_count: 0
    .wavefront_size: 64
  - .agpr_count:     0
    .args:
      - .address_space:  global
        .offset:         0
        .size:           8
        .value_kind:     global_buffer
      - .offset:         8
        .size:           4
        .value_kind:     by_value
      - .offset:         12
        .size:           4
        .value_kind:     by_value
      - .address_space:  global
        .offset:         16
        .size:           8
        .value_kind:     global_buffer
      - .offset:         24
        .size:           1
        .value_kind:     by_value
      - .offset:         28
        .size:           4
        .value_kind:     by_value
    .group_segment_fixed_size: 0
    .kernarg_segment_align: 8
    .kernarg_segment_size: 32
    .language:       OpenCL C
    .language_version:
      - 2
      - 0
    .max_flat_workgroup_size: 128
    .name:           _ZN7rocprim17ROCPRIM_304000_NS6detail45device_block_merge_mergepath_partition_kernelINS1_37wrapped_merge_sort_block_merge_configINS0_14default_configEbN2at4cuda3cub6detail10OpaqueTypeILi8EEEEEPbjNS1_19radix_merge_compareILb1ELb0EbNS0_19identity_decomposerEEEEEvT0_T1_jPSH_T2_SH_
    .private_segment_fixed_size: 0
    .sgpr_count:     12
    .sgpr_spill_count: 0
    .symbol:         _ZN7rocprim17ROCPRIM_304000_NS6detail45device_block_merge_mergepath_partition_kernelINS1_37wrapped_merge_sort_block_merge_configINS0_14default_configEbN2at4cuda3cub6detail10OpaqueTypeILi8EEEEEPbjNS1_19radix_merge_compareILb1ELb0EbNS0_19identity_decomposerEEEEEvT0_T1_jPSH_T2_SH_.kd
    .uniform_work_group_size: 1
    .uses_dynamic_stack: false
    .vgpr_count:     17
    .vgpr_spill_count: 0
    .wavefront_size: 64
  - .agpr_count:     0
    .args:
      - .address_space:  global
        .offset:         0
        .size:           8
        .value_kind:     global_buffer
      - .address_space:  global
        .offset:         8
        .size:           8
        .value_kind:     global_buffer
      - .address_space:  global
        .offset:         16
        .size:           8
        .value_kind:     global_buffer
      - .address_space:  global
        .offset:         24
        .size:           8
        .value_kind:     global_buffer
      - .offset:         32
        .size:           4
        .value_kind:     by_value
      - .offset:         36
        .size:           4
        .value_kind:     by_value
      - .offset:         40
        .size:           4
        .value_kind:     by_value
      - .offset:         44
        .size:           1
        .value_kind:     by_value
      - .address_space:  global
        .offset:         48
        .size:           8
        .value_kind:     global_buffer
      - .address_space:  global
        .offset:         56
        .size:           8
        .value_kind:     global_buffer
      - .offset:         64
        .size:           4
        .value_kind:     hidden_block_count_x
      - .offset:         68
        .size:           4
        .value_kind:     hidden_block_count_y
      - .offset:         72
        .size:           4
        .value_kind:     hidden_block_count_z
      - .offset:         76
        .size:           2
        .value_kind:     hidden_group_size_x
      - .offset:         78
        .size:           2
        .value_kind:     hidden_group_size_y
      - .offset:         80
        .size:           2
        .value_kind:     hidden_group_size_z
      - .offset:         82
        .size:           2
        .value_kind:     hidden_remainder_x
      - .offset:         84
        .size:           2
        .value_kind:     hidden_remainder_y
      - .offset:         86
        .size:           2
        .value_kind:     hidden_remainder_z
      - .offset:         104
        .size:           8
        .value_kind:     hidden_global_offset_x
      - .offset:         112
        .size:           8
        .value_kind:     hidden_global_offset_y
      - .offset:         120
        .size:           8
        .value_kind:     hidden_global_offset_z
      - .offset:         128
        .size:           2
        .value_kind:     hidden_grid_dims
    .group_segment_fixed_size: 8208
    .kernarg_segment_align: 8
    .kernarg_segment_size: 320
    .language:       OpenCL C
    .language_version:
      - 2
      - 0
    .max_flat_workgroup_size: 512
    .name:           _ZN7rocprim17ROCPRIM_304000_NS6detail35device_block_merge_mergepath_kernelINS1_37wrapped_merge_sort_block_merge_configINS0_14default_configEbN2at4cuda3cub6detail10OpaqueTypeILi8EEEEEPbSC_PSA_SD_jNS1_19radix_merge_compareILb1ELb0EbNS0_19identity_decomposerEEEEEvT0_T1_T2_T3_T4_SL_jT5_PKSL_NS1_7vsmem_tE
    .private_segment_fixed_size: 0
    .sgpr_count:     35
    .sgpr_spill_count: 0
    .symbol:         _ZN7rocprim17ROCPRIM_304000_NS6detail35device_block_merge_mergepath_kernelINS1_37wrapped_merge_sort_block_merge_configINS0_14default_configEbN2at4cuda3cub6detail10OpaqueTypeILi8EEEEEPbSC_PSA_SD_jNS1_19radix_merge_compareILb1ELb0EbNS0_19identity_decomposerEEEEEvT0_T1_T2_T3_T4_SL_jT5_PKSL_NS1_7vsmem_tE.kd
    .uniform_work_group_size: 1
    .uses_dynamic_stack: false
    .vgpr_count:     16
    .vgpr_spill_count: 0
    .wavefront_size: 64
  - .agpr_count:     0
    .args:
      - .address_space:  global
        .offset:         0
        .size:           8
        .value_kind:     global_buffer
      - .address_space:  global
        .offset:         8
        .size:           8
        .value_kind:     global_buffer
      - .address_space:  global
        .offset:         16
        .size:           8
        .value_kind:     global_buffer
      - .address_space:  global
        .offset:         24
        .size:           8
        .value_kind:     global_buffer
      - .offset:         32
        .size:           4
        .value_kind:     by_value
      - .offset:         36
        .size:           4
        .value_kind:     by_value
      - .offset:         40
        .size:           1
        .value_kind:     by_value
    .group_segment_fixed_size: 0
    .kernarg_segment_align: 8
    .kernarg_segment_size: 44
    .language:       OpenCL C
    .language_version:
      - 2
      - 0
    .max_flat_workgroup_size: 256
    .name:           _ZN7rocprim17ROCPRIM_304000_NS6detail33device_block_merge_oddeven_kernelINS1_37wrapped_merge_sort_block_merge_configINS0_14default_configEbN2at4cuda3cub6detail10OpaqueTypeILi8EEEEEPbSC_PSA_SD_jNS1_19radix_merge_compareILb1ELb0EbNS0_19identity_decomposerEEEEEvT0_T1_T2_T3_T4_SL_T5_
    .private_segment_fixed_size: 0
    .sgpr_count:     28
    .sgpr_spill_count: 0
    .symbol:         _ZN7rocprim17ROCPRIM_304000_NS6detail33device_block_merge_oddeven_kernelINS1_37wrapped_merge_sort_block_merge_configINS0_14default_configEbN2at4cuda3cub6detail10OpaqueTypeILi8EEEEEPbSC_PSA_SD_jNS1_19radix_merge_compareILb1ELb0EbNS0_19identity_decomposerEEEEEvT0_T1_T2_T3_T4_SL_T5_.kd
    .uniform_work_group_size: 1
    .uses_dynamic_stack: false
    .vgpr_count:     10
    .vgpr_spill_count: 0
    .wavefront_size: 64
  - .agpr_count:     0
    .args:
      - .address_space:  global
        .offset:         0
        .size:           8
        .value_kind:     global_buffer
      - .offset:         8
        .size:           8
        .value_kind:     by_value
      - .address_space:  global
        .offset:         16
        .size:           8
        .value_kind:     global_buffer
      - .offset:         24
        .size:           1
        .value_kind:     by_value
      - .offset:         32
        .size:           4
        .value_kind:     hidden_block_count_x
      - .offset:         36
        .size:           4
        .value_kind:     hidden_block_count_y
      - .offset:         40
        .size:           4
        .value_kind:     hidden_block_count_z
      - .offset:         44
        .size:           2
        .value_kind:     hidden_group_size_x
      - .offset:         46
        .size:           2
        .value_kind:     hidden_group_size_y
      - .offset:         48
        .size:           2
        .value_kind:     hidden_group_size_z
      - .offset:         50
        .size:           2
        .value_kind:     hidden_remainder_x
      - .offset:         52
        .size:           2
        .value_kind:     hidden_remainder_y
      - .offset:         54
        .size:           2
        .value_kind:     hidden_remainder_z
      - .offset:         72
        .size:           8
        .value_kind:     hidden_global_offset_x
      - .offset:         80
        .size:           8
        .value_kind:     hidden_global_offset_y
      - .offset:         88
        .size:           8
        .value_kind:     hidden_global_offset_z
      - .offset:         96
        .size:           2
        .value_kind:     hidden_grid_dims
    .group_segment_fixed_size: 0
    .kernarg_segment_align: 8
    .kernarg_segment_size: 288
    .language:       OpenCL C
    .language_version:
      - 2
      - 0
    .max_flat_workgroup_size: 128
    .name:           _ZN7rocprim17ROCPRIM_304000_NS6detail16transform_kernelINS1_24wrapped_transform_configINS0_14default_configEbEEbPbS6_NS0_8identityIbEEEEvT1_mT2_T3_
    .private_segment_fixed_size: 0
    .sgpr_count:     28
    .sgpr_spill_count: 0
    .symbol:         _ZN7rocprim17ROCPRIM_304000_NS6detail16transform_kernelINS1_24wrapped_transform_configINS0_14default_configEbEEbPbS6_NS0_8identityIbEEEEvT1_mT2_T3_.kd
    .uniform_work_group_size: 1
    .uses_dynamic_stack: false
    .vgpr_count:     14
    .vgpr_spill_count: 0
    .wavefront_size: 64
  - .agpr_count:     0
    .args:
      - .address_space:  global
        .offset:         0
        .size:           8
        .value_kind:     global_buffer
      - .offset:         8
        .size:           4
        .value_kind:     by_value
      - .offset:         12
        .size:           4
        .value_kind:     by_value
      - .address_space:  global
        .offset:         16
        .size:           8
        .value_kind:     global_buffer
      - .offset:         24
        .size:           1
        .value_kind:     by_value
      - .offset:         28
        .size:           4
        .value_kind:     by_value
    .group_segment_fixed_size: 256
    .kernarg_segment_align: 8
    .kernarg_segment_size: 32
    .language:       OpenCL C
    .language_version:
      - 2
      - 0
    .max_flat_workgroup_size: 128
    .name:           _ZN7rocprim17ROCPRIM_304000_NS6detail45device_block_merge_mergepath_partition_kernelINS1_37wrapped_merge_sort_block_merge_configINS0_14default_configEbN2at4cuda3cub6detail10OpaqueTypeILi8EEEEEPbjNS1_19radix_merge_compareILb1ELb1EbNS0_19identity_decomposerEEEEEvT0_T1_jPSH_T2_SH_
    .private_segment_fixed_size: 0
    .sgpr_count:     18
    .sgpr_spill_count: 0
    .symbol:         _ZN7rocprim17ROCPRIM_304000_NS6detail45device_block_merge_mergepath_partition_kernelINS1_37wrapped_merge_sort_block_merge_configINS0_14default_configEbN2at4cuda3cub6detail10OpaqueTypeILi8EEEEEPbjNS1_19radix_merge_compareILb1ELb1EbNS0_19identity_decomposerEEEEEvT0_T1_jPSH_T2_SH_.kd
    .uniform_work_group_size: 1
    .uses_dynamic_stack: false
    .vgpr_count:     18
    .vgpr_spill_count: 0
    .wavefront_size: 64
  - .agpr_count:     0
    .args:
      - .address_space:  global
        .offset:         0
        .size:           8
        .value_kind:     global_buffer
      - .address_space:  global
        .offset:         8
        .size:           8
        .value_kind:     global_buffer
      - .address_space:  global
        .offset:         16
        .size:           8
        .value_kind:     global_buffer
      - .address_space:  global
        .offset:         24
        .size:           8
        .value_kind:     global_buffer
      - .offset:         32
        .size:           4
        .value_kind:     by_value
      - .offset:         36
        .size:           4
        .value_kind:     by_value
      - .offset:         40
        .size:           4
        .value_kind:     by_value
      - .offset:         44
        .size:           1
        .value_kind:     by_value
      - .address_space:  global
        .offset:         48
        .size:           8
        .value_kind:     global_buffer
      - .address_space:  global
        .offset:         56
        .size:           8
        .value_kind:     global_buffer
      - .offset:         64
        .size:           4
        .value_kind:     hidden_block_count_x
      - .offset:         68
        .size:           4
        .value_kind:     hidden_block_count_y
      - .offset:         72
        .size:           4
        .value_kind:     hidden_block_count_z
      - .offset:         76
        .size:           2
        .value_kind:     hidden_group_size_x
      - .offset:         78
        .size:           2
        .value_kind:     hidden_group_size_y
      - .offset:         80
        .size:           2
        .value_kind:     hidden_group_size_z
      - .offset:         82
        .size:           2
        .value_kind:     hidden_remainder_x
      - .offset:         84
        .size:           2
        .value_kind:     hidden_remainder_y
      - .offset:         86
        .size:           2
        .value_kind:     hidden_remainder_z
      - .offset:         104
        .size:           8
        .value_kind:     hidden_global_offset_x
      - .offset:         112
        .size:           8
        .value_kind:     hidden_global_offset_y
      - .offset:         120
        .size:           8
        .value_kind:     hidden_global_offset_z
      - .offset:         128
        .size:           2
        .value_kind:     hidden_grid_dims
    .group_segment_fixed_size: 10768
    .kernarg_segment_align: 8
    .kernarg_segment_size: 320
    .language:       OpenCL C
    .language_version:
      - 2
      - 0
    .max_flat_workgroup_size: 512
    .name:           _ZN7rocprim17ROCPRIM_304000_NS6detail35device_block_merge_mergepath_kernelINS1_37wrapped_merge_sort_block_merge_configINS0_14default_configEbN2at4cuda3cub6detail10OpaqueTypeILi8EEEEEPbSC_PSA_SD_jNS1_19radix_merge_compareILb1ELb1EbNS0_19identity_decomposerEEEEEvT0_T1_T2_T3_T4_SL_jT5_PKSL_NS1_7vsmem_tE
    .private_segment_fixed_size: 0
    .sgpr_count:     35
    .sgpr_spill_count: 0
    .symbol:         _ZN7rocprim17ROCPRIM_304000_NS6detail35device_block_merge_mergepath_kernelINS1_37wrapped_merge_sort_block_merge_configINS0_14default_configEbN2at4cuda3cub6detail10OpaqueTypeILi8EEEEEPbSC_PSA_SD_jNS1_19radix_merge_compareILb1ELb1EbNS0_19identity_decomposerEEEEEvT0_T1_T2_T3_T4_SL_jT5_PKSL_NS1_7vsmem_tE.kd
    .uniform_work_group_size: 1
    .uses_dynamic_stack: false
    .vgpr_count:     16
    .vgpr_spill_count: 0
    .wavefront_size: 64
  - .agpr_count:     0
    .args:
      - .address_space:  global
        .offset:         0
        .size:           8
        .value_kind:     global_buffer
      - .address_space:  global
        .offset:         8
        .size:           8
        .value_kind:     global_buffer
      - .address_space:  global
        .offset:         16
        .size:           8
        .value_kind:     global_buffer
      - .address_space:  global
        .offset:         24
        .size:           8
        .value_kind:     global_buffer
      - .offset:         32
        .size:           4
        .value_kind:     by_value
      - .offset:         36
        .size:           4
        .value_kind:     by_value
      - .offset:         40
        .size:           1
        .value_kind:     by_value
    .group_segment_fixed_size: 512
    .kernarg_segment_align: 8
    .kernarg_segment_size: 44
    .language:       OpenCL C
    .language_version:
      - 2
      - 0
    .max_flat_workgroup_size: 256
    .name:           _ZN7rocprim17ROCPRIM_304000_NS6detail33device_block_merge_oddeven_kernelINS1_37wrapped_merge_sort_block_merge_configINS0_14default_configEbN2at4cuda3cub6detail10OpaqueTypeILi8EEEEEPbSC_PSA_SD_jNS1_19radix_merge_compareILb1ELb1EbNS0_19identity_decomposerEEEEEvT0_T1_T2_T3_T4_SL_T5_
    .private_segment_fixed_size: 0
    .sgpr_count:     28
    .sgpr_spill_count: 0
    .symbol:         _ZN7rocprim17ROCPRIM_304000_NS6detail33device_block_merge_oddeven_kernelINS1_37wrapped_merge_sort_block_merge_configINS0_14default_configEbN2at4cuda3cub6detail10OpaqueTypeILi8EEEEEPbSC_PSA_SD_jNS1_19radix_merge_compareILb1ELb1EbNS0_19identity_decomposerEEEEEvT0_T1_T2_T3_T4_SL_T5_.kd
    .uniform_work_group_size: 1
    .uses_dynamic_stack: false
    .vgpr_count:     12
    .vgpr_spill_count: 0
    .wavefront_size: 64
  - .agpr_count:     0
    .args:
      - .address_space:  global
        .offset:         0
        .size:           8
        .value_kind:     global_buffer
      - .address_space:  global
        .offset:         8
        .size:           8
        .value_kind:     global_buffer
      - .offset:         16
        .size:           8
        .value_kind:     by_value
      - .offset:         24
        .size:           8
        .value_kind:     by_value
      - .offset:         32
        .size:           1
        .value_kind:     by_value
      - .offset:         36
        .size:           4
        .value_kind:     by_value
      - .offset:         40
        .size:           4
        .value_kind:     by_value
    .group_segment_fixed_size: 4096
    .kernarg_segment_align: 8
    .kernarg_segment_size: 44
    .language:       OpenCL C
    .language_version:
      - 2
      - 0
    .max_flat_workgroup_size: 512
    .name:           _ZN7rocprim17ROCPRIM_304000_NS6detail26onesweep_histograms_kernelINS1_34wrapped_radix_sort_onesweep_configINS0_14default_configEbN2at4cuda3cub6detail10OpaqueTypeILi8EEEEELb1EPKbmNS0_19identity_decomposerEEEvT1_PT2_SG_SG_T3_jj
    .private_segment_fixed_size: 0
    .sgpr_count:     41
    .sgpr_spill_count: 0
    .symbol:         _ZN7rocprim17ROCPRIM_304000_NS6detail26onesweep_histograms_kernelINS1_34wrapped_radix_sort_onesweep_configINS0_14default_configEbN2at4cuda3cub6detail10OpaqueTypeILi8EEEEELb1EPKbmNS0_19identity_decomposerEEEvT1_PT2_SG_SG_T3_jj.kd
    .uniform_work_group_size: 1
    .uses_dynamic_stack: false
    .vgpr_count:     18
    .vgpr_spill_count: 0
    .wavefront_size: 64
  - .agpr_count:     0
    .args:
      - .address_space:  global
        .offset:         0
        .size:           8
        .value_kind:     global_buffer
    .group_segment_fixed_size: 64
    .kernarg_segment_align: 8
    .kernarg_segment_size: 8
    .language:       OpenCL C
    .language_version:
      - 2
      - 0
    .max_flat_workgroup_size: 512
    .name:           _ZN7rocprim17ROCPRIM_304000_NS6detail31onesweep_scan_histograms_kernelINS1_34wrapped_radix_sort_onesweep_configINS0_14default_configEbN2at4cuda3cub6detail10OpaqueTypeILi8EEEEEmEEvPT0_
    .private_segment_fixed_size: 0
    .sgpr_count:     16
    .sgpr_spill_count: 0
    .symbol:         _ZN7rocprim17ROCPRIM_304000_NS6detail31onesweep_scan_histograms_kernelINS1_34wrapped_radix_sort_onesweep_configINS0_14default_configEbN2at4cuda3cub6detail10OpaqueTypeILi8EEEEEmEEvPT0_.kd
    .uniform_work_group_size: 1
    .uses_dynamic_stack: false
    .vgpr_count:     16
    .vgpr_spill_count: 0
    .wavefront_size: 64
  - .agpr_count:     0
    .args:
      - .address_space:  global
        .offset:         0
        .size:           8
        .value_kind:     global_buffer
      - .offset:         8
        .size:           8
        .value_kind:     by_value
      - .address_space:  global
        .offset:         16
        .size:           8
        .value_kind:     global_buffer
      - .offset:         24
        .size:           1
        .value_kind:     by_value
      - .offset:         32
        .size:           4
        .value_kind:     hidden_block_count_x
      - .offset:         36
        .size:           4
        .value_kind:     hidden_block_count_y
      - .offset:         40
        .size:           4
        .value_kind:     hidden_block_count_z
      - .offset:         44
        .size:           2
        .value_kind:     hidden_group_size_x
      - .offset:         46
        .size:           2
        .value_kind:     hidden_group_size_y
      - .offset:         48
        .size:           2
        .value_kind:     hidden_group_size_z
      - .offset:         50
        .size:           2
        .value_kind:     hidden_remainder_x
      - .offset:         52
        .size:           2
        .value_kind:     hidden_remainder_y
      - .offset:         54
        .size:           2
        .value_kind:     hidden_remainder_z
      - .offset:         72
        .size:           8
        .value_kind:     hidden_global_offset_x
      - .offset:         80
        .size:           8
        .value_kind:     hidden_global_offset_y
      - .offset:         88
        .size:           8
        .value_kind:     hidden_global_offset_z
      - .offset:         96
        .size:           2
        .value_kind:     hidden_grid_dims
    .group_segment_fixed_size: 0
    .kernarg_segment_align: 8
    .kernarg_segment_size: 288
    .language:       OpenCL C
    .language_version:
      - 2
      - 0
    .max_flat_workgroup_size: 128
    .name:           _ZN7rocprim17ROCPRIM_304000_NS6detail16transform_kernelINS1_24wrapped_transform_configINS0_14default_configEbEEbPKbPbNS0_8identityIbEEEEvT1_mT2_T3_
    .private_segment_fixed_size: 0
    .sgpr_count:     28
    .sgpr_spill_count: 0
    .symbol:         _ZN7rocprim17ROCPRIM_304000_NS6detail16transform_kernelINS1_24wrapped_transform_configINS0_14default_configEbEEbPKbPbNS0_8identityIbEEEEvT1_mT2_T3_.kd
    .uniform_work_group_size: 1
    .uses_dynamic_stack: false
    .vgpr_count:     14
    .vgpr_spill_count: 0
    .wavefront_size: 64
  - .agpr_count:     0
    .args:
      - .address_space:  global
        .offset:         0
        .size:           8
        .value_kind:     global_buffer
      - .address_space:  global
        .offset:         8
        .size:           8
        .value_kind:     global_buffer
      - .address_space:  global
        .offset:         16
        .size:           8
        .value_kind:     global_buffer
      - .address_space:  global
        .offset:         24
        .size:           8
        .value_kind:     global_buffer
      - .offset:         32
        .size:           4
        .value_kind:     by_value
      - .address_space:  global
        .offset:         40
        .size:           8
        .value_kind:     global_buffer
      - .address_space:  global
        .offset:         48
        .size:           8
        .value_kind:     global_buffer
      - .address_space:  global
        .offset:         56
        .size:           8
        .value_kind:     global_buffer
      - .offset:         64
        .size:           1
        .value_kind:     by_value
      - .offset:         68
        .size:           4
        .value_kind:     by_value
      - .offset:         72
        .size:           4
        .value_kind:     by_value
      - .offset:         76
        .size:           4
        .value_kind:     by_value
      - .offset:         80
        .size:           4
        .value_kind:     hidden_block_count_x
      - .offset:         84
        .size:           4
        .value_kind:     hidden_block_count_y
      - .offset:         88
        .size:           4
        .value_kind:     hidden_block_count_z
      - .offset:         92
        .size:           2
        .value_kind:     hidden_group_size_x
      - .offset:         94
        .size:           2
        .value_kind:     hidden_group_size_y
      - .offset:         96
        .size:           2
        .value_kind:     hidden_group_size_z
      - .offset:         98
        .size:           2
        .value_kind:     hidden_remainder_x
      - .offset:         100
        .size:           2
        .value_kind:     hidden_remainder_y
      - .offset:         102
        .size:           2
        .value_kind:     hidden_remainder_z
      - .offset:         120
        .size:           8
        .value_kind:     hidden_global_offset_x
      - .offset:         128
        .size:           8
        .value_kind:     hidden_global_offset_y
      - .offset:         136
        .size:           8
        .value_kind:     hidden_global_offset_z
      - .offset:         144
        .size:           2
        .value_kind:     hidden_grid_dims
    .group_segment_fixed_size: 26624
    .kernarg_segment_align: 8
    .kernarg_segment_size: 336
    .language:       OpenCL C
    .language_version:
      - 2
      - 0
    .max_flat_workgroup_size: 512
    .name:           _ZN7rocprim17ROCPRIM_304000_NS6detail25onesweep_iteration_kernelINS1_34wrapped_radix_sort_onesweep_configINS0_14default_configEbN2at4cuda3cub6detail10OpaqueTypeILi8EEEEELb1EPKbPbPKSA_PSA_mNS0_19identity_decomposerEEEvT1_T2_T3_T4_jPT5_SO_PNS1_23onesweep_lookback_stateET6_jjj
    .private_segment_fixed_size: 0
    .sgpr_count:     57
    .sgpr_spill_count: 0
    .symbol:         _ZN7rocprim17ROCPRIM_304000_NS6detail25onesweep_iteration_kernelINS1_34wrapped_radix_sort_onesweep_configINS0_14default_configEbN2at4cuda3cub6detail10OpaqueTypeILi8EEEEELb1EPKbPbPKSA_PSA_mNS0_19identity_decomposerEEEvT1_T2_T3_T4_jPT5_SO_PNS1_23onesweep_lookback_stateET6_jjj.kd
    .uniform_work_group_size: 1
    .uses_dynamic_stack: false
    .vgpr_count:     49
    .vgpr_spill_count: 0
    .wavefront_size: 64
  - .agpr_count:     0
    .args:
      - .address_space:  global
        .offset:         0
        .size:           8
        .value_kind:     global_buffer
      - .address_space:  global
        .offset:         8
        .size:           8
        .value_kind:     global_buffer
      - .address_space:  global
        .offset:         16
        .size:           8
        .value_kind:     global_buffer
      - .address_space:  global
        .offset:         24
        .size:           8
        .value_kind:     global_buffer
      - .offset:         32
        .size:           4
        .value_kind:     by_value
      - .address_space:  global
        .offset:         40
        .size:           8
        .value_kind:     global_buffer
      - .address_space:  global
        .offset:         48
        .size:           8
        .value_kind:     global_buffer
      - .address_space:  global
        .offset:         56
        .size:           8
        .value_kind:     global_buffer
      - .offset:         64
        .size:           1
        .value_kind:     by_value
      - .offset:         68
        .size:           4
        .value_kind:     by_value
      - .offset:         72
        .size:           4
        .value_kind:     by_value
      - .offset:         76
        .size:           4
        .value_kind:     by_value
      - .offset:         80
        .size:           4
        .value_kind:     hidden_block_count_x
      - .offset:         84
        .size:           4
        .value_kind:     hidden_block_count_y
      - .offset:         88
        .size:           4
        .value_kind:     hidden_block_count_z
      - .offset:         92
        .size:           2
        .value_kind:     hidden_group_size_x
      - .offset:         94
        .size:           2
        .value_kind:     hidden_group_size_y
      - .offset:         96
        .size:           2
        .value_kind:     hidden_group_size_z
      - .offset:         98
        .size:           2
        .value_kind:     hidden_remainder_x
      - .offset:         100
        .size:           2
        .value_kind:     hidden_remainder_y
      - .offset:         102
        .size:           2
        .value_kind:     hidden_remainder_z
      - .offset:         120
        .size:           8
        .value_kind:     hidden_global_offset_x
      - .offset:         128
        .size:           8
        .value_kind:     hidden_global_offset_y
      - .offset:         136
        .size:           8
        .value_kind:     hidden_global_offset_z
      - .offset:         144
        .size:           2
        .value_kind:     hidden_grid_dims
    .group_segment_fixed_size: 26624
    .kernarg_segment_align: 8
    .kernarg_segment_size: 336
    .language:       OpenCL C
    .language_version:
      - 2
      - 0
    .max_flat_workgroup_size: 512
    .name:           _ZN7rocprim17ROCPRIM_304000_NS6detail25onesweep_iteration_kernelINS1_34wrapped_radix_sort_onesweep_configINS0_14default_configEbN2at4cuda3cub6detail10OpaqueTypeILi8EEEEELb1EPbSC_PSA_SD_mNS0_19identity_decomposerEEEvT1_T2_T3_T4_jPT5_SK_PNS1_23onesweep_lookback_stateET6_jjj
    .private_segment_fixed_size: 0
    .sgpr_count:     57
    .sgpr_spill_count: 0
    .symbol:         _ZN7rocprim17ROCPRIM_304000_NS6detail25onesweep_iteration_kernelINS1_34wrapped_radix_sort_onesweep_configINS0_14default_configEbN2at4cuda3cub6detail10OpaqueTypeILi8EEEEELb1EPbSC_PSA_SD_mNS0_19identity_decomposerEEEvT1_T2_T3_T4_jPT5_SK_PNS1_23onesweep_lookback_stateET6_jjj.kd
    .uniform_work_group_size: 1
    .uses_dynamic_stack: false
    .vgpr_count:     49
    .vgpr_spill_count: 0
    .wavefront_size: 64
  - .agpr_count:     0
    .args:
      - .address_space:  global
        .offset:         0
        .size:           8
        .value_kind:     global_buffer
      - .address_space:  global
        .offset:         8
        .size:           8
        .value_kind:     global_buffer
      - .address_space:  global
        .offset:         16
        .size:           8
        .value_kind:     global_buffer
      - .address_space:  global
        .offset:         24
        .size:           8
        .value_kind:     global_buffer
      - .offset:         32
        .size:           4
        .value_kind:     by_value
      - .offset:         36
        .size:           1
        .value_kind:     by_value
      - .offset:         40
        .size:           4
        .value_kind:     by_value
      - .offset:         44
        .size:           4
        .value_kind:     by_value
      - .offset:         48
        .size:           4
        .value_kind:     hidden_block_count_x
      - .offset:         52
        .size:           4
        .value_kind:     hidden_block_count_y
      - .offset:         56
        .size:           4
        .value_kind:     hidden_block_count_z
      - .offset:         60
        .size:           2
        .value_kind:     hidden_group_size_x
      - .offset:         62
        .size:           2
        .value_kind:     hidden_group_size_y
      - .offset:         64
        .size:           2
        .value_kind:     hidden_group_size_z
      - .offset:         66
        .size:           2
        .value_kind:     hidden_remainder_x
      - .offset:         68
        .size:           2
        .value_kind:     hidden_remainder_y
      - .offset:         70
        .size:           2
        .value_kind:     hidden_remainder_z
      - .offset:         88
        .size:           8
        .value_kind:     hidden_global_offset_x
      - .offset:         96
        .size:           8
        .value_kind:     hidden_global_offset_y
      - .offset:         104
        .size:           8
        .value_kind:     hidden_global_offset_z
      - .offset:         112
        .size:           2
        .value_kind:     hidden_grid_dims
    .group_segment_fixed_size: 8192
    .kernarg_segment_align: 8
    .kernarg_segment_size: 304
    .language:       OpenCL C
    .language_version:
      - 2
      - 0
    .max_flat_workgroup_size: 256
    .name:           _ZN7rocprim17ROCPRIM_304000_NS6detail28radix_sort_block_sort_kernelINS1_36wrapped_radix_sort_block_sort_configINS0_13kernel_configILj256ELj4ELj4294967295EEEbN2at4cuda3cub6detail10OpaqueTypeILi8EEEEELb0EPKbPbPKSB_PSB_NS0_19identity_decomposerEEEvT1_T2_T3_T4_jT5_jj
    .private_segment_fixed_size: 0
    .sgpr_count:     50
    .sgpr_spill_count: 0
    .symbol:         _ZN7rocprim17ROCPRIM_304000_NS6detail28radix_sort_block_sort_kernelINS1_36wrapped_radix_sort_block_sort_configINS0_13kernel_configILj256ELj4ELj4294967295EEEbN2at4cuda3cub6detail10OpaqueTypeILi8EEEEELb0EPKbPbPKSB_PSB_NS0_19identity_decomposerEEEvT1_T2_T3_T4_jT5_jj.kd
    .uniform_work_group_size: 1
    .uses_dynamic_stack: false
    .vgpr_count:     52
    .vgpr_spill_count: 0
    .wavefront_size: 64
  - .agpr_count:     0
    .args:
      - .address_space:  global
        .offset:         0
        .size:           8
        .value_kind:     global_buffer
      - .offset:         8
        .size:           4
        .value_kind:     by_value
      - .offset:         12
        .size:           4
        .value_kind:     by_value
      - .address_space:  global
        .offset:         16
        .size:           8
        .value_kind:     global_buffer
      - .offset:         24
        .size:           1
        .value_kind:     by_value
      - .offset:         28
        .size:           4
        .value_kind:     by_value
    .group_segment_fixed_size: 0
    .kernarg_segment_align: 8
    .kernarg_segment_size: 32
    .language:       OpenCL C
    .language_version:
      - 2
      - 0
    .max_flat_workgroup_size: 128
    .name:           _ZN7rocprim17ROCPRIM_304000_NS6detail45device_block_merge_mergepath_partition_kernelINS1_37wrapped_merge_sort_block_merge_configINS0_14default_configEbN2at4cuda3cub6detail10OpaqueTypeILi8EEEEEPbjNS1_19radix_merge_compareILb0ELb0EbNS0_19identity_decomposerEEEEEvT0_T1_jPSH_T2_SH_
    .private_segment_fixed_size: 0
    .sgpr_count:     12
    .sgpr_spill_count: 0
    .symbol:         _ZN7rocprim17ROCPRIM_304000_NS6detail45device_block_merge_mergepath_partition_kernelINS1_37wrapped_merge_sort_block_merge_configINS0_14default_configEbN2at4cuda3cub6detail10OpaqueTypeILi8EEEEEPbjNS1_19radix_merge_compareILb0ELb0EbNS0_19identity_decomposerEEEEEvT0_T1_jPSH_T2_SH_.kd
    .uniform_work_group_size: 1
    .uses_dynamic_stack: false
    .vgpr_count:     17
    .vgpr_spill_count: 0
    .wavefront_size: 64
  - .agpr_count:     0
    .args:
      - .address_space:  global
        .offset:         0
        .size:           8
        .value_kind:     global_buffer
      - .address_space:  global
        .offset:         8
        .size:           8
        .value_kind:     global_buffer
      - .address_space:  global
        .offset:         16
        .size:           8
        .value_kind:     global_buffer
      - .address_space:  global
        .offset:         24
        .size:           8
        .value_kind:     global_buffer
      - .offset:         32
        .size:           4
        .value_kind:     by_value
      - .offset:         36
        .size:           4
        .value_kind:     by_value
      - .offset:         40
        .size:           4
        .value_kind:     by_value
      - .offset:         44
        .size:           1
        .value_kind:     by_value
      - .address_space:  global
        .offset:         48
        .size:           8
        .value_kind:     global_buffer
      - .address_space:  global
        .offset:         56
        .size:           8
        .value_kind:     global_buffer
      - .offset:         64
        .size:           4
        .value_kind:     hidden_block_count_x
      - .offset:         68
        .size:           4
        .value_kind:     hidden_block_count_y
      - .offset:         72
        .size:           4
        .value_kind:     hidden_block_count_z
      - .offset:         76
        .size:           2
        .value_kind:     hidden_group_size_x
      - .offset:         78
        .size:           2
        .value_kind:     hidden_group_size_y
      - .offset:         80
        .size:           2
        .value_kind:     hidden_group_size_z
      - .offset:         82
        .size:           2
        .value_kind:     hidden_remainder_x
      - .offset:         84
        .size:           2
        .value_kind:     hidden_remainder_y
      - .offset:         86
        .size:           2
        .value_kind:     hidden_remainder_z
      - .offset:         104
        .size:           8
        .value_kind:     hidden_global_offset_x
      - .offset:         112
        .size:           8
        .value_kind:     hidden_global_offset_y
      - .offset:         120
        .size:           8
        .value_kind:     hidden_global_offset_z
      - .offset:         128
        .size:           2
        .value_kind:     hidden_grid_dims
    .group_segment_fixed_size: 8208
    .kernarg_segment_align: 8
    .kernarg_segment_size: 320
    .language:       OpenCL C
    .language_version:
      - 2
      - 0
    .max_flat_workgroup_size: 512
    .name:           _ZN7rocprim17ROCPRIM_304000_NS6detail35device_block_merge_mergepath_kernelINS1_37wrapped_merge_sort_block_merge_configINS0_14default_configEbN2at4cuda3cub6detail10OpaqueTypeILi8EEEEEPbSC_PSA_SD_jNS1_19radix_merge_compareILb0ELb0EbNS0_19identity_decomposerEEEEEvT0_T1_T2_T3_T4_SL_jT5_PKSL_NS1_7vsmem_tE
    .private_segment_fixed_size: 0
    .sgpr_count:     35
    .sgpr_spill_count: 0
    .symbol:         _ZN7rocprim17ROCPRIM_304000_NS6detail35device_block_merge_mergepath_kernelINS1_37wrapped_merge_sort_block_merge_configINS0_14default_configEbN2at4cuda3cub6detail10OpaqueTypeILi8EEEEEPbSC_PSA_SD_jNS1_19radix_merge_compareILb0ELb0EbNS0_19identity_decomposerEEEEEvT0_T1_T2_T3_T4_SL_jT5_PKSL_NS1_7vsmem_tE.kd
    .uniform_work_group_size: 1
    .uses_dynamic_stack: false
    .vgpr_count:     16
    .vgpr_spill_count: 0
    .wavefront_size: 64
  - .agpr_count:     0
    .args:
      - .address_space:  global
        .offset:         0
        .size:           8
        .value_kind:     global_buffer
      - .address_space:  global
        .offset:         8
        .size:           8
        .value_kind:     global_buffer
      - .address_space:  global
        .offset:         16
        .size:           8
        .value_kind:     global_buffer
      - .address_space:  global
        .offset:         24
        .size:           8
        .value_kind:     global_buffer
      - .offset:         32
        .size:           4
        .value_kind:     by_value
      - .offset:         36
        .size:           4
        .value_kind:     by_value
      - .offset:         40
        .size:           1
        .value_kind:     by_value
    .group_segment_fixed_size: 0
    .kernarg_segment_align: 8
    .kernarg_segment_size: 44
    .language:       OpenCL C
    .language_version:
      - 2
      - 0
    .max_flat_workgroup_size: 256
    .name:           _ZN7rocprim17ROCPRIM_304000_NS6detail33device_block_merge_oddeven_kernelINS1_37wrapped_merge_sort_block_merge_configINS0_14default_configEbN2at4cuda3cub6detail10OpaqueTypeILi8EEEEEPbSC_PSA_SD_jNS1_19radix_merge_compareILb0ELb0EbNS0_19identity_decomposerEEEEEvT0_T1_T2_T3_T4_SL_T5_
    .private_segment_fixed_size: 0
    .sgpr_count:     28
    .sgpr_spill_count: 0
    .symbol:         _ZN7rocprim17ROCPRIM_304000_NS6detail33device_block_merge_oddeven_kernelINS1_37wrapped_merge_sort_block_merge_configINS0_14default_configEbN2at4cuda3cub6detail10OpaqueTypeILi8EEEEEPbSC_PSA_SD_jNS1_19radix_merge_compareILb0ELb0EbNS0_19identity_decomposerEEEEEvT0_T1_T2_T3_T4_SL_T5_.kd
    .uniform_work_group_size: 1
    .uses_dynamic_stack: false
    .vgpr_count:     10
    .vgpr_spill_count: 0
    .wavefront_size: 64
  - .agpr_count:     0
    .args:
      - .address_space:  global
        .offset:         0
        .size:           8
        .value_kind:     global_buffer
      - .offset:         8
        .size:           4
        .value_kind:     by_value
      - .offset:         12
        .size:           4
        .value_kind:     by_value
      - .address_space:  global
        .offset:         16
        .size:           8
        .value_kind:     global_buffer
      - .offset:         24
        .size:           1
        .value_kind:     by_value
      - .offset:         28
        .size:           4
        .value_kind:     by_value
    .group_segment_fixed_size: 256
    .kernarg_segment_align: 8
    .kernarg_segment_size: 32
    .language:       OpenCL C
    .language_version:
      - 2
      - 0
    .max_flat_workgroup_size: 128
    .name:           _ZN7rocprim17ROCPRIM_304000_NS6detail45device_block_merge_mergepath_partition_kernelINS1_37wrapped_merge_sort_block_merge_configINS0_14default_configEbN2at4cuda3cub6detail10OpaqueTypeILi8EEEEEPbjNS1_19radix_merge_compareILb0ELb1EbNS0_19identity_decomposerEEEEEvT0_T1_jPSH_T2_SH_
    .private_segment_fixed_size: 0
    .sgpr_count:     18
    .sgpr_spill_count: 0
    .symbol:         _ZN7rocprim17ROCPRIM_304000_NS6detail45device_block_merge_mergepath_partition_kernelINS1_37wrapped_merge_sort_block_merge_configINS0_14default_configEbN2at4cuda3cub6detail10OpaqueTypeILi8EEEEEPbjNS1_19radix_merge_compareILb0ELb1EbNS0_19identity_decomposerEEEEEvT0_T1_jPSH_T2_SH_.kd
    .uniform_work_group_size: 1
    .uses_dynamic_stack: false
    .vgpr_count:     18
    .vgpr_spill_count: 0
    .wavefront_size: 64
  - .agpr_count:     0
    .args:
      - .address_space:  global
        .offset:         0
        .size:           8
        .value_kind:     global_buffer
      - .address_space:  global
        .offset:         8
        .size:           8
        .value_kind:     global_buffer
      - .address_space:  global
        .offset:         16
        .size:           8
        .value_kind:     global_buffer
      - .address_space:  global
        .offset:         24
        .size:           8
        .value_kind:     global_buffer
      - .offset:         32
        .size:           4
        .value_kind:     by_value
      - .offset:         36
        .size:           4
        .value_kind:     by_value
      - .offset:         40
        .size:           4
        .value_kind:     by_value
      - .offset:         44
        .size:           1
        .value_kind:     by_value
      - .address_space:  global
        .offset:         48
        .size:           8
        .value_kind:     global_buffer
      - .address_space:  global
        .offset:         56
        .size:           8
        .value_kind:     global_buffer
      - .offset:         64
        .size:           4
        .value_kind:     hidden_block_count_x
      - .offset:         68
        .size:           4
        .value_kind:     hidden_block_count_y
      - .offset:         72
        .size:           4
        .value_kind:     hidden_block_count_z
      - .offset:         76
        .size:           2
        .value_kind:     hidden_group_size_x
      - .offset:         78
        .size:           2
        .value_kind:     hidden_group_size_y
      - .offset:         80
        .size:           2
        .value_kind:     hidden_group_size_z
      - .offset:         82
        .size:           2
        .value_kind:     hidden_remainder_x
      - .offset:         84
        .size:           2
        .value_kind:     hidden_remainder_y
      - .offset:         86
        .size:           2
        .value_kind:     hidden_remainder_z
      - .offset:         104
        .size:           8
        .value_kind:     hidden_global_offset_x
      - .offset:         112
        .size:           8
        .value_kind:     hidden_global_offset_y
      - .offset:         120
        .size:           8
        .value_kind:     hidden_global_offset_z
      - .offset:         128
        .size:           2
        .value_kind:     hidden_grid_dims
    .group_segment_fixed_size: 10768
    .kernarg_segment_align: 8
    .kernarg_segment_size: 320
    .language:       OpenCL C
    .language_version:
      - 2
      - 0
    .max_flat_workgroup_size: 512
    .name:           _ZN7rocprim17ROCPRIM_304000_NS6detail35device_block_merge_mergepath_kernelINS1_37wrapped_merge_sort_block_merge_configINS0_14default_configEbN2at4cuda3cub6detail10OpaqueTypeILi8EEEEEPbSC_PSA_SD_jNS1_19radix_merge_compareILb0ELb1EbNS0_19identity_decomposerEEEEEvT0_T1_T2_T3_T4_SL_jT5_PKSL_NS1_7vsmem_tE
    .private_segment_fixed_size: 0
    .sgpr_count:     35
    .sgpr_spill_count: 0
    .symbol:         _ZN7rocprim17ROCPRIM_304000_NS6detail35device_block_merge_mergepath_kernelINS1_37wrapped_merge_sort_block_merge_configINS0_14default_configEbN2at4cuda3cub6detail10OpaqueTypeILi8EEEEEPbSC_PSA_SD_jNS1_19radix_merge_compareILb0ELb1EbNS0_19identity_decomposerEEEEEvT0_T1_T2_T3_T4_SL_jT5_PKSL_NS1_7vsmem_tE.kd
    .uniform_work_group_size: 1
    .uses_dynamic_stack: false
    .vgpr_count:     16
    .vgpr_spill_count: 0
    .wavefront_size: 64
  - .agpr_count:     0
    .args:
      - .address_space:  global
        .offset:         0
        .size:           8
        .value_kind:     global_buffer
      - .address_space:  global
        .offset:         8
        .size:           8
        .value_kind:     global_buffer
      - .address_space:  global
        .offset:         16
        .size:           8
        .value_kind:     global_buffer
      - .address_space:  global
        .offset:         24
        .size:           8
        .value_kind:     global_buffer
      - .offset:         32
        .size:           4
        .value_kind:     by_value
      - .offset:         36
        .size:           4
        .value_kind:     by_value
      - .offset:         40
        .size:           1
        .value_kind:     by_value
    .group_segment_fixed_size: 512
    .kernarg_segment_align: 8
    .kernarg_segment_size: 44
    .language:       OpenCL C
    .language_version:
      - 2
      - 0
    .max_flat_workgroup_size: 256
    .name:           _ZN7rocprim17ROCPRIM_304000_NS6detail33device_block_merge_oddeven_kernelINS1_37wrapped_merge_sort_block_merge_configINS0_14default_configEbN2at4cuda3cub6detail10OpaqueTypeILi8EEEEEPbSC_PSA_SD_jNS1_19radix_merge_compareILb0ELb1EbNS0_19identity_decomposerEEEEEvT0_T1_T2_T3_T4_SL_T5_
    .private_segment_fixed_size: 0
    .sgpr_count:     28
    .sgpr_spill_count: 0
    .symbol:         _ZN7rocprim17ROCPRIM_304000_NS6detail33device_block_merge_oddeven_kernelINS1_37wrapped_merge_sort_block_merge_configINS0_14default_configEbN2at4cuda3cub6detail10OpaqueTypeILi8EEEEEPbSC_PSA_SD_jNS1_19radix_merge_compareILb0ELb1EbNS0_19identity_decomposerEEEEEvT0_T1_T2_T3_T4_SL_T5_.kd
    .uniform_work_group_size: 1
    .uses_dynamic_stack: false
    .vgpr_count:     12
    .vgpr_spill_count: 0
    .wavefront_size: 64
  - .agpr_count:     0
    .args:
      - .address_space:  global
        .offset:         0
        .size:           8
        .value_kind:     global_buffer
      - .address_space:  global
        .offset:         8
        .size:           8
        .value_kind:     global_buffer
      - .offset:         16
        .size:           8
        .value_kind:     by_value
      - .offset:         24
        .size:           8
        .value_kind:     by_value
      - .offset:         32
        .size:           1
        .value_kind:     by_value
      - .offset:         36
        .size:           4
        .value_kind:     by_value
      - .offset:         40
        .size:           4
        .value_kind:     by_value
    .group_segment_fixed_size: 4096
    .kernarg_segment_align: 8
    .kernarg_segment_size: 44
    .language:       OpenCL C
    .language_version:
      - 2
      - 0
    .max_flat_workgroup_size: 512
    .name:           _ZN7rocprim17ROCPRIM_304000_NS6detail26onesweep_histograms_kernelINS1_34wrapped_radix_sort_onesweep_configINS0_14default_configEbN2at4cuda3cub6detail10OpaqueTypeILi8EEEEELb0EPKbmNS0_19identity_decomposerEEEvT1_PT2_SG_SG_T3_jj
    .private_segment_fixed_size: 0
    .sgpr_count:     34
    .sgpr_spill_count: 0
    .symbol:         _ZN7rocprim17ROCPRIM_304000_NS6detail26onesweep_histograms_kernelINS1_34wrapped_radix_sort_onesweep_configINS0_14default_configEbN2at4cuda3cub6detail10OpaqueTypeILi8EEEEELb0EPKbmNS0_19identity_decomposerEEEvT1_PT2_SG_SG_T3_jj.kd
    .uniform_work_group_size: 1
    .uses_dynamic_stack: false
    .vgpr_count:     18
    .vgpr_spill_count: 0
    .wavefront_size: 64
  - .agpr_count:     0
    .args:
      - .address_space:  global
        .offset:         0
        .size:           8
        .value_kind:     global_buffer
      - .address_space:  global
        .offset:         8
        .size:           8
        .value_kind:     global_buffer
      - .address_space:  global
        .offset:         16
        .size:           8
        .value_kind:     global_buffer
      - .address_space:  global
        .offset:         24
        .size:           8
        .value_kind:     global_buffer
      - .offset:         32
        .size:           4
        .value_kind:     by_value
      - .address_space:  global
        .offset:         40
        .size:           8
        .value_kind:     global_buffer
      - .address_space:  global
        .offset:         48
        .size:           8
        .value_kind:     global_buffer
      - .address_space:  global
        .offset:         56
        .size:           8
        .value_kind:     global_buffer
      - .offset:         64
        .size:           1
        .value_kind:     by_value
      - .offset:         68
        .size:           4
        .value_kind:     by_value
      - .offset:         72
        .size:           4
        .value_kind:     by_value
      - .offset:         76
        .size:           4
        .value_kind:     by_value
      - .offset:         80
        .size:           4
        .value_kind:     hidden_block_count_x
      - .offset:         84
        .size:           4
        .value_kind:     hidden_block_count_y
      - .offset:         88
        .size:           4
        .value_kind:     hidden_block_count_z
      - .offset:         92
        .size:           2
        .value_kind:     hidden_group_size_x
      - .offset:         94
        .size:           2
        .value_kind:     hidden_group_size_y
      - .offset:         96
        .size:           2
        .value_kind:     hidden_group_size_z
      - .offset:         98
        .size:           2
        .value_kind:     hidden_remainder_x
      - .offset:         100
        .size:           2
        .value_kind:     hidden_remainder_y
      - .offset:         102
        .size:           2
        .value_kind:     hidden_remainder_z
      - .offset:         120
        .size:           8
        .value_kind:     hidden_global_offset_x
      - .offset:         128
        .size:           8
        .value_kind:     hidden_global_offset_y
      - .offset:         136
        .size:           8
        .value_kind:     hidden_global_offset_z
      - .offset:         144
        .size:           2
        .value_kind:     hidden_grid_dims
    .group_segment_fixed_size: 26624
    .kernarg_segment_align: 8
    .kernarg_segment_size: 336
    .language:       OpenCL C
    .language_version:
      - 2
      - 0
    .max_flat_workgroup_size: 512
    .name:           _ZN7rocprim17ROCPRIM_304000_NS6detail25onesweep_iteration_kernelINS1_34wrapped_radix_sort_onesweep_configINS0_14default_configEbN2at4cuda3cub6detail10OpaqueTypeILi8EEEEELb0EPKbPbPKSA_PSA_mNS0_19identity_decomposerEEEvT1_T2_T3_T4_jPT5_SO_PNS1_23onesweep_lookback_stateET6_jjj
    .private_segment_fixed_size: 0
    .sgpr_count:     56
    .sgpr_spill_count: 0
    .symbol:         _ZN7rocprim17ROCPRIM_304000_NS6detail25onesweep_iteration_kernelINS1_34wrapped_radix_sort_onesweep_configINS0_14default_configEbN2at4cuda3cub6detail10OpaqueTypeILi8EEEEELb0EPKbPbPKSA_PSA_mNS0_19identity_decomposerEEEvT1_T2_T3_T4_jPT5_SO_PNS1_23onesweep_lookback_stateET6_jjj.kd
    .uniform_work_group_size: 1
    .uses_dynamic_stack: false
    .vgpr_count:     49
    .vgpr_spill_count: 0
    .wavefront_size: 64
  - .agpr_count:     0
    .args:
      - .address_space:  global
        .offset:         0
        .size:           8
        .value_kind:     global_buffer
      - .address_space:  global
        .offset:         8
        .size:           8
        .value_kind:     global_buffer
      - .address_space:  global
        .offset:         16
        .size:           8
        .value_kind:     global_buffer
      - .address_space:  global
        .offset:         24
        .size:           8
        .value_kind:     global_buffer
      - .offset:         32
        .size:           4
        .value_kind:     by_value
      - .address_space:  global
        .offset:         40
        .size:           8
        .value_kind:     global_buffer
      - .address_space:  global
        .offset:         48
        .size:           8
        .value_kind:     global_buffer
      - .address_space:  global
        .offset:         56
        .size:           8
        .value_kind:     global_buffer
      - .offset:         64
        .size:           1
        .value_kind:     by_value
      - .offset:         68
        .size:           4
        .value_kind:     by_value
      - .offset:         72
        .size:           4
        .value_kind:     by_value
      - .offset:         76
        .size:           4
        .value_kind:     by_value
      - .offset:         80
        .size:           4
        .value_kind:     hidden_block_count_x
      - .offset:         84
        .size:           4
        .value_kind:     hidden_block_count_y
      - .offset:         88
        .size:           4
        .value_kind:     hidden_block_count_z
      - .offset:         92
        .size:           2
        .value_kind:     hidden_group_size_x
      - .offset:         94
        .size:           2
        .value_kind:     hidden_group_size_y
      - .offset:         96
        .size:           2
        .value_kind:     hidden_group_size_z
      - .offset:         98
        .size:           2
        .value_kind:     hidden_remainder_x
      - .offset:         100
        .size:           2
        .value_kind:     hidden_remainder_y
      - .offset:         102
        .size:           2
        .value_kind:     hidden_remainder_z
      - .offset:         120
        .size:           8
        .value_kind:     hidden_global_offset_x
      - .offset:         128
        .size:           8
        .value_kind:     hidden_global_offset_y
      - .offset:         136
        .size:           8
        .value_kind:     hidden_global_offset_z
      - .offset:         144
        .size:           2
        .value_kind:     hidden_grid_dims
    .group_segment_fixed_size: 26624
    .kernarg_segment_align: 8
    .kernarg_segment_size: 336
    .language:       OpenCL C
    .language_version:
      - 2
      - 0
    .max_flat_workgroup_size: 512
    .name:           _ZN7rocprim17ROCPRIM_304000_NS6detail25onesweep_iteration_kernelINS1_34wrapped_radix_sort_onesweep_configINS0_14default_configEbN2at4cuda3cub6detail10OpaqueTypeILi8EEEEELb0EPbSC_PSA_SD_mNS0_19identity_decomposerEEEvT1_T2_T3_T4_jPT5_SK_PNS1_23onesweep_lookback_stateET6_jjj
    .private_segment_fixed_size: 0
    .sgpr_count:     56
    .sgpr_spill_count: 0
    .symbol:         _ZN7rocprim17ROCPRIM_304000_NS6detail25onesweep_iteration_kernelINS1_34wrapped_radix_sort_onesweep_configINS0_14default_configEbN2at4cuda3cub6detail10OpaqueTypeILi8EEEEELb0EPbSC_PSA_SD_mNS0_19identity_decomposerEEEvT1_T2_T3_T4_jPT5_SK_PNS1_23onesweep_lookback_stateET6_jjj.kd
    .uniform_work_group_size: 1
    .uses_dynamic_stack: false
    .vgpr_count:     49
    .vgpr_spill_count: 0
    .wavefront_size: 64
  - .agpr_count:     0
    .args:
      - .address_space:  global
        .offset:         0
        .size:           8
        .value_kind:     global_buffer
      - .address_space:  global
        .offset:         8
        .size:           8
        .value_kind:     global_buffer
      - .address_space:  global
        .offset:         16
        .size:           8
        .value_kind:     global_buffer
      - .address_space:  global
        .offset:         24
        .size:           8
        .value_kind:     global_buffer
      - .offset:         32
        .size:           4
        .value_kind:     by_value
      - .offset:         36
        .size:           1
        .value_kind:     by_value
      - .offset:         40
        .size:           4
        .value_kind:     by_value
      - .offset:         44
        .size:           4
        .value_kind:     by_value
      - .offset:         48
        .size:           4
        .value_kind:     hidden_block_count_x
      - .offset:         52
        .size:           4
        .value_kind:     hidden_block_count_y
      - .offset:         56
        .size:           4
        .value_kind:     hidden_block_count_z
      - .offset:         60
        .size:           2
        .value_kind:     hidden_group_size_x
      - .offset:         62
        .size:           2
        .value_kind:     hidden_group_size_y
      - .offset:         64
        .size:           2
        .value_kind:     hidden_group_size_z
      - .offset:         66
        .size:           2
        .value_kind:     hidden_remainder_x
      - .offset:         68
        .size:           2
        .value_kind:     hidden_remainder_y
      - .offset:         70
        .size:           2
        .value_kind:     hidden_remainder_z
      - .offset:         88
        .size:           8
        .value_kind:     hidden_global_offset_x
      - .offset:         96
        .size:           8
        .value_kind:     hidden_global_offset_y
      - .offset:         104
        .size:           8
        .value_kind:     hidden_global_offset_z
      - .offset:         112
        .size:           2
        .value_kind:     hidden_grid_dims
    .group_segment_fixed_size: 8192
    .kernarg_segment_align: 8
    .kernarg_segment_size: 304
    .language:       OpenCL C
    .language_version:
      - 2
      - 0
    .max_flat_workgroup_size: 256
    .name:           _ZN7rocprim17ROCPRIM_304000_NS6detail28radix_sort_block_sort_kernelINS1_36wrapped_radix_sort_block_sort_configINS0_13kernel_configILj256ELj4ELj4294967295EEE6__halfN2at4cuda3cub6detail10OpaqueTypeILi8EEEEELb1EPKS6_PS6_PKSC_PSC_NS0_19identity_decomposerEEEvT1_T2_T3_T4_jT5_jj
    .private_segment_fixed_size: 0
    .sgpr_count:     54
    .sgpr_spill_count: 0
    .symbol:         _ZN7rocprim17ROCPRIM_304000_NS6detail28radix_sort_block_sort_kernelINS1_36wrapped_radix_sort_block_sort_configINS0_13kernel_configILj256ELj4ELj4294967295EEE6__halfN2at4cuda3cub6detail10OpaqueTypeILi8EEEEELb1EPKS6_PS6_PKSC_PSC_NS0_19identity_decomposerEEEvT1_T2_T3_T4_jT5_jj.kd
    .uniform_work_group_size: 1
    .uses_dynamic_stack: false
    .vgpr_count:     56
    .vgpr_spill_count: 0
    .wavefront_size: 64
  - .agpr_count:     0
    .args:           []
    .group_segment_fixed_size: 0
    .kernarg_segment_align: 4
    .kernarg_segment_size: 0
    .language:       OpenCL C
    .language_version:
      - 2
      - 0
    .max_flat_workgroup_size: 1024
    .name:           _ZN7rocprim17ROCPRIM_304000_NS6detail39device_merge_sort_compile_time_verifierINS1_36wrapped_merge_sort_block_sort_configINS1_28merge_sort_block_sort_configILj256ELj4ELNS0_20block_sort_algorithmE0EEE6__halfN2at4cuda3cub6detail10OpaqueTypeILi8EEEEENS1_37wrapped_merge_sort_block_merge_configINS0_14default_configES7_SD_EEEEvv
    .private_segment_fixed_size: 0
    .sgpr_count:     6
    .sgpr_spill_count: 0
    .symbol:         _ZN7rocprim17ROCPRIM_304000_NS6detail39device_merge_sort_compile_time_verifierINS1_36wrapped_merge_sort_block_sort_configINS1_28merge_sort_block_sort_configILj256ELj4ELNS0_20block_sort_algorithmE0EEE6__halfN2at4cuda3cub6detail10OpaqueTypeILi8EEEEENS1_37wrapped_merge_sort_block_merge_configINS0_14default_configES7_SD_EEEEvv.kd
    .uniform_work_group_size: 1
    .uses_dynamic_stack: false
    .vgpr_count:     0
    .vgpr_spill_count: 0
    .wavefront_size: 64
  - .agpr_count:     0
    .args:
      - .address_space:  global
        .offset:         0
        .size:           8
        .value_kind:     global_buffer
      - .offset:         8
        .size:           4
        .value_kind:     by_value
      - .offset:         12
        .size:           4
        .value_kind:     by_value
      - .address_space:  global
        .offset:         16
        .size:           8
        .value_kind:     global_buffer
      - .offset:         24
        .size:           1
        .value_kind:     by_value
      - .offset:         28
        .size:           4
        .value_kind:     by_value
    .group_segment_fixed_size: 0
    .kernarg_segment_align: 8
    .kernarg_segment_size: 32
    .language:       OpenCL C
    .language_version:
      - 2
      - 0
    .max_flat_workgroup_size: 128
    .name:           _ZN7rocprim17ROCPRIM_304000_NS6detail45device_block_merge_mergepath_partition_kernelINS1_37wrapped_merge_sort_block_merge_configINS0_14default_configE6__halfN2at4cuda3cub6detail10OpaqueTypeILi8EEEEEPS5_jNS1_19radix_merge_compareILb1ELb0ES5_NS0_19identity_decomposerEEEEEvT0_T1_jPSI_T2_SI_
    .private_segment_fixed_size: 0
    .sgpr_count:     14
    .sgpr_spill_count: 0
    .symbol:         _ZN7rocprim17ROCPRIM_304000_NS6detail45device_block_merge_mergepath_partition_kernelINS1_37wrapped_merge_sort_block_merge_configINS0_14default_configE6__halfN2at4cuda3cub6detail10OpaqueTypeILi8EEEEEPS5_jNS1_19radix_merge_compareILb1ELb0ES5_NS0_19identity_decomposerEEEEEvT0_T1_jPSI_T2_SI_.kd
    .uniform_work_group_size: 1
    .uses_dynamic_stack: false
    .vgpr_count:     17
    .vgpr_spill_count: 0
    .wavefront_size: 64
  - .agpr_count:     0
    .args:
      - .address_space:  global
        .offset:         0
        .size:           8
        .value_kind:     global_buffer
      - .address_space:  global
        .offset:         8
        .size:           8
        .value_kind:     global_buffer
      - .address_space:  global
        .offset:         16
        .size:           8
        .value_kind:     global_buffer
      - .address_space:  global
        .offset:         24
        .size:           8
        .value_kind:     global_buffer
      - .offset:         32
        .size:           4
        .value_kind:     by_value
      - .offset:         36
        .size:           4
        .value_kind:     by_value
      - .offset:         40
        .size:           4
        .value_kind:     by_value
      - .offset:         44
        .size:           1
        .value_kind:     by_value
      - .address_space:  global
        .offset:         48
        .size:           8
        .value_kind:     global_buffer
      - .address_space:  global
        .offset:         56
        .size:           8
        .value_kind:     global_buffer
      - .offset:         64
        .size:           4
        .value_kind:     hidden_block_count_x
      - .offset:         68
        .size:           4
        .value_kind:     hidden_block_count_y
      - .offset:         72
        .size:           4
        .value_kind:     hidden_block_count_z
      - .offset:         76
        .size:           2
        .value_kind:     hidden_group_size_x
      - .offset:         78
        .size:           2
        .value_kind:     hidden_group_size_y
      - .offset:         80
        .size:           2
        .value_kind:     hidden_group_size_z
      - .offset:         82
        .size:           2
        .value_kind:     hidden_remainder_x
      - .offset:         84
        .size:           2
        .value_kind:     hidden_remainder_y
      - .offset:         86
        .size:           2
        .value_kind:     hidden_remainder_z
      - .offset:         104
        .size:           8
        .value_kind:     hidden_global_offset_x
      - .offset:         112
        .size:           8
        .value_kind:     hidden_global_offset_y
      - .offset:         120
        .size:           8
        .value_kind:     hidden_global_offset_z
      - .offset:         128
        .size:           2
        .value_kind:     hidden_grid_dims
    .group_segment_fixed_size: 8208
    .kernarg_segment_align: 8
    .kernarg_segment_size: 320
    .language:       OpenCL C
    .language_version:
      - 2
      - 0
    .max_flat_workgroup_size: 256
    .name:           _ZN7rocprim17ROCPRIM_304000_NS6detail35device_block_merge_mergepath_kernelINS1_37wrapped_merge_sort_block_merge_configINS0_14default_configE6__halfN2at4cuda3cub6detail10OpaqueTypeILi8EEEEEPS5_SD_PSB_SE_jNS1_19radix_merge_compareILb1ELb0ES5_NS0_19identity_decomposerEEEEEvT0_T1_T2_T3_T4_SM_jT5_PKSM_NS1_7vsmem_tE
    .private_segment_fixed_size: 0
    .sgpr_count:     37
    .sgpr_spill_count: 0
    .symbol:         _ZN7rocprim17ROCPRIM_304000_NS6detail35device_block_merge_mergepath_kernelINS1_37wrapped_merge_sort_block_merge_configINS0_14default_configE6__halfN2at4cuda3cub6detail10OpaqueTypeILi8EEEEEPS5_SD_PSB_SE_jNS1_19radix_merge_compareILb1ELb0ES5_NS0_19identity_decomposerEEEEEvT0_T1_T2_T3_T4_SM_jT5_PKSM_NS1_7vsmem_tE.kd
    .uniform_work_group_size: 1
    .uses_dynamic_stack: false
    .vgpr_count:     27
    .vgpr_spill_count: 0
    .wavefront_size: 64
  - .agpr_count:     0
    .args:
      - .address_space:  global
        .offset:         0
        .size:           8
        .value_kind:     global_buffer
      - .address_space:  global
        .offset:         8
        .size:           8
        .value_kind:     global_buffer
      - .address_space:  global
        .offset:         16
        .size:           8
        .value_kind:     global_buffer
      - .address_space:  global
        .offset:         24
        .size:           8
        .value_kind:     global_buffer
      - .offset:         32
        .size:           4
        .value_kind:     by_value
      - .offset:         36
        .size:           4
        .value_kind:     by_value
      - .offset:         40
        .size:           1
        .value_kind:     by_value
    .group_segment_fixed_size: 0
    .kernarg_segment_align: 8
    .kernarg_segment_size: 44
    .language:       OpenCL C
    .language_version:
      - 2
      - 0
    .max_flat_workgroup_size: 256
    .name:           _ZN7rocprim17ROCPRIM_304000_NS6detail33device_block_merge_oddeven_kernelINS1_37wrapped_merge_sort_block_merge_configINS0_14default_configE6__halfN2at4cuda3cub6detail10OpaqueTypeILi8EEEEEPS5_SD_PSB_SE_jNS1_19radix_merge_compareILb1ELb0ES5_NS0_19identity_decomposerEEEEEvT0_T1_T2_T3_T4_SM_T5_
    .private_segment_fixed_size: 0
    .sgpr_count:     28
    .sgpr_spill_count: 0
    .symbol:         _ZN7rocprim17ROCPRIM_304000_NS6detail33device_block_merge_oddeven_kernelINS1_37wrapped_merge_sort_block_merge_configINS0_14default_configE6__halfN2at4cuda3cub6detail10OpaqueTypeILi8EEEEEPS5_SD_PSB_SE_jNS1_19radix_merge_compareILb1ELb0ES5_NS0_19identity_decomposerEEEEEvT0_T1_T2_T3_T4_SM_T5_.kd
    .uniform_work_group_size: 1
    .uses_dynamic_stack: false
    .vgpr_count:     12
    .vgpr_spill_count: 0
    .wavefront_size: 64
  - .agpr_count:     0
    .args:
      - .address_space:  global
        .offset:         0
        .size:           8
        .value_kind:     global_buffer
      - .offset:         8
        .size:           8
        .value_kind:     by_value
      - .address_space:  global
        .offset:         16
        .size:           8
        .value_kind:     global_buffer
      - .offset:         24
        .size:           1
        .value_kind:     by_value
      - .offset:         32
        .size:           4
        .value_kind:     hidden_block_count_x
      - .offset:         36
        .size:           4
        .value_kind:     hidden_block_count_y
      - .offset:         40
        .size:           4
        .value_kind:     hidden_block_count_z
      - .offset:         44
        .size:           2
        .value_kind:     hidden_group_size_x
      - .offset:         46
        .size:           2
        .value_kind:     hidden_group_size_y
      - .offset:         48
        .size:           2
        .value_kind:     hidden_group_size_z
      - .offset:         50
        .size:           2
        .value_kind:     hidden_remainder_x
      - .offset:         52
        .size:           2
        .value_kind:     hidden_remainder_y
      - .offset:         54
        .size:           2
        .value_kind:     hidden_remainder_z
      - .offset:         72
        .size:           8
        .value_kind:     hidden_global_offset_x
      - .offset:         80
        .size:           8
        .value_kind:     hidden_global_offset_y
      - .offset:         88
        .size:           8
        .value_kind:     hidden_global_offset_z
      - .offset:         96
        .size:           2
        .value_kind:     hidden_grid_dims
    .group_segment_fixed_size: 0
    .kernarg_segment_align: 8
    .kernarg_segment_size: 288
    .language:       OpenCL C
    .language_version:
      - 2
      - 0
    .max_flat_workgroup_size: 128
    .name:           _ZN7rocprim17ROCPRIM_304000_NS6detail16transform_kernelINS1_24wrapped_transform_configINS0_14default_configE6__halfEES5_PS5_S7_NS0_8identityIS5_EEEEvT1_mT2_T3_
    .private_segment_fixed_size: 0
    .sgpr_count:     18
    .sgpr_spill_count: 0
    .symbol:         _ZN7rocprim17ROCPRIM_304000_NS6detail16transform_kernelINS1_24wrapped_transform_configINS0_14default_configE6__halfEES5_PS5_S7_NS0_8identityIS5_EEEEvT1_mT2_T3_.kd
    .uniform_work_group_size: 1
    .uses_dynamic_stack: false
    .vgpr_count:     10
    .vgpr_spill_count: 0
    .wavefront_size: 64
  - .agpr_count:     0
    .args:
      - .address_space:  global
        .offset:         0
        .size:           8
        .value_kind:     global_buffer
      - .address_space:  global
        .offset:         8
        .size:           8
        .value_kind:     global_buffer
      - .offset:         16
        .size:           8
        .value_kind:     by_value
      - .offset:         24
        .size:           8
        .value_kind:     by_value
      - .offset:         32
        .size:           1
        .value_kind:     by_value
      - .offset:         36
        .size:           4
        .value_kind:     by_value
      - .offset:         40
        .size:           4
        .value_kind:     by_value
    .group_segment_fixed_size: 8192
    .kernarg_segment_align: 8
    .kernarg_segment_size: 44
    .language:       OpenCL C
    .language_version:
      - 2
      - 0
    .max_flat_workgroup_size: 256
    .name:           _ZN7rocprim17ROCPRIM_304000_NS6detail26onesweep_histograms_kernelINS1_34wrapped_radix_sort_onesweep_configINS0_14default_configE6__halfN2at4cuda3cub6detail10OpaqueTypeILi8EEEEELb1EPKS5_mNS0_19identity_decomposerEEEvT1_PT2_SH_SH_T3_jj
    .private_segment_fixed_size: 0
    .sgpr_count:     50
    .sgpr_spill_count: 0
    .symbol:         _ZN7rocprim17ROCPRIM_304000_NS6detail26onesweep_histograms_kernelINS1_34wrapped_radix_sort_onesweep_configINS0_14default_configE6__halfN2at4cuda3cub6detail10OpaqueTypeILi8EEEEELb1EPKS5_mNS0_19identity_decomposerEEEvT1_PT2_SH_SH_T3_jj.kd
    .uniform_work_group_size: 1
    .uses_dynamic_stack: false
    .vgpr_count:     24
    .vgpr_spill_count: 0
    .wavefront_size: 64
  - .agpr_count:     0
    .args:
      - .address_space:  global
        .offset:         0
        .size:           8
        .value_kind:     global_buffer
    .group_segment_fixed_size: 32
    .kernarg_segment_align: 8
    .kernarg_segment_size: 8
    .language:       OpenCL C
    .language_version:
      - 2
      - 0
    .max_flat_workgroup_size: 256
    .name:           _ZN7rocprim17ROCPRIM_304000_NS6detail31onesweep_scan_histograms_kernelINS1_34wrapped_radix_sort_onesweep_configINS0_14default_configE6__halfN2at4cuda3cub6detail10OpaqueTypeILi8EEEEEmEEvPT0_
    .private_segment_fixed_size: 0
    .sgpr_count:     16
    .sgpr_spill_count: 0
    .symbol:         _ZN7rocprim17ROCPRIM_304000_NS6detail31onesweep_scan_histograms_kernelINS1_34wrapped_radix_sort_onesweep_configINS0_14default_configE6__halfN2at4cuda3cub6detail10OpaqueTypeILi8EEEEEmEEvPT0_.kd
    .uniform_work_group_size: 1
    .uses_dynamic_stack: false
    .vgpr_count:     14
    .vgpr_spill_count: 0
    .wavefront_size: 64
  - .agpr_count:     0
    .args:
      - .address_space:  global
        .offset:         0
        .size:           8
        .value_kind:     global_buffer
      - .offset:         8
        .size:           8
        .value_kind:     by_value
      - .address_space:  global
        .offset:         16
        .size:           8
        .value_kind:     global_buffer
      - .offset:         24
        .size:           1
        .value_kind:     by_value
      - .offset:         32
        .size:           4
        .value_kind:     hidden_block_count_x
      - .offset:         36
        .size:           4
        .value_kind:     hidden_block_count_y
      - .offset:         40
        .size:           4
        .value_kind:     hidden_block_count_z
      - .offset:         44
        .size:           2
        .value_kind:     hidden_group_size_x
      - .offset:         46
        .size:           2
        .value_kind:     hidden_group_size_y
      - .offset:         48
        .size:           2
        .value_kind:     hidden_group_size_z
      - .offset:         50
        .size:           2
        .value_kind:     hidden_remainder_x
      - .offset:         52
        .size:           2
        .value_kind:     hidden_remainder_y
      - .offset:         54
        .size:           2
        .value_kind:     hidden_remainder_z
      - .offset:         72
        .size:           8
        .value_kind:     hidden_global_offset_x
      - .offset:         80
        .size:           8
        .value_kind:     hidden_global_offset_y
      - .offset:         88
        .size:           8
        .value_kind:     hidden_global_offset_z
      - .offset:         96
        .size:           2
        .value_kind:     hidden_grid_dims
    .group_segment_fixed_size: 0
    .kernarg_segment_align: 8
    .kernarg_segment_size: 288
    .language:       OpenCL C
    .language_version:
      - 2
      - 0
    .max_flat_workgroup_size: 128
    .name:           _ZN7rocprim17ROCPRIM_304000_NS6detail16transform_kernelINS1_24wrapped_transform_configINS0_14default_configE6__halfEES5_PKS5_PS5_NS0_8identityIS5_EEEEvT1_mT2_T3_
    .private_segment_fixed_size: 0
    .sgpr_count:     18
    .sgpr_spill_count: 0
    .symbol:         _ZN7rocprim17ROCPRIM_304000_NS6detail16transform_kernelINS1_24wrapped_transform_configINS0_14default_configE6__halfEES5_PKS5_PS5_NS0_8identityIS5_EEEEvT1_mT2_T3_.kd
    .uniform_work_group_size: 1
    .uses_dynamic_stack: false
    .vgpr_count:     10
    .vgpr_spill_count: 0
    .wavefront_size: 64
  - .agpr_count:     0
    .args:
      - .address_space:  global
        .offset:         0
        .size:           8
        .value_kind:     global_buffer
      - .address_space:  global
        .offset:         8
        .size:           8
        .value_kind:     global_buffer
      - .address_space:  global
        .offset:         16
        .size:           8
        .value_kind:     global_buffer
      - .address_space:  global
        .offset:         24
        .size:           8
        .value_kind:     global_buffer
      - .offset:         32
        .size:           4
        .value_kind:     by_value
      - .address_space:  global
        .offset:         40
        .size:           8
        .value_kind:     global_buffer
      - .address_space:  global
        .offset:         48
        .size:           8
        .value_kind:     global_buffer
      - .address_space:  global
        .offset:         56
        .size:           8
        .value_kind:     global_buffer
      - .offset:         64
        .size:           1
        .value_kind:     by_value
      - .offset:         68
        .size:           4
        .value_kind:     by_value
      - .offset:         72
        .size:           4
        .value_kind:     by_value
      - .offset:         76
        .size:           4
        .value_kind:     by_value
      - .offset:         80
        .size:           4
        .value_kind:     hidden_block_count_x
      - .offset:         84
        .size:           4
        .value_kind:     hidden_block_count_y
      - .offset:         88
        .size:           4
        .value_kind:     hidden_block_count_z
      - .offset:         92
        .size:           2
        .value_kind:     hidden_group_size_x
      - .offset:         94
        .size:           2
        .value_kind:     hidden_group_size_y
      - .offset:         96
        .size:           2
        .value_kind:     hidden_group_size_z
      - .offset:         98
        .size:           2
        .value_kind:     hidden_remainder_x
      - .offset:         100
        .size:           2
        .value_kind:     hidden_remainder_y
      - .offset:         102
        .size:           2
        .value_kind:     hidden_remainder_z
      - .offset:         120
        .size:           8
        .value_kind:     hidden_global_offset_x
      - .offset:         128
        .size:           8
        .value_kind:     hidden_global_offset_y
      - .offset:         136
        .size:           8
        .value_kind:     hidden_global_offset_z
      - .offset:         144
        .size:           2
        .value_kind:     hidden_grid_dims
    .group_segment_fixed_size: 26624
    .kernarg_segment_align: 8
    .kernarg_segment_size: 336
    .language:       OpenCL C
    .language_version:
      - 2
      - 0
    .max_flat_workgroup_size: 256
    .name:           _ZN7rocprim17ROCPRIM_304000_NS6detail25onesweep_iteration_kernelINS1_34wrapped_radix_sort_onesweep_configINS0_14default_configE6__halfN2at4cuda3cub6detail10OpaqueTypeILi8EEEEELb1EPKS5_PS5_PKSB_PSB_mNS0_19identity_decomposerEEEvT1_T2_T3_T4_jPT5_SP_PNS1_23onesweep_lookback_stateET6_jjj
    .private_segment_fixed_size: 0
    .sgpr_count:     81
    .sgpr_spill_count: 0
    .symbol:         _ZN7rocprim17ROCPRIM_304000_NS6detail25onesweep_iteration_kernelINS1_34wrapped_radix_sort_onesweep_configINS0_14default_configE6__halfN2at4cuda3cub6detail10OpaqueTypeILi8EEEEELb1EPKS5_PS5_PKSB_PSB_mNS0_19identity_decomposerEEEvT1_T2_T3_T4_jPT5_SP_PNS1_23onesweep_lookback_stateET6_jjj.kd
    .uniform_work_group_size: 1
    .uses_dynamic_stack: false
    .vgpr_count:     66
    .vgpr_spill_count: 0
    .wavefront_size: 64
  - .agpr_count:     0
    .args:
      - .address_space:  global
        .offset:         0
        .size:           8
        .value_kind:     global_buffer
      - .address_space:  global
        .offset:         8
        .size:           8
        .value_kind:     global_buffer
      - .address_space:  global
        .offset:         16
        .size:           8
        .value_kind:     global_buffer
      - .address_space:  global
        .offset:         24
        .size:           8
        .value_kind:     global_buffer
      - .offset:         32
        .size:           4
        .value_kind:     by_value
      - .address_space:  global
        .offset:         40
        .size:           8
        .value_kind:     global_buffer
      - .address_space:  global
        .offset:         48
        .size:           8
        .value_kind:     global_buffer
      - .address_space:  global
        .offset:         56
        .size:           8
        .value_kind:     global_buffer
      - .offset:         64
        .size:           1
        .value_kind:     by_value
      - .offset:         68
        .size:           4
        .value_kind:     by_value
      - .offset:         72
        .size:           4
        .value_kind:     by_value
      - .offset:         76
        .size:           4
        .value_kind:     by_value
      - .offset:         80
        .size:           4
        .value_kind:     hidden_block_count_x
      - .offset:         84
        .size:           4
        .value_kind:     hidden_block_count_y
      - .offset:         88
        .size:           4
        .value_kind:     hidden_block_count_z
      - .offset:         92
        .size:           2
        .value_kind:     hidden_group_size_x
      - .offset:         94
        .size:           2
        .value_kind:     hidden_group_size_y
      - .offset:         96
        .size:           2
        .value_kind:     hidden_group_size_z
      - .offset:         98
        .size:           2
        .value_kind:     hidden_remainder_x
      - .offset:         100
        .size:           2
        .value_kind:     hidden_remainder_y
      - .offset:         102
        .size:           2
        .value_kind:     hidden_remainder_z
      - .offset:         120
        .size:           8
        .value_kind:     hidden_global_offset_x
      - .offset:         128
        .size:           8
        .value_kind:     hidden_global_offset_y
      - .offset:         136
        .size:           8
        .value_kind:     hidden_global_offset_z
      - .offset:         144
        .size:           2
        .value_kind:     hidden_grid_dims
    .group_segment_fixed_size: 26624
    .kernarg_segment_align: 8
    .kernarg_segment_size: 336
    .language:       OpenCL C
    .language_version:
      - 2
      - 0
    .max_flat_workgroup_size: 256
    .name:           _ZN7rocprim17ROCPRIM_304000_NS6detail25onesweep_iteration_kernelINS1_34wrapped_radix_sort_onesweep_configINS0_14default_configE6__halfN2at4cuda3cub6detail10OpaqueTypeILi8EEEEELb1EPS5_SD_PSB_SE_mNS0_19identity_decomposerEEEvT1_T2_T3_T4_jPT5_SL_PNS1_23onesweep_lookback_stateET6_jjj
    .private_segment_fixed_size: 0
    .sgpr_count:     81
    .sgpr_spill_count: 0
    .symbol:         _ZN7rocprim17ROCPRIM_304000_NS6detail25onesweep_iteration_kernelINS1_34wrapped_radix_sort_onesweep_configINS0_14default_configE6__halfN2at4cuda3cub6detail10OpaqueTypeILi8EEEEELb1EPS5_SD_PSB_SE_mNS0_19identity_decomposerEEEvT1_T2_T3_T4_jPT5_SL_PNS1_23onesweep_lookback_stateET6_jjj.kd
    .uniform_work_group_size: 1
    .uses_dynamic_stack: false
    .vgpr_count:     66
    .vgpr_spill_count: 0
    .wavefront_size: 64
  - .agpr_count:     0
    .args:
      - .address_space:  global
        .offset:         0
        .size:           8
        .value_kind:     global_buffer
      - .address_space:  global
        .offset:         8
        .size:           8
        .value_kind:     global_buffer
      - .address_space:  global
        .offset:         16
        .size:           8
        .value_kind:     global_buffer
      - .address_space:  global
        .offset:         24
        .size:           8
        .value_kind:     global_buffer
      - .offset:         32
        .size:           4
        .value_kind:     by_value
      - .offset:         36
        .size:           1
        .value_kind:     by_value
      - .offset:         40
        .size:           4
        .value_kind:     by_value
      - .offset:         44
        .size:           4
        .value_kind:     by_value
      - .offset:         48
        .size:           4
        .value_kind:     hidden_block_count_x
      - .offset:         52
        .size:           4
        .value_kind:     hidden_block_count_y
      - .offset:         56
        .size:           4
        .value_kind:     hidden_block_count_z
      - .offset:         60
        .size:           2
        .value_kind:     hidden_group_size_x
      - .offset:         62
        .size:           2
        .value_kind:     hidden_group_size_y
      - .offset:         64
        .size:           2
        .value_kind:     hidden_group_size_z
      - .offset:         66
        .size:           2
        .value_kind:     hidden_remainder_x
      - .offset:         68
        .size:           2
        .value_kind:     hidden_remainder_y
      - .offset:         70
        .size:           2
        .value_kind:     hidden_remainder_z
      - .offset:         88
        .size:           8
        .value_kind:     hidden_global_offset_x
      - .offset:         96
        .size:           8
        .value_kind:     hidden_global_offset_y
      - .offset:         104
        .size:           8
        .value_kind:     hidden_global_offset_z
      - .offset:         112
        .size:           2
        .value_kind:     hidden_grid_dims
    .group_segment_fixed_size: 8192
    .kernarg_segment_align: 8
    .kernarg_segment_size: 304
    .language:       OpenCL C
    .language_version:
      - 2
      - 0
    .max_flat_workgroup_size: 256
    .name:           _ZN7rocprim17ROCPRIM_304000_NS6detail28radix_sort_block_sort_kernelINS1_36wrapped_radix_sort_block_sort_configINS0_13kernel_configILj256ELj4ELj4294967295EEE6__halfN2at4cuda3cub6detail10OpaqueTypeILi8EEEEELb0EPKS6_PS6_PKSC_PSC_NS0_19identity_decomposerEEEvT1_T2_T3_T4_jT5_jj
    .private_segment_fixed_size: 0
    .sgpr_count:     54
    .sgpr_spill_count: 0
    .symbol:         _ZN7rocprim17ROCPRIM_304000_NS6detail28radix_sort_block_sort_kernelINS1_36wrapped_radix_sort_block_sort_configINS0_13kernel_configILj256ELj4ELj4294967295EEE6__halfN2at4cuda3cub6detail10OpaqueTypeILi8EEEEELb0EPKS6_PS6_PKSC_PSC_NS0_19identity_decomposerEEEvT1_T2_T3_T4_jT5_jj.kd
    .uniform_work_group_size: 1
    .uses_dynamic_stack: false
    .vgpr_count:     56
    .vgpr_spill_count: 0
    .wavefront_size: 64
  - .agpr_count:     0
    .args:
      - .address_space:  global
        .offset:         0
        .size:           8
        .value_kind:     global_buffer
      - .offset:         8
        .size:           4
        .value_kind:     by_value
      - .offset:         12
        .size:           4
        .value_kind:     by_value
      - .address_space:  global
        .offset:         16
        .size:           8
        .value_kind:     global_buffer
      - .offset:         24
        .size:           1
        .value_kind:     by_value
      - .offset:         28
        .size:           4
        .value_kind:     by_value
    .group_segment_fixed_size: 0
    .kernarg_segment_align: 8
    .kernarg_segment_size: 32
    .language:       OpenCL C
    .language_version:
      - 2
      - 0
    .max_flat_workgroup_size: 128
    .name:           _ZN7rocprim17ROCPRIM_304000_NS6detail45device_block_merge_mergepath_partition_kernelINS1_37wrapped_merge_sort_block_merge_configINS0_14default_configE6__halfN2at4cuda3cub6detail10OpaqueTypeILi8EEEEEPS5_jNS1_19radix_merge_compareILb0ELb0ES5_NS0_19identity_decomposerEEEEEvT0_T1_jPSI_T2_SI_
    .private_segment_fixed_size: 0
    .sgpr_count:     14
    .sgpr_spill_count: 0
    .symbol:         _ZN7rocprim17ROCPRIM_304000_NS6detail45device_block_merge_mergepath_partition_kernelINS1_37wrapped_merge_sort_block_merge_configINS0_14default_configE6__halfN2at4cuda3cub6detail10OpaqueTypeILi8EEEEEPS5_jNS1_19radix_merge_compareILb0ELb0ES5_NS0_19identity_decomposerEEEEEvT0_T1_jPSI_T2_SI_.kd
    .uniform_work_group_size: 1
    .uses_dynamic_stack: false
    .vgpr_count:     17
    .vgpr_spill_count: 0
    .wavefront_size: 64
  - .agpr_count:     0
    .args:
      - .address_space:  global
        .offset:         0
        .size:           8
        .value_kind:     global_buffer
      - .address_space:  global
        .offset:         8
        .size:           8
        .value_kind:     global_buffer
      - .address_space:  global
        .offset:         16
        .size:           8
        .value_kind:     global_buffer
      - .address_space:  global
        .offset:         24
        .size:           8
        .value_kind:     global_buffer
      - .offset:         32
        .size:           4
        .value_kind:     by_value
      - .offset:         36
        .size:           4
        .value_kind:     by_value
      - .offset:         40
        .size:           4
        .value_kind:     by_value
      - .offset:         44
        .size:           1
        .value_kind:     by_value
      - .address_space:  global
        .offset:         48
        .size:           8
        .value_kind:     global_buffer
      - .address_space:  global
        .offset:         56
        .size:           8
        .value_kind:     global_buffer
      - .offset:         64
        .size:           4
        .value_kind:     hidden_block_count_x
      - .offset:         68
        .size:           4
        .value_kind:     hidden_block_count_y
      - .offset:         72
        .size:           4
        .value_kind:     hidden_block_count_z
      - .offset:         76
        .size:           2
        .value_kind:     hidden_group_size_x
      - .offset:         78
        .size:           2
        .value_kind:     hidden_group_size_y
      - .offset:         80
        .size:           2
        .value_kind:     hidden_group_size_z
      - .offset:         82
        .size:           2
        .value_kind:     hidden_remainder_x
      - .offset:         84
        .size:           2
        .value_kind:     hidden_remainder_y
      - .offset:         86
        .size:           2
        .value_kind:     hidden_remainder_z
      - .offset:         104
        .size:           8
        .value_kind:     hidden_global_offset_x
      - .offset:         112
        .size:           8
        .value_kind:     hidden_global_offset_y
      - .offset:         120
        .size:           8
        .value_kind:     hidden_global_offset_z
      - .offset:         128
        .size:           2
        .value_kind:     hidden_grid_dims
    .group_segment_fixed_size: 8208
    .kernarg_segment_align: 8
    .kernarg_segment_size: 320
    .language:       OpenCL C
    .language_version:
      - 2
      - 0
    .max_flat_workgroup_size: 256
    .name:           _ZN7rocprim17ROCPRIM_304000_NS6detail35device_block_merge_mergepath_kernelINS1_37wrapped_merge_sort_block_merge_configINS0_14default_configE6__halfN2at4cuda3cub6detail10OpaqueTypeILi8EEEEEPS5_SD_PSB_SE_jNS1_19radix_merge_compareILb0ELb0ES5_NS0_19identity_decomposerEEEEEvT0_T1_T2_T3_T4_SM_jT5_PKSM_NS1_7vsmem_tE
    .private_segment_fixed_size: 0
    .sgpr_count:     37
    .sgpr_spill_count: 0
    .symbol:         _ZN7rocprim17ROCPRIM_304000_NS6detail35device_block_merge_mergepath_kernelINS1_37wrapped_merge_sort_block_merge_configINS0_14default_configE6__halfN2at4cuda3cub6detail10OpaqueTypeILi8EEEEEPS5_SD_PSB_SE_jNS1_19radix_merge_compareILb0ELb0ES5_NS0_19identity_decomposerEEEEEvT0_T1_T2_T3_T4_SM_jT5_PKSM_NS1_7vsmem_tE.kd
    .uniform_work_group_size: 1
    .uses_dynamic_stack: false
    .vgpr_count:     27
    .vgpr_spill_count: 0
    .wavefront_size: 64
  - .agpr_count:     0
    .args:
      - .address_space:  global
        .offset:         0
        .size:           8
        .value_kind:     global_buffer
      - .address_space:  global
        .offset:         8
        .size:           8
        .value_kind:     global_buffer
      - .address_space:  global
        .offset:         16
        .size:           8
        .value_kind:     global_buffer
      - .address_space:  global
        .offset:         24
        .size:           8
        .value_kind:     global_buffer
      - .offset:         32
        .size:           4
        .value_kind:     by_value
      - .offset:         36
        .size:           4
        .value_kind:     by_value
      - .offset:         40
        .size:           1
        .value_kind:     by_value
    .group_segment_fixed_size: 0
    .kernarg_segment_align: 8
    .kernarg_segment_size: 44
    .language:       OpenCL C
    .language_version:
      - 2
      - 0
    .max_flat_workgroup_size: 256
    .name:           _ZN7rocprim17ROCPRIM_304000_NS6detail33device_block_merge_oddeven_kernelINS1_37wrapped_merge_sort_block_merge_configINS0_14default_configE6__halfN2at4cuda3cub6detail10OpaqueTypeILi8EEEEEPS5_SD_PSB_SE_jNS1_19radix_merge_compareILb0ELb0ES5_NS0_19identity_decomposerEEEEEvT0_T1_T2_T3_T4_SM_T5_
    .private_segment_fixed_size: 0
    .sgpr_count:     28
    .sgpr_spill_count: 0
    .symbol:         _ZN7rocprim17ROCPRIM_304000_NS6detail33device_block_merge_oddeven_kernelINS1_37wrapped_merge_sort_block_merge_configINS0_14default_configE6__halfN2at4cuda3cub6detail10OpaqueTypeILi8EEEEEPS5_SD_PSB_SE_jNS1_19radix_merge_compareILb0ELb0ES5_NS0_19identity_decomposerEEEEEvT0_T1_T2_T3_T4_SM_T5_.kd
    .uniform_work_group_size: 1
    .uses_dynamic_stack: false
    .vgpr_count:     12
    .vgpr_spill_count: 0
    .wavefront_size: 64
  - .agpr_count:     0
    .args:
      - .address_space:  global
        .offset:         0
        .size:           8
        .value_kind:     global_buffer
      - .address_space:  global
        .offset:         8
        .size:           8
        .value_kind:     global_buffer
      - .offset:         16
        .size:           8
        .value_kind:     by_value
      - .offset:         24
        .size:           8
        .value_kind:     by_value
      - .offset:         32
        .size:           1
        .value_kind:     by_value
      - .offset:         36
        .size:           4
        .value_kind:     by_value
      - .offset:         40
        .size:           4
        .value_kind:     by_value
    .group_segment_fixed_size: 8192
    .kernarg_segment_align: 8
    .kernarg_segment_size: 44
    .language:       OpenCL C
    .language_version:
      - 2
      - 0
    .max_flat_workgroup_size: 256
    .name:           _ZN7rocprim17ROCPRIM_304000_NS6detail26onesweep_histograms_kernelINS1_34wrapped_radix_sort_onesweep_configINS0_14default_configE6__halfN2at4cuda3cub6detail10OpaqueTypeILi8EEEEELb0EPKS5_mNS0_19identity_decomposerEEEvT1_PT2_SH_SH_T3_jj
    .private_segment_fixed_size: 0
    .sgpr_count:     50
    .sgpr_spill_count: 0
    .symbol:         _ZN7rocprim17ROCPRIM_304000_NS6detail26onesweep_histograms_kernelINS1_34wrapped_radix_sort_onesweep_configINS0_14default_configE6__halfN2at4cuda3cub6detail10OpaqueTypeILi8EEEEELb0EPKS5_mNS0_19identity_decomposerEEEvT1_PT2_SH_SH_T3_jj.kd
    .uniform_work_group_size: 1
    .uses_dynamic_stack: false
    .vgpr_count:     24
    .vgpr_spill_count: 0
    .wavefront_size: 64
  - .agpr_count:     0
    .args:
      - .address_space:  global
        .offset:         0
        .size:           8
        .value_kind:     global_buffer
      - .address_space:  global
        .offset:         8
        .size:           8
        .value_kind:     global_buffer
      - .address_space:  global
        .offset:         16
        .size:           8
        .value_kind:     global_buffer
      - .address_space:  global
        .offset:         24
        .size:           8
        .value_kind:     global_buffer
      - .offset:         32
        .size:           4
        .value_kind:     by_value
      - .address_space:  global
        .offset:         40
        .size:           8
        .value_kind:     global_buffer
      - .address_space:  global
        .offset:         48
        .size:           8
        .value_kind:     global_buffer
      - .address_space:  global
        .offset:         56
        .size:           8
        .value_kind:     global_buffer
      - .offset:         64
        .size:           1
        .value_kind:     by_value
      - .offset:         68
        .size:           4
        .value_kind:     by_value
      - .offset:         72
        .size:           4
        .value_kind:     by_value
      - .offset:         76
        .size:           4
        .value_kind:     by_value
      - .offset:         80
        .size:           4
        .value_kind:     hidden_block_count_x
      - .offset:         84
        .size:           4
        .value_kind:     hidden_block_count_y
      - .offset:         88
        .size:           4
        .value_kind:     hidden_block_count_z
      - .offset:         92
        .size:           2
        .value_kind:     hidden_group_size_x
      - .offset:         94
        .size:           2
        .value_kind:     hidden_group_size_y
      - .offset:         96
        .size:           2
        .value_kind:     hidden_group_size_z
      - .offset:         98
        .size:           2
        .value_kind:     hidden_remainder_x
      - .offset:         100
        .size:           2
        .value_kind:     hidden_remainder_y
      - .offset:         102
        .size:           2
        .value_kind:     hidden_remainder_z
      - .offset:         120
        .size:           8
        .value_kind:     hidden_global_offset_x
      - .offset:         128
        .size:           8
        .value_kind:     hidden_global_offset_y
      - .offset:         136
        .size:           8
        .value_kind:     hidden_global_offset_z
      - .offset:         144
        .size:           2
        .value_kind:     hidden_grid_dims
    .group_segment_fixed_size: 26624
    .kernarg_segment_align: 8
    .kernarg_segment_size: 336
    .language:       OpenCL C
    .language_version:
      - 2
      - 0
    .max_flat_workgroup_size: 256
    .name:           _ZN7rocprim17ROCPRIM_304000_NS6detail25onesweep_iteration_kernelINS1_34wrapped_radix_sort_onesweep_configINS0_14default_configE6__halfN2at4cuda3cub6detail10OpaqueTypeILi8EEEEELb0EPKS5_PS5_PKSB_PSB_mNS0_19identity_decomposerEEEvT1_T2_T3_T4_jPT5_SP_PNS1_23onesweep_lookback_stateET6_jjj
    .private_segment_fixed_size: 0
    .sgpr_count:     81
    .sgpr_spill_count: 0
    .symbol:         _ZN7rocprim17ROCPRIM_304000_NS6detail25onesweep_iteration_kernelINS1_34wrapped_radix_sort_onesweep_configINS0_14default_configE6__halfN2at4cuda3cub6detail10OpaqueTypeILi8EEEEELb0EPKS5_PS5_PKSB_PSB_mNS0_19identity_decomposerEEEvT1_T2_T3_T4_jPT5_SP_PNS1_23onesweep_lookback_stateET6_jjj.kd
    .uniform_work_group_size: 1
    .uses_dynamic_stack: false
    .vgpr_count:     66
    .vgpr_spill_count: 0
    .wavefront_size: 64
  - .agpr_count:     0
    .args:
      - .address_space:  global
        .offset:         0
        .size:           8
        .value_kind:     global_buffer
      - .address_space:  global
        .offset:         8
        .size:           8
        .value_kind:     global_buffer
      - .address_space:  global
        .offset:         16
        .size:           8
        .value_kind:     global_buffer
      - .address_space:  global
        .offset:         24
        .size:           8
        .value_kind:     global_buffer
      - .offset:         32
        .size:           4
        .value_kind:     by_value
      - .address_space:  global
        .offset:         40
        .size:           8
        .value_kind:     global_buffer
      - .address_space:  global
        .offset:         48
        .size:           8
        .value_kind:     global_buffer
      - .address_space:  global
        .offset:         56
        .size:           8
        .value_kind:     global_buffer
      - .offset:         64
        .size:           1
        .value_kind:     by_value
      - .offset:         68
        .size:           4
        .value_kind:     by_value
      - .offset:         72
        .size:           4
        .value_kind:     by_value
      - .offset:         76
        .size:           4
        .value_kind:     by_value
      - .offset:         80
        .size:           4
        .value_kind:     hidden_block_count_x
      - .offset:         84
        .size:           4
        .value_kind:     hidden_block_count_y
      - .offset:         88
        .size:           4
        .value_kind:     hidden_block_count_z
      - .offset:         92
        .size:           2
        .value_kind:     hidden_group_size_x
      - .offset:         94
        .size:           2
        .value_kind:     hidden_group_size_y
      - .offset:         96
        .size:           2
        .value_kind:     hidden_group_size_z
      - .offset:         98
        .size:           2
        .value_kind:     hidden_remainder_x
      - .offset:         100
        .size:           2
        .value_kind:     hidden_remainder_y
      - .offset:         102
        .size:           2
        .value_kind:     hidden_remainder_z
      - .offset:         120
        .size:           8
        .value_kind:     hidden_global_offset_x
      - .offset:         128
        .size:           8
        .value_kind:     hidden_global_offset_y
      - .offset:         136
        .size:           8
        .value_kind:     hidden_global_offset_z
      - .offset:         144
        .size:           2
        .value_kind:     hidden_grid_dims
    .group_segment_fixed_size: 26624
    .kernarg_segment_align: 8
    .kernarg_segment_size: 336
    .language:       OpenCL C
    .language_version:
      - 2
      - 0
    .max_flat_workgroup_size: 256
    .name:           _ZN7rocprim17ROCPRIM_304000_NS6detail25onesweep_iteration_kernelINS1_34wrapped_radix_sort_onesweep_configINS0_14default_configE6__halfN2at4cuda3cub6detail10OpaqueTypeILi8EEEEELb0EPS5_SD_PSB_SE_mNS0_19identity_decomposerEEEvT1_T2_T3_T4_jPT5_SL_PNS1_23onesweep_lookback_stateET6_jjj
    .private_segment_fixed_size: 0
    .sgpr_count:     81
    .sgpr_spill_count: 0
    .symbol:         _ZN7rocprim17ROCPRIM_304000_NS6detail25onesweep_iteration_kernelINS1_34wrapped_radix_sort_onesweep_configINS0_14default_configE6__halfN2at4cuda3cub6detail10OpaqueTypeILi8EEEEELb0EPS5_SD_PSB_SE_mNS0_19identity_decomposerEEEvT1_T2_T3_T4_jPT5_SL_PNS1_23onesweep_lookback_stateET6_jjj.kd
    .uniform_work_group_size: 1
    .uses_dynamic_stack: false
    .vgpr_count:     66
    .vgpr_spill_count: 0
    .wavefront_size: 64
amdhsa.target:   amdgcn-amd-amdhsa--gfx950
amdhsa.version:
  - 1
  - 2
...

	.end_amdgpu_metadata
